;; amdgpu-corpus repo=ggml-org/llama.cpp kind=compiled arch=gfx1250 opt=O3
	.amdgcn_target "amdgcn-amd-amdhsa--gfx1250"
	.amdhsa_code_object_version 6
	.section	.text._ZL15flash_attn_tileILi72ELi72ELi8ELi8ELb0EEvPKcS1_S1_S1_S1_PKiPfP15HIP_vector_typeIfLj2EEffffjfiS5_IjLj3EEiiiiiiiiiiiliiliiiiil,"axG",@progbits,_ZL15flash_attn_tileILi72ELi72ELi8ELi8ELb0EEvPKcS1_S1_S1_S1_PKiPfP15HIP_vector_typeIfLj2EEffffjfiS5_IjLj3EEiiiiiiiiiiiliiliiiiil,comdat
	.globl	_ZL15flash_attn_tileILi72ELi72ELi8ELi8ELb0EEvPKcS1_S1_S1_S1_PKiPfP15HIP_vector_typeIfLj2EEffffjfiS5_IjLj3EEiiiiiiiiiiiliiliiiiil ; -- Begin function _ZL15flash_attn_tileILi72ELi72ELi8ELi8ELb0EEvPKcS1_S1_S1_S1_PKiPfP15HIP_vector_typeIfLj2EEffffjfiS5_IjLj3EEiiiiiiiiiiiliiliiiiil
	.p2align	8
	.type	_ZL15flash_attn_tileILi72ELi72ELi8ELi8ELb0EEvPKcS1_S1_S1_S1_PKiPfP15HIP_vector_typeIfLj2EEffffjfiS5_IjLj3EEiiiiiiiiiiiliiliiiiil,@function
_ZL15flash_attn_tileILi72ELi72ELi8ELi8ELb0EEvPKcS1_S1_S1_S1_PKiPfP15HIP_vector_typeIfLj2EEffffjfiS5_IjLj3EEiiiiiiiiiiiliiliiiiil: ; @_ZL15flash_attn_tileILi72ELi72ELi8ELi8ELb0EEvPKcS1_S1_S1_S1_PKiPfP15HIP_vector_typeIfLj2EEffffjfiS5_IjLj3EEiiiiiiiiiiiliiliiiiil
; %bb.0:
	s_clause 0x1
	s_load_b128 s[20:23], s[0:1], 0x5c
	s_load_b64 s[30:31], s[0:1], 0x80
	s_bfe_u32 s5, ttmp6, 0x40014
	s_lshr_b32 s4, ttmp7, 16
	s_add_co_i32 s5, s5, 1
	s_bfe_u32 s6, ttmp6, 0x40008
	s_mul_i32 s5, s4, s5
	s_getreg_b32 s24, hwreg(HW_REG_IB_STS2, 6, 4)
	s_add_co_i32 s6, s6, s5
	s_mov_b32 s37, 0
	s_mov_b64 s[34:35], 0
	s_wait_kmcnt 0x0
	s_ashr_i32 s2, s23, 31
	s_delay_alu instid0(SALU_CYCLE_1) | instskip(NEXT) | instid1(SALU_CYCLE_1)
	s_lshr_b32 s2, s2, 29
	s_add_co_i32 s2, s23, s2
	s_delay_alu instid0(SALU_CYCLE_1) | instskip(NEXT) | instid1(SALU_CYCLE_1)
	s_ashr_i32 s2, s2, 3
	s_cvt_f32_u32 s3, s2
	s_sub_co_i32 s7, 0, s2
	s_delay_alu instid0(SALU_CYCLE_2) | instskip(SKIP_1) | instid1(TRANS32_DEP_1)
	v_rcp_iflag_f32_e32 v1, s3
	v_nop
	v_readfirstlane_b32 s3, v1
	s_mul_f32 s3, s3, 0x4f7ffffe
	s_delay_alu instid0(SALU_CYCLE_3) | instskip(NEXT) | instid1(SALU_CYCLE_3)
	s_cvt_u32_f32 s3, s3
	s_mul_i32 s7, s7, s3
	s_delay_alu instid0(SALU_CYCLE_1) | instskip(NEXT) | instid1(SALU_CYCLE_1)
	s_mul_hi_u32 s7, s3, s7
	s_add_co_i32 s3, s3, s7
	s_cmp_eq_u32 s24, 0
	s_cselect_b32 s4, s4, s6
	s_delay_alu instid0(SALU_CYCLE_1) | instskip(NEXT) | instid1(SALU_CYCLE_1)
	s_mul_hi_u32 s3, s4, s3
	s_mul_i32 s5, s3, s2
	s_add_co_i32 s6, s3, 1
	s_sub_co_i32 s5, s4, s5
	s_delay_alu instid0(SALU_CYCLE_1)
	s_sub_co_i32 s7, s5, s2
	s_cmp_ge_u32 s5, s2
	s_cselect_b32 s3, s6, s3
	s_cselect_b32 s5, s7, s5
	s_add_co_i32 s6, s3, 1
	s_cmp_ge_u32 s5, s2
	s_cselect_b32 s28, s6, s3
	s_abs_i32 s2, s31
	s_abs_i32 s6, s23
	s_cvt_f32_u32 s3, s2
	s_sub_co_i32 s5, 0, s2
	s_lshl_b32 s25, s4, 3
	s_xor_b32 s4, s23, s31
	v_rcp_iflag_f32_e32 v1, s3
	s_ashr_i32 s26, s4, 31
	v_nop
	s_delay_alu instid0(TRANS32_DEP_1) | instskip(SKIP_1) | instid1(SALU_CYCLE_3)
	v_readfirstlane_b32 s3, v1
	s_mul_f32 s3, s3, 0x4f7ffffe
	s_cvt_u32_f32 s3, s3
	s_delay_alu instid0(SALU_CYCLE_3) | instskip(NEXT) | instid1(SALU_CYCLE_1)
	s_mul_i32 s5, s5, s3
	s_mul_hi_u32 s5, s3, s5
	s_delay_alu instid0(SALU_CYCLE_1) | instskip(NEXT) | instid1(SALU_CYCLE_1)
	s_add_co_i32 s3, s3, s5
	s_mul_hi_u32 s3, s6, s3
	s_delay_alu instid0(SALU_CYCLE_1) | instskip(NEXT) | instid1(SALU_CYCLE_1)
	s_mul_i32 s5, s3, s2
	s_sub_co_i32 s4, s6, s5
	s_add_co_i32 s5, s3, 1
	s_sub_co_i32 s6, s4, s2
	s_cmp_ge_u32 s4, s2
	s_cselect_b32 s3, s5, s3
	s_cselect_b32 s4, s6, s4
	s_add_co_i32 s5, s3, 1
	s_cmp_ge_u32 s4, s2
	s_cselect_b32 s2, s5, s3
	s_load_b512 s[4:19], s[0:1], 0x0
	s_xor_b32 s27, s2, s26
	s_load_b64 s[2:3], s[0:1], 0xb8
	s_sub_co_i32 s29, s27, s26
	s_delay_alu instid0(SALU_CYCLE_1) | instskip(NEXT) | instid1(SALU_CYCLE_1)
	s_abs_i32 s33, s29
	s_cvt_f32_u32 s26, s33
	s_delay_alu instid0(SALU_CYCLE_3) | instskip(SKIP_2) | instid1(TRANS32_DEP_1)
	v_rcp_iflag_f32_e32 v1, s26
	s_mul_i32 s26, s28, s23
	v_nop
	v_readfirstlane_b32 s36, v1
	s_wait_kmcnt 0x0
	s_cmp_eq_u64 s[10:11], 0
	s_cbranch_scc1 .LBB0_2
; %bb.1:
	s_abs_i32 s2, s2
	s_abs_i32 s38, s28
	s_cvt_f32_u32 s27, s2
	s_sub_co_i32 s31, 0, s2
	s_load_b64 s[34:35], s[0:1], 0xc8
	s_delay_alu instid0(SALU_CYCLE_1) | instskip(SKIP_1) | instid1(TRANS32_DEP_1)
	v_rcp_iflag_f32_e32 v1, s27
	v_nop
	v_readfirstlane_b32 s27, v1
	s_mul_f32 s27, s27, 0x4f7ffffe
	s_delay_alu instid0(SALU_CYCLE_3) | instskip(NEXT) | instid1(SALU_CYCLE_3)
	s_cvt_u32_f32 s27, s27
	s_mul_i32 s31, s31, s27
	s_delay_alu instid0(SALU_CYCLE_1) | instskip(NEXT) | instid1(SALU_CYCLE_1)
	s_mul_hi_u32 s31, s27, s31
	s_add_co_i32 s27, s27, s31
	s_ashr_i32 s31, s28, 31
	s_mul_hi_u32 s27, s38, s27
	s_delay_alu instid0(SALU_CYCLE_1) | instskip(NEXT) | instid1(SALU_CYCLE_1)
	s_mul_i32 s27, s27, s2
	s_sub_co_i32 s27, s38, s27
	s_delay_alu instid0(SALU_CYCLE_1) | instskip(SKIP_2) | instid1(SALU_CYCLE_1)
	s_sub_co_i32 s38, s27, s2
	s_cmp_ge_u32 s27, s2
	s_cselect_b32 s27, s38, s27
	s_sub_co_i32 s38, s27, s2
	s_cmp_ge_u32 s27, s2
	s_cselect_b32 s2, s38, s27
	s_delay_alu instid0(SALU_CYCLE_1) | instskip(NEXT) | instid1(SALU_CYCLE_1)
	s_xor_b32 s2, s2, s31
	s_sub_co_i32 s38, s2, s31
	s_delay_alu instid0(SALU_CYCLE_1) | instskip(SKIP_2) | instid1(SALU_CYCLE_1)
	s_ashr_i32 s39, s38, 31
	s_wait_kmcnt 0x0
	s_mul_u64 s[34:35], s[34:35], s[38:39]
	s_add_nc_u64 s[34:35], s[10:11], s[34:35]
.LBB0_2:
	s_bfe_u32 s2, ttmp6, 0x4000c
	s_and_b32 s11, ttmp6, 15
	s_add_co_i32 s2, s2, 1
	s_sub_co_i32 s10, s25, s26
	s_mul_i32 s2, ttmp9, s2
	v_bfe_u32 v2, v0, 10, 10
	s_add_co_i32 s11, s11, s2
	s_cmp_eq_u32 s24, 0
	v_and_b32_e32 v35, 0x3ff, v0
	s_cselect_b32 s11, ttmp9, s11
	s_delay_alu instid0(SALU_CYCLE_1) | instskip(NEXT) | instid1(VALU_DEP_2)
	v_lshl_add_u32 v36, s11, 3, v2
	v_cmp_gt_u32_e64 s2, 18, v35
	v_dual_lshlrev_b32 v34, 2, v35 :: v_dual_lshlrev_b32 v3, 3, v35
	s_delay_alu instid0(VALU_DEP_3) | instskip(NEXT) | instid1(VALU_DEP_1)
	v_mul_hi_u32 v1, s20, v36
	v_add_nc_u32_e32 v1, v36, v1
	s_delay_alu instid0(VALU_DEP_1) | instskip(NEXT) | instid1(VALU_DEP_1)
	v_lshrrev_b32_e32 v1, s21, v1
	v_mul_lo_u32 v1, v1, s22
	s_delay_alu instid0(VALU_DEP_1)
	v_sub_nc_u32_e32 v0, v36, v1
	s_and_saveexec_b32 s25, s2
	s_cbranch_execz .LBB0_4
; %bb.3:
	s_load_b96 s[40:42], s[0:1], 0x70
	v_dual_mov_b32 v1, 0 :: v_dual_lshlrev_b32 v6, 2, v34
	s_delay_alu instid0(VALU_DEP_1)
	v_mov_b32_e32 v7, v1
	s_wait_kmcnt 0x0
	s_ashr_i32 s21, s40, 31
	s_mov_b32 s20, s40
	s_mul_i32 s26, s10, s41
	s_lshr_b64 s[20:21], s[20:21], 2
	s_ashr_i32 s27, s26, 31
	v_mul_u64_e32 v[4:5], s[20:21], v[0:1]
	s_mul_i32 s20, s28, s42
	s_delay_alu instid0(SALU_CYCLE_1) | instskip(NEXT) | instid1(SALU_CYCLE_1)
	s_ashr_i32 s21, s20, 31
	s_add_nc_u64 s[4:5], s[4:5], s[20:21]
	s_ashr_i32 s21, s41, 31
	s_add_nc_u64 s[4:5], s[4:5], s[26:27]
	s_mov_b32 s20, s41
	s_delay_alu instid0(SALU_CYCLE_1) | instskip(SKIP_1) | instid1(VALU_DEP_1)
	s_and_b64 s[38:39], s[20:21], -4
	s_and_b64 s[26:27], s[20:21], 0x3ffffffffffffffc
	v_lshl_add_u64 v[4:5], v[4:5], 2, s[4:5]
	s_lshr_b64 s[4:5], s[20:21], 2
	s_delay_alu instid0(VALU_DEP_1) | instskip(NEXT) | instid1(VALU_DEP_1)
	v_add_nc_u64_e32 v[20:21], v[4:5], v[6:7]
	v_add_nc_u64_e32 v[24:25], s[38:39], v[20:21]
	v_lshl_add_u64 v[8:9], s[4:5], 3, v[20:21]
	v_lshl_add_u64 v[22:23], s[26:27], 2, v[20:21]
	global_load_b128 v[4:7], v[20:21], off
	v_mad_nc_u64_u32 v[32:33], s4, 20, v[20:21]
	v_mad_nc_u64_u32 v[42:43], s4, 24, v[20:21]
	s_clause 0x2
	global_load_b128 v[8:11], v[8:9], off
	global_load_b128 v[12:15], v[22:23], off
	;; [unrolled: 1-line block ×3, first 2 shown]
	s_wait_xcnt 0x1
	v_mad_nc_u64_u32 v[22:23], s4, 12, v[20:21]
	s_lshr_b32 s5, s21, 2
	v_mad_nc_u64_u32 v[44:45], s4, 28, v[20:21]
	s_load_b32 s4, s[0:1], 0x40
	v_mad_u32 v33, s5, 20, v33
	v_mad_u32 v43, s5, 24, v43
	s_delay_alu instid0(VALU_DEP_4) | instskip(NEXT) | instid1(VALU_DEP_4)
	v_mad_u32 v23, s5, 12, v23
	v_mad_u32 v45, s5, 28, v45
	s_clause 0x3
	global_load_b128 v[20:23], v[22:23], off
	global_load_b128 v[24:27], v[32:33], off
	global_load_b128 v[28:31], v[42:43], off
	global_load_b128 v[38:41], v[44:45], off
	s_wait_xcnt 0x2
	v_mad_u32_u24 v32, 0x480, v2, v3
	s_wait_loadcnt 0x7
	s_wait_kmcnt 0x0
	v_fma_mixlo_f16 v1, s4, v5, 0
	v_fma_mixlo_f16 v4, s4, v4, 0
	;; [unrolled: 1-line block ×4, first 2 shown]
	s_wait_loadcnt 0x6
	v_fma_mixlo_f16 v7, s4, v8, 0
	v_lshlrev_b32_e32 v1, 16, v1
	v_and_b32_e32 v4, 0xffff, v4
	v_lshlrev_b32_e32 v5, 16, v5
	v_and_b32_e32 v6, 0xffff, v6
	v_fma_mixlo_f16 v8, s4, v9, 0
	v_fma_mixlo_f16 v9, s4, v10, 0
	;; [unrolled: 1-line block ×3, first 2 shown]
	s_wait_loadcnt 0x5
	v_fma_mixlo_f16 v11, s4, v12, 0
	v_fma_mixlo_f16 v12, s4, v13, 0
	;; [unrolled: 1-line block ×4, first 2 shown]
	v_or_b32_e32 v1, v1, v4
	v_or3_b32 v5, v5, v6, 0
	v_dual_lshlrev_b32 v6, 16, v8 :: v_dual_lshlrev_b32 v8, 16, v10
	v_and_b32_e32 v7, 0xffff, v7
	v_and_b32_e32 v9, 0xffff, v9
	v_dual_lshlrev_b32 v10, 16, v12 :: v_dual_lshlrev_b32 v12, 16, v14
	v_and_b32_e32 v13, 0xffff, v13
	s_wait_loadcnt 0x4
	v_fma_mixlo_f16 v15, s4, v16, 0
	v_fma_mixlo_f16 v16, s4, v17, 0
	;; [unrolled: 1-line block ×4, first 2 shown]
	v_or3_b32 v4, 0, 0, v1
	v_or_b32_e32 v1, v6, v7
	v_or3_b32 v7, v8, v9, 0
	v_or3_b32 v9, v12, v13, 0
	s_wait_loadcnt 0x3
	v_fma_mixlo_f16 v12, s4, v21, 0
	v_and_b32_e32 v11, 0xffff, v11
	v_dual_lshlrev_b32 v14, 16, v16 :: v_dual_lshlrev_b32 v16, 16, v18
	v_and_b32_e32 v15, 0xffff, v15
	v_and_b32_e32 v17, 0xffff, v17
	v_lshlrev_b32_e32 v12, 16, v12
	v_or3_b32 v6, 0, 0, v1
	v_fma_mixlo_f16 v1, s4, v20, 0
	v_or_b32_e32 v8, v10, v11
	v_or3_b32 v11, v16, v17, 0
	v_fma_mixlo_f16 v13, s4, v22, 0
	s_wait_loadcnt 0x2
	v_fma_mixlo_f16 v16, s4, v25, 0
	v_or_b32_e32 v10, v14, v15
	v_fma_mixlo_f16 v14, s4, v23, 0
	v_fma_mixlo_f16 v15, s4, v24, 0
	;; [unrolled: 1-line block ×4, first 2 shown]
	s_wait_loadcnt 0x1
	v_fma_mixlo_f16 v19, s4, v28, 0
	v_fma_mixlo_f16 v20, s4, v29, 0
	;; [unrolled: 1-line block ×3, first 2 shown]
	s_wait_loadcnt 0x0
	v_fma_mixlo_f16 v23, s4, v38, 0
	v_fma_mixlo_f16 v24, s4, v39, 0
	;; [unrolled: 1-line block ×3, first 2 shown]
	v_and_b32_e32 v1, 0xffff, v1
	v_lshlrev_b32_e32 v14, 16, v14
	v_and_b32_e32 v13, 0xffff, v13
	v_lshlrev_b32_e32 v16, 16, v16
	v_and_b32_e32 v15, 0xffff, v15
	v_fma_mixlo_f16 v21, s4, v30, 0
	v_fma_mixlo_f16 v25, s4, v40, 0
	v_dual_lshlrev_b32 v18, 16, v18 :: v_dual_lshlrev_b32 v20, 16, v20
	v_and_b32_e32 v17, 0xffff, v17
	v_and_b32_e32 v19, 0xffff, v19
	v_dual_lshlrev_b32 v22, 16, v22 :: v_dual_lshlrev_b32 v24, 16, v24
	v_and_b32_e32 v23, 0xffff, v23
	v_dual_lshlrev_b32 v26, 16, v26 :: v_dual_bitop2_b32 v1, v12, v1 bitop3:0x54
	v_or3_b32 v13, v14, v13, 0
	v_or_b32_e32 v14, v16, v15
	v_and_b32_e32 v21, 0xffff, v21
	v_and_b32_e32 v25, 0xffff, v25
	v_or3_b32 v15, v18, v17, 0
	v_or_b32_e32 v16, v20, v19
	v_or_b32_e32 v18, v24, v23
	v_or3_b32 v10, 0, 0, v10
	v_or3_b32 v12, 0, 0, v1
	;; [unrolled: 1-line block ×8, first 2 shown]
	ds_store_2addr_b64 v32, v[4:5], v[10:11] offset1:18
	ds_store_2addr_b64 v32, v[6:7], v[12:13] offset0:36 offset1:54
	ds_store_2addr_b64 v32, v[8:9], v[14:15] offset0:72 offset1:90
	;; [unrolled: 1-line block ×3, first 2 shown]
.LBB0_4:
	s_or_b32 exec_lo, exec_lo, s25
	s_cmp_eq_u64 s[14:15], 0
	s_wait_dscnt 0x0
	s_barrier_signal -1
	s_barrier_wait -1
	s_cbranch_scc1 .LBB0_6
; %bb.5:
	s_load_b32 s4, s[0:1], 0xd0
	s_wait_kmcnt 0x0
	s_mul_i32 s4, s4, s28
	s_delay_alu instid0(SALU_CYCLE_1)
	s_add_co_i32 s4, s4, s11
	s_load_b32 s30, s[14:15], s4 offset:0x0 scale_offset
.LBB0_6:
	s_wait_xcnt 0x0
	s_bfe_u32 s4, ttmp6, 0x40010
	s_and_b32 s5, ttmp7, 0xffff
	s_add_co_i32 s4, s4, 1
	s_bfe_u32 s11, ttmp6, 0x40004
	s_mul_i32 s4, s5, s4
	v_mbcnt_lo_u32_b32 v42, -1, 0
	s_add_co_i32 s11, s11, s4
	s_cmp_eq_u32 s24, 0
	s_cselect_b32 s31, s5, s11
	s_mov_b32 s5, 0
	s_lshl_b32 s4, s31, 5
	s_wait_kmcnt 0x0
	s_cmp_lt_i32 s4, s30
	s_cbranch_scc1 .LBB0_9
; %bb.7:
	v_mbcnt_lo_u32_b32 v8, -1, 0
	s_delay_alu instid0(VALU_DEP_1)
	v_dual_mov_b32 v37, 32 :: v_dual_bitop2_b32 v43, 16, v8 bitop3:0x14
	v_xor_b32_e32 v41, 8, v8
	v_xor_b32_e32 v40, 4, v8
	;; [unrolled: 1-line block ×4, first 2 shown]
	s_and_not1_b32 vcc_lo, exec_lo, s5
	s_cbranch_vccz .LBB0_10
; %bb.8:
	v_dual_mov_b32 v68, 0 :: v_dual_mov_b32 v13, 0
	v_dual_mov_b32 v7, 0xfeffffff :: v_dual_mov_b32 v6, 0xfeffffff
	;; [unrolled: 1-line block ×16, first 2 shown]
	s_branch .LBB0_18
.LBB0_9:
                                        ; implicit-def: $vgpr8
                                        ; implicit-def: $vgpr37
                                        ; implicit-def: $vgpr43
                                        ; implicit-def: $vgpr41
                                        ; implicit-def: $vgpr40
                                        ; implicit-def: $vgpr39
                                        ; implicit-def: $vgpr38
.LBB0_10:
	s_clause 0x1
	s_load_b64 s[20:21], s[0:1], 0x8c
	s_load_b128 s[24:27], s[0:1], 0x98
	s_mul_f32 s5, s36, 0x4f7ffffe
	s_sub_co_i32 s11, 0, s33
	s_abs_i32 s36, s10
	s_mov_b32 s15, s37
	s_cvt_u32_f32 s5, s5
	s_load_b64 s[38:39], s[0:1], 0xa8
	v_dual_lshrrev_b32 v1, 3, v35 :: v_dual_bitop2_b32 v4, 28, v34 bitop3:0x40
	s_delay_alu instid0(SALU_CYCLE_1)
	s_mul_i32 s11, s11, s5
	s_ashr_i32 s40, s10, 31
	s_mul_hi_u32 s11, s5, s11
	s_ashr_i32 s41, s29, 31
	s_add_co_i32 s14, s5, s11
	s_ashr_i32 s3, s3, 1
	s_mul_u64 s[14:15], s[36:37], s[14:15]
	s_ashr_i32 s29, s28, 31
	s_mul_i32 s5, s15, s33
	s_xor_b32 s11, s40, s41
	s_sub_co_i32 s5, s36, s5
	s_wait_kmcnt 0x0
	s_ashr_i32 s14, s26, 2
	s_ashr_i32 s20, s20, 2
	s_add_co_i32 s26, s15, 1
	s_sub_co_i32 s36, s5, s33
	v_lshl_add_u32 v1, v2, 2, v1
	v_lshl_add_u32 v5, v2, 5, v35
	s_cmp_ge_u32 s5, s33
	v_mad_u32 v48, v0, s3, v35
	s_cselect_b32 s15, s26, s15
	s_cselect_b32 s5, s36, s5
	s_add_co_i32 s26, s15, 1
	v_mul_lo_u32 v20, s20, v1
	v_mul_lo_u32 v22, s20, v5
	;; [unrolled: 1-line block ×4, first 2 shown]
	s_cmp_ge_u32 s5, s33
	v_mul_u32_u24_e32 v6, 0xa0, v1
	s_cselect_b32 s5, s26, s15
	v_dual_lshlrev_b32 v7, 2, v4 :: v_dual_mov_b32 v25, 0
	s_xor_b32 s5, s5, s11
	v_lshlrev_b32_e32 v0, 4, v35
	v_lshl_add_u32 v49, v2, 9, 0x38e0
	v_mul_u32_u24_e32 v1, 0x90, v1
	s_sub_co_i32 s5, s5, s11
	s_mul_u64 s[24:25], s[24:25], s[28:29]
	s_mul_i32 s36, s5, s21
	s_mul_i32 s26, s5, s27
	s_movk_i32 s5, 0x2480
	s_movk_i32 s3, 0x90
	s_add_nc_u64 s[6:7], s[6:7], s[24:25]
	s_mul_u64 s[24:25], s[38:39], s[28:29]
	v_add3_u32 v44, v6, v7, 0x2400
	v_dual_ashrrev_i32 v21, 31, v20 :: v_dual_ashrrev_i32 v23, 31, v22
	v_mul_u32_u24_e32 v45, 0xa0, v35
	v_mul_u32_u24_e32 v46, 0x480, v2
	v_mad_u32_u24 v47, 0xa0, v5, s5
	v_ashrrev_i32_e32 v27, 31, v26
	v_mad_u32_u24 v50, v5, s3, 0x2480
	v_dual_mov_b32 v54, v25 :: v_dual_add_nc_u32 v51, 0x2400, v3
	v_dual_mov_b32 v70, 0xfeffffff :: v_dual_ashrrev_i32 v29, 31, v28
	v_add3_u32 v52, v1, v7, 0x2400
	v_dual_mov_b32 v37, 32 :: v_dual_lshlrev_b32 v24, 2, v4
	v_dual_add_nc_u32 v53, v49, v0 :: v_dual_bitop2_b32 v43, 16, v42 bitop3:0x14
	v_dual_mov_b32 v55, v25 :: v_dual_bitop2_b32 v41, 8, v42 bitop3:0x14
	v_dual_mov_b32 v57, v25 :: v_dual_bitop2_b32 v40, 4, v42 bitop3:0x14
	;; [unrolled: 1-line block ×4, first 2 shown]
	v_dual_mov_b32 v58, v25 :: v_dual_mov_b32 v61, v25
	v_dual_mov_b32 v60, v25 :: v_dual_mov_b32 v62, v25
	;; [unrolled: 1-line block ×12, first 2 shown]
	v_mov_b32_e32 v13, v25
	v_mov_b32_e32 v77, 0xfeffffff
	s_ashr_i32 s37, s36, 31
	s_add_nc_u64 s[8:9], s[8:9], s[24:25]
	s_ashr_i32 s27, s26, 31
	s_add_nc_u64 s[6:7], s[6:7], s[36:37]
	s_add_nc_u64 s[8:9], s[8:9], s[26:27]
	s_ashr_i32 s21, s20, 31
	s_ashr_i32 s15, s14, 31
	s_add_nc_u64 s[24:25], s[0:1], 0xd0
	v_cmp_gt_u32_e32 vcc_lo, 32, v5
.LBB0_11:                               ; =>This Inner Loop Header: Depth=1
	s_ashr_i32 s5, s4, 31
	s_delay_alu instid0(SALU_CYCLE_1) | instskip(NEXT) | instid1(SALU_CYCLE_1)
	s_mul_u64 s[26:27], s[4:5], s[20:21]
	s_lshl_b64 s[26:27], s[26:27], 2
	s_delay_alu instid0(SALU_CYCLE_1)
	s_add_nc_u64 s[26:27], s[6:7], s[26:27]
	s_and_saveexec_b32 s3, vcc_lo
	s_cbranch_execz .LBB0_13
; %bb.12:                               ;   in Loop: Header=BB0_11 Depth=1
	v_lshl_add_u64 v[0:1], v[22:23], 2, s[26:27]
	global_load_b128 v[0:3], v[0:1], off offset:128
	s_wait_loadcnt 0x0
	ds_store_b128 v47, v[0:3]
.LBB0_13:                               ;   in Loop: Header=BB0_11 Depth=1
	s_or_b32 exec_lo, exec_lo, s3
	v_lshl_add_u64 v[0:1], v[20:21], 2, s[26:27]
	v_dual_mov_b32 v4, 0 :: v_dual_mov_b32 v5, 0
	v_dual_mov_b32 v6, 0 :: v_dual_mov_b32 v7, 0
	s_delay_alu instid0(VALU_DEP_3) | instskip(SKIP_3) | instid1(SALU_CYCLE_1)
	v_add_nc_u64_e32 v[0:1], v[0:1], v[24:25]
	v_cmp_gt_i32_e64 s3, 32, v43
	v_add_nc_u32_e32 v106, s4, v48
	s_mul_u64 s[26:27], s[4:5], s[14:15]
	s_lshl_b64 s[26:27], s[26:27], 2
	s_delay_alu instid0(SALU_CYCLE_1)
	s_add_nc_u64 s[26:27], s[8:9], s[26:27]
	global_load_b128 v[0:3], v[0:1], off
	s_wait_loadcnt 0x0
	ds_store_b128 v44, v[0:3]
	s_wait_dscnt 0x0
	s_barrier_signal -1
	s_barrier_wait -1
	ds_load_b128 v[8:11], v45 offset:9216
	ds_load_b128 v[30:33], v46
	ds_load_b128 v[78:81], v46 offset:144
	ds_load_b128 v[82:85], v46 offset:288
	;; [unrolled: 1-line block ×7, first 2 shown]
	v_dual_mov_b32 v0, 0 :: v_dual_mov_b32 v1, 0
	v_dual_mov_b32 v2, 0 :: v_dual_mov_b32 v3, 0
	s_wait_dscnt 0x7
	;;#ASMSTART
	v_dot2_f32_f16 v0, v8, v30, v0
	;;#ASMEND
	;;#ASMSTART
	v_dot2_f32_f16 v0, v9, v31, v0
	;;#ASMEND
	;;#ASMSTART
	v_dot2_f32_f16 v0, v10, v32, v0
	;;#ASMEND
	;;#ASMSTART
	v_dot2_f32_f16 v0, v11, v33, v0
	;;#ASMEND
	s_wait_dscnt 0x6
	;;#ASMSTART
	v_dot2_f32_f16 v1, v8, v78, v1
	;;#ASMEND
	;;#ASMSTART
	v_dot2_f32_f16 v1, v9, v79, v1
	;;#ASMEND
	;;#ASMSTART
	v_dot2_f32_f16 v1, v10, v80, v1
	;;#ASMEND
	;;#ASMSTART
	v_dot2_f32_f16 v1, v11, v81, v1
	;;#ASMEND
	;; [unrolled: 13-line block ×8, first 2 shown]
	ds_load_b128 v[8:11], v45 offset:9232
	ds_load_b128 v[30:33], v46 offset:16
	;; [unrolled: 1-line block ×9, first 2 shown]
	s_wait_dscnt 0x7
	;;#ASMSTART
	v_dot2_f32_f16 v0, v8, v30, v0
	;;#ASMEND
	;;#ASMSTART
	v_dot2_f32_f16 v0, v9, v31, v0
	;;#ASMEND
	;;#ASMSTART
	v_dot2_f32_f16 v0, v10, v32, v0
	;;#ASMEND
	;;#ASMSTART
	v_dot2_f32_f16 v0, v11, v33, v0
	;;#ASMEND
	s_wait_dscnt 0x6
	;;#ASMSTART
	v_dot2_f32_f16 v1, v8, v78, v1
	;;#ASMEND
	;;#ASMSTART
	v_dot2_f32_f16 v1, v9, v79, v1
	;;#ASMEND
	;;#ASMSTART
	v_dot2_f32_f16 v1, v10, v80, v1
	;;#ASMEND
	;;#ASMSTART
	v_dot2_f32_f16 v1, v11, v81, v1
	;;#ASMEND
	;; [unrolled: 13-line block ×8, first 2 shown]
	ds_load_b128 v[8:11], v45 offset:9248
	ds_load_b128 v[30:33], v46 offset:32
	;; [unrolled: 1-line block ×9, first 2 shown]
	s_wait_dscnt 0x7
	;;#ASMSTART
	v_dot2_f32_f16 v0, v8, v30, v0
	;;#ASMEND
	;;#ASMSTART
	v_dot2_f32_f16 v0, v9, v31, v0
	;;#ASMEND
	;;#ASMSTART
	v_dot2_f32_f16 v0, v10, v32, v0
	;;#ASMEND
	;;#ASMSTART
	v_dot2_f32_f16 v0, v11, v33, v0
	;;#ASMEND
	s_wait_dscnt 0x6
	;;#ASMSTART
	v_dot2_f32_f16 v1, v8, v78, v1
	;;#ASMEND
	;;#ASMSTART
	v_dot2_f32_f16 v1, v9, v79, v1
	;;#ASMEND
	;;#ASMSTART
	v_dot2_f32_f16 v1, v10, v80, v1
	;;#ASMEND
	;;#ASMSTART
	v_dot2_f32_f16 v1, v11, v81, v1
	;;#ASMEND
	s_wait_dscnt 0x5
	;;#ASMSTART
	v_dot2_f32_f16 v2, v8, v82, v2
	;;#ASMEND
	;;#ASMSTART
	v_dot2_f32_f16 v2, v9, v83, v2
	;;#ASMEND
	;;#ASMSTART
	v_dot2_f32_f16 v2, v10, v84, v2
	;;#ASMEND
	;;#ASMSTART
	v_dot2_f32_f16 v2, v11, v85, v2
	;;#ASMEND
	s_wait_dscnt 0x4
	;;#ASMSTART
	v_dot2_f32_f16 v3, v8, v86, v3
	;;#ASMEND
	;;#ASMSTART
	v_dot2_f32_f16 v3, v9, v87, v3
	;;#ASMEND
	;;#ASMSTART
	v_dot2_f32_f16 v3, v10, v88, v3
	;;#ASMEND
	;;#ASMSTART
	v_dot2_f32_f16 v3, v11, v89, v3
	;;#ASMEND
	s_wait_dscnt 0x3
	;;#ASMSTART
	v_dot2_f32_f16 v4, v8, v90, v4
	;;#ASMEND
	;;#ASMSTART
	v_dot2_f32_f16 v4, v9, v91, v4
	;;#ASMEND
	;;#ASMSTART
	v_dot2_f32_f16 v4, v10, v92, v4
	;;#ASMEND
	;;#ASMSTART
	v_dot2_f32_f16 v4, v11, v93, v4
	;;#ASMEND
	s_wait_dscnt 0x2
	;;#ASMSTART
	v_dot2_f32_f16 v5, v8, v94, v5
	;;#ASMEND
	;;#ASMSTART
	v_dot2_f32_f16 v5, v9, v95, v5
	;;#ASMEND
	;;#ASMSTART
	v_dot2_f32_f16 v5, v10, v96, v5
	;;#ASMEND
	;;#ASMSTART
	v_dot2_f32_f16 v5, v11, v97, v5
	;;#ASMEND
	s_wait_dscnt 0x1
	;;#ASMSTART
	v_dot2_f32_f16 v6, v8, v98, v6
	;;#ASMEND
	;;#ASMSTART
	v_dot2_f32_f16 v6, v9, v99, v6
	;;#ASMEND
	;;#ASMSTART
	v_dot2_f32_f16 v6, v10, v100, v6
	;;#ASMEND
	;;#ASMSTART
	v_dot2_f32_f16 v6, v11, v101, v6
	;;#ASMEND
	s_wait_dscnt 0x0
	;;#ASMSTART
	v_dot2_f32_f16 v7, v8, v102, v7
	;;#ASMEND
	;;#ASMSTART
	v_dot2_f32_f16 v7, v9, v103, v7
	;;#ASMEND
	;;#ASMSTART
	v_dot2_f32_f16 v7, v10, v104, v7
	;;#ASMEND
	;;#ASMSTART
	v_dot2_f32_f16 v7, v11, v105, v7
	;;#ASMEND
	ds_load_b128 v[8:11], v45 offset:9264
	ds_load_b128 v[30:33], v46 offset:48
	;; [unrolled: 1-line block ×9, first 2 shown]
	s_wait_dscnt 0x7
	;;#ASMSTART
	v_dot2_f32_f16 v0, v8, v30, v0
	;;#ASMEND
	;;#ASMSTART
	v_dot2_f32_f16 v0, v9, v31, v0
	;;#ASMEND
	;;#ASMSTART
	v_dot2_f32_f16 v0, v10, v32, v0
	;;#ASMEND
	;;#ASMSTART
	v_dot2_f32_f16 v0, v11, v33, v0
	;;#ASMEND
	s_wait_dscnt 0x6
	;;#ASMSTART
	v_dot2_f32_f16 v1, v8, v78, v1
	;;#ASMEND
	;;#ASMSTART
	v_dot2_f32_f16 v1, v9, v79, v1
	;;#ASMEND
	;;#ASMSTART
	v_dot2_f32_f16 v1, v10, v80, v1
	;;#ASMEND
	;;#ASMSTART
	v_dot2_f32_f16 v1, v11, v81, v1
	;;#ASMEND
	s_wait_dscnt 0x5
	;;#ASMSTART
	v_dot2_f32_f16 v2, v8, v82, v2
	;;#ASMEND
	;;#ASMSTART
	v_dot2_f32_f16 v2, v9, v83, v2
	;;#ASMEND
	;;#ASMSTART
	v_dot2_f32_f16 v2, v10, v84, v2
	;;#ASMEND
	;;#ASMSTART
	v_dot2_f32_f16 v2, v11, v85, v2
	;;#ASMEND
	s_wait_dscnt 0x4
	;;#ASMSTART
	v_dot2_f32_f16 v3, v8, v86, v3
	;;#ASMEND
	;;#ASMSTART
	v_dot2_f32_f16 v3, v9, v87, v3
	;;#ASMEND
	;;#ASMSTART
	v_dot2_f32_f16 v3, v10, v88, v3
	;;#ASMEND
	;;#ASMSTART
	v_dot2_f32_f16 v3, v11, v89, v3
	;;#ASMEND
	s_wait_dscnt 0x3
	;;#ASMSTART
	v_dot2_f32_f16 v4, v8, v90, v4
	;;#ASMEND
	;;#ASMSTART
	v_dot2_f32_f16 v4, v9, v91, v4
	;;#ASMEND
	;;#ASMSTART
	v_dot2_f32_f16 v4, v10, v92, v4
	;;#ASMEND
	;;#ASMSTART
	v_dot2_f32_f16 v4, v11, v93, v4
	;;#ASMEND
	s_wait_dscnt 0x2
	;;#ASMSTART
	v_dot2_f32_f16 v5, v8, v94, v5
	;;#ASMEND
	;;#ASMSTART
	v_dot2_f32_f16 v5, v9, v95, v5
	;;#ASMEND
	;;#ASMSTART
	v_dot2_f32_f16 v5, v10, v96, v5
	;;#ASMEND
	;;#ASMSTART
	v_dot2_f32_f16 v5, v11, v97, v5
	;;#ASMEND
	s_wait_dscnt 0x1
	;;#ASMSTART
	v_dot2_f32_f16 v6, v8, v98, v6
	;;#ASMEND
	;;#ASMSTART
	v_dot2_f32_f16 v6, v9, v99, v6
	;;#ASMEND
	;;#ASMSTART
	v_dot2_f32_f16 v6, v10, v100, v6
	;;#ASMEND
	;;#ASMSTART
	v_dot2_f32_f16 v6, v11, v101, v6
	;;#ASMEND
	s_wait_dscnt 0x0
	;;#ASMSTART
	v_dot2_f32_f16 v7, v8, v102, v7
	;;#ASMEND
	;;#ASMSTART
	v_dot2_f32_f16 v7, v9, v103, v7
	;;#ASMEND
	;;#ASMSTART
	v_dot2_f32_f16 v7, v10, v104, v7
	;;#ASMEND
	;;#ASMSTART
	v_dot2_f32_f16 v7, v11, v105, v7
	;;#ASMEND
	ds_load_b128 v[8:11], v45 offset:9280
	ds_load_b128 v[30:33], v46 offset:64
	;; [unrolled: 1-line block ×9, first 2 shown]
	s_wait_dscnt 0x7
	;;#ASMSTART
	v_dot2_f32_f16 v0, v8, v30, v0
	;;#ASMEND
	;;#ASMSTART
	v_dot2_f32_f16 v0, v9, v31, v0
	;;#ASMEND
	;;#ASMSTART
	v_dot2_f32_f16 v0, v10, v32, v0
	;;#ASMEND
	;;#ASMSTART
	v_dot2_f32_f16 v0, v11, v33, v0
	;;#ASMEND
	s_wait_dscnt 0x6
	;;#ASMSTART
	v_dot2_f32_f16 v1, v8, v78, v1
	;;#ASMEND
	;;#ASMSTART
	v_dot2_f32_f16 v1, v9, v79, v1
	;;#ASMEND
	;;#ASMSTART
	v_dot2_f32_f16 v1, v10, v80, v1
	;;#ASMEND
	;;#ASMSTART
	v_dot2_f32_f16 v1, v11, v81, v1
	;;#ASMEND
	;; [unrolled: 13-line block ×8, first 2 shown]
	ds_load_b128 v[8:11], v45 offset:9296
	ds_load_b128 v[30:33], v46 offset:80
	ds_load_b128 v[78:81], v46 offset:224
	ds_load_b128 v[82:85], v46 offset:368
	ds_load_b128 v[86:89], v46 offset:512
	ds_load_b128 v[90:93], v46 offset:656
	ds_load_b128 v[94:97], v46 offset:800
	ds_load_b128 v[98:101], v46 offset:944
	ds_load_b128 v[102:105], v46 offset:1088
	s_wait_dscnt 0x7
	;;#ASMSTART
	v_dot2_f32_f16 v0, v8, v30, v0
	;;#ASMEND
	;;#ASMSTART
	v_dot2_f32_f16 v0, v9, v31, v0
	;;#ASMEND
	;;#ASMSTART
	v_dot2_f32_f16 v0, v10, v32, v0
	;;#ASMEND
	;;#ASMSTART
	v_dot2_f32_f16 v0, v11, v33, v0
	;;#ASMEND
	s_wait_dscnt 0x6
	;;#ASMSTART
	v_dot2_f32_f16 v1, v8, v78, v1
	;;#ASMEND
	;;#ASMSTART
	v_dot2_f32_f16 v1, v9, v79, v1
	;;#ASMEND
	;;#ASMSTART
	v_dot2_f32_f16 v1, v10, v80, v1
	;;#ASMEND
	;;#ASMSTART
	v_dot2_f32_f16 v1, v11, v81, v1
	;;#ASMEND
	;; [unrolled: 13-line block ×8, first 2 shown]
	ds_load_b128 v[8:11], v45 offset:9312
	ds_load_b128 v[30:33], v46 offset:96
	ds_load_b128 v[78:81], v46 offset:240
	ds_load_b128 v[82:85], v46 offset:384
	ds_load_b128 v[86:89], v46 offset:528
	ds_load_b128 v[90:93], v46 offset:672
	ds_load_b128 v[94:97], v46 offset:816
	ds_load_b128 v[98:101], v46 offset:960
	ds_load_b128 v[102:105], v46 offset:1104
	s_wait_dscnt 0x7
	;;#ASMSTART
	v_dot2_f32_f16 v0, v8, v30, v0
	;;#ASMEND
	;;#ASMSTART
	v_dot2_f32_f16 v0, v9, v31, v0
	;;#ASMEND
	;;#ASMSTART
	v_dot2_f32_f16 v0, v10, v32, v0
	;;#ASMEND
	;;#ASMSTART
	v_dot2_f32_f16 v0, v11, v33, v0
	;;#ASMEND
	s_wait_dscnt 0x6
	;;#ASMSTART
	v_dot2_f32_f16 v1, v8, v78, v1
	;;#ASMEND
	;;#ASMSTART
	v_dot2_f32_f16 v1, v9, v79, v1
	;;#ASMEND
	;;#ASMSTART
	v_dot2_f32_f16 v1, v10, v80, v1
	;;#ASMEND
	;;#ASMSTART
	v_dot2_f32_f16 v1, v11, v81, v1
	;;#ASMEND
	;; [unrolled: 13-line block ×8, first 2 shown]
	ds_load_b128 v[8:11], v45 offset:9328
	ds_load_b128 v[30:33], v46 offset:112
	;; [unrolled: 1-line block ×9, first 2 shown]
	s_wait_dscnt 0x7
	;;#ASMSTART
	v_dot2_f32_f16 v0, v8, v30, v0
	;;#ASMEND
	;;#ASMSTART
	v_dot2_f32_f16 v0, v9, v31, v0
	;;#ASMEND
	;;#ASMSTART
	v_dot2_f32_f16 v0, v10, v32, v0
	;;#ASMEND
	;;#ASMSTART
	v_dot2_f32_f16 v0, v11, v33, v0
	;;#ASMEND
	s_wait_dscnt 0x6
	;;#ASMSTART
	v_dot2_f32_f16 v1, v8, v78, v1
	;;#ASMEND
	;;#ASMSTART
	v_dot2_f32_f16 v1, v9, v79, v1
	;;#ASMEND
	;;#ASMSTART
	v_dot2_f32_f16 v1, v10, v80, v1
	;;#ASMEND
	;;#ASMSTART
	v_dot2_f32_f16 v1, v11, v81, v1
	;;#ASMEND
	;; [unrolled: 13-line block ×8, first 2 shown]
	ds_load_b128 v[8:11], v45 offset:9344
	ds_load_b128 v[30:33], v46 offset:128
	;; [unrolled: 1-line block ×9, first 2 shown]
	s_wait_dscnt 0x7
	;;#ASMSTART
	v_dot2_f32_f16 v0, v8, v30, v0
	;;#ASMEND
	;;#ASMSTART
	v_dot2_f32_f16 v0, v9, v31, v0
	;;#ASMEND
	;;#ASMSTART
	v_dot2_f32_f16 v0, v10, v32, v0
	;;#ASMEND
	;;#ASMSTART
	v_dot2_f32_f16 v0, v11, v33, v0
	;;#ASMEND
	s_wait_dscnt 0x6
	;;#ASMSTART
	v_dot2_f32_f16 v1, v8, v78, v1
	;;#ASMEND
	;;#ASMSTART
	v_dot2_f32_f16 v1, v9, v79, v1
	;;#ASMEND
	;;#ASMSTART
	v_dot2_f32_f16 v1, v10, v80, v1
	;;#ASMEND
	;;#ASMSTART
	v_dot2_f32_f16 v1, v11, v81, v1
	;;#ASMEND
	;; [unrolled: 13-line block ×8, first 2 shown]
	v_cndmask_b32_e64 v9, v42, v43, s3
	global_load_u16 v8, v106, s[34:35] scale_offset
	v_dual_max_num_f32 v10, v70, v70 :: v_dual_max_num_f32 v11, v71, v71
	v_dual_max_num_f32 v30, v72, v72 :: v_dual_max_num_f32 v31, v73, v73
	;; [unrolled: 1-line block ×4, first 2 shown]
	v_cmp_gt_i32_e64 s3, 32, v41
	s_wait_loadcnt 0x0
	s_barrier_signal -1
	s_barrier_wait -1
	v_cvt_f32_f16_e32 v8, v8
	s_delay_alu instid0(VALU_DEP_1) | instskip(SKIP_3) | instid1(VALU_DEP_3)
	v_dual_add_f32 v80, v0, v8 :: v_dual_lshlrev_b32 v9, 2, v9
	v_dual_add_f32 v81, v1, v8 :: v_dual_add_f32 v82, v2, v8
	v_dual_add_f32 v83, v3, v8 :: v_dual_add_f32 v84, v4, v8
	;; [unrolled: 1-line block ×4, first 2 shown]
	s_delay_alu instid0(VALU_DEP_3) | instskip(NEXT) | instid1(VALU_DEP_3)
	v_dual_add_f32 v0, 0x40051340, v80 :: v_dual_add_f32 v3, 0x40051340, v83
	v_dual_add_f32 v2, 0x40051340, v82 :: v_dual_add_f32 v5, 0x40051340, v85
	s_delay_alu instid0(VALU_DEP_3) | instskip(NEXT) | instid1(VALU_DEP_4)
	v_dual_add_f32 v4, 0x40051340, v84 :: v_dual_max_num_f32 v1, v11, v1
	v_dual_add_f32 v6, 0x40051340, v86 :: v_dual_add_f32 v7, 0x40051340, v8
	s_delay_alu instid0(VALU_DEP_4) | instskip(NEXT) | instid1(VALU_DEP_3)
	v_dual_max_num_f32 v0, v10, v0 :: v_dual_max_num_f32 v3, v31, v3
	v_dual_max_num_f32 v2, v30, v2 :: v_dual_max_num_f32 v4, v32, v4
	s_delay_alu instid0(VALU_DEP_3) | instskip(NEXT) | instid1(VALU_DEP_4)
	v_dual_max_num_f32 v5, v33, v5 :: v_dual_max_num_f32 v6, v78, v6
	v_dual_max_num_f32 v7, v79, v7 :: v_dual_cndmask_b32 v79, v42, v41, s3
	ds_bpermute_b32 v10, v9, v0
	ds_bpermute_b32 v11, v9, v1
	ds_bpermute_b32 v30, v9, v2
	ds_bpermute_b32 v31, v9, v3
	ds_bpermute_b32 v32, v9, v4
	ds_bpermute_b32 v33, v9, v5
	ds_bpermute_b32 v78, v9, v6
	ds_bpermute_b32 v9, v9, v7
	v_lshlrev_b32_e32 v79, 2, v79
	v_cmp_gt_i32_e64 s3, 32, v40
	s_wait_dscnt 0x6
	v_dual_max_num_f32 v10, v10, v10 :: v_dual_max_num_f32 v11, v11, v11
	s_wait_dscnt 0x4
	v_dual_max_num_f32 v30, v30, v30 :: v_dual_max_num_f32 v31, v31, v31
	s_wait_dscnt 0x3
	v_max_num_f32_e32 v32, v32, v32
	s_wait_dscnt 0x2
	v_dual_max_num_f32 v0, v0, v10 :: v_dual_max_num_f32 v33, v33, v33
	s_wait_dscnt 0x0
	v_dual_max_num_f32 v78, v78, v78 :: v_dual_max_num_f32 v9, v9, v9
	v_dual_max_num_f32 v1, v1, v11 :: v_dual_max_num_f32 v2, v2, v30
	s_delay_alu instid0(VALU_DEP_2) | instskip(NEXT) | instid1(VALU_DEP_3)
	v_dual_max_num_f32 v5, v5, v33 :: v_dual_max_num_f32 v6, v6, v78
	v_max_num_f32_e32 v7, v7, v9
	ds_bpermute_b32 v9, v79, v0
	v_dual_max_num_f32 v3, v3, v31 :: v_dual_max_num_f32 v4, v4, v32
	ds_bpermute_b32 v10, v79, v1
	ds_bpermute_b32 v78, v79, v7
	;; [unrolled: 1-line block ×7, first 2 shown]
	v_cndmask_b32_e64 v79, v42, v40, s3
	v_cmp_gt_i32_e64 s3, 32, v39
	s_wait_dscnt 0x7
	s_delay_alu instid0(VALU_DEP_2) | instskip(SKIP_3) | instid1(VALU_DEP_2)
	v_dual_lshlrev_b32 v79, 2, v79 :: v_dual_max_num_f32 v9, v9, v9
	s_wait_dscnt 0x6
	v_max_num_f32_e32 v10, v10, v10
	s_wait_dscnt 0x5
	v_dual_max_num_f32 v78, v78, v78 :: v_dual_max_num_f32 v0, v0, v9
	s_wait_dscnt 0x3
	v_dual_max_num_f32 v11, v11, v11 :: v_dual_max_num_f32 v30, v30, v30
	s_wait_dscnt 0x2
	v_max_num_f32_e32 v31, v31, v31
	v_max_num_f32_e32 v7, v7, v78
	ds_bpermute_b32 v9, v79, v0
	s_wait_dscnt 0x1
	v_dual_max_num_f32 v32, v32, v32 :: v_dual_max_num_f32 v33, v33, v33
	v_dual_max_num_f32 v1, v1, v10 :: v_dual_max_num_f32 v2, v2, v11
	ds_bpermute_b32 v78, v79, v7
	v_dual_max_num_f32 v3, v3, v30 :: v_dual_max_num_f32 v4, v4, v31
	v_dual_max_num_f32 v5, v5, v32 :: v_dual_max_num_f32 v6, v6, v33
	ds_bpermute_b32 v10, v79, v1
	ds_bpermute_b32 v11, v79, v2
	;; [unrolled: 1-line block ×6, first 2 shown]
	v_cndmask_b32_e64 v79, v42, v39, s3
	v_cmp_gt_i32_e64 s3, 32, v38
	s_wait_dscnt 0x7
	s_delay_alu instid0(VALU_DEP_2) | instskip(SKIP_1) | instid1(VALU_DEP_1)
	v_dual_max_num_f32 v9, v9, v9 :: v_dual_lshlrev_b32 v79, 2, v79
	s_wait_dscnt 0x6
	v_dual_max_num_f32 v78, v78, v78 :: v_dual_max_num_f32 v0, v0, v9
	s_delay_alu instid0(VALU_DEP_1)
	v_max_num_f32_e32 v7, v7, v78
	ds_bpermute_b32 v9, v79, v0
	s_wait_dscnt 0x5
	v_dual_max_num_f32 v10, v10, v10 :: v_dual_max_num_f32 v11, v11, v11
	s_wait_dscnt 0x3
	v_dual_max_num_f32 v30, v30, v30 :: v_dual_max_num_f32 v31, v31, v31
	ds_bpermute_b32 v78, v79, v7
	s_wait_dscnt 0x2
	v_dual_max_num_f32 v32, v32, v32 :: v_dual_max_num_f32 v33, v33, v33
	v_dual_max_num_f32 v1, v1, v10 :: v_dual_max_num_f32 v2, v2, v11
	;; [unrolled: 1-line block ×3, first 2 shown]
	s_delay_alu instid0(VALU_DEP_3)
	v_dual_max_num_f32 v5, v5, v32 :: v_dual_max_num_f32 v6, v6, v33
	ds_bpermute_b32 v10, v79, v1
	ds_bpermute_b32 v11, v79, v2
	ds_bpermute_b32 v30, v79, v3
	ds_bpermute_b32 v31, v79, v4
	ds_bpermute_b32 v32, v79, v5
	ds_bpermute_b32 v33, v79, v6
	s_wait_dscnt 0x7
	v_dual_cndmask_b32 v79, v42, v38, s3 :: v_dual_max_num_f32 v9, v9, v9
	s_wait_dscnt 0x6
	s_delay_alu instid0(VALU_DEP_1) | instskip(NEXT) | instid1(VALU_DEP_2)
	v_dual_max_num_f32 v78, v78, v78 :: v_dual_lshlrev_b32 v79, 2, v79
	v_max_num_f32_e32 v0, v0, v9
	ds_bpermute_b32 v9, v79, v0
	v_max_num_f32_e32 v7, v7, v78
	s_wait_dscnt 0x5
	v_dual_max_num_f32 v10, v10, v10 :: v_dual_max_num_f32 v11, v11, v11
	s_wait_dscnt 0x3
	v_dual_max_num_f32 v30, v30, v30 :: v_dual_max_num_f32 v31, v31, v31
	;; [unrolled: 2-line block ×3, first 2 shown]
	v_dual_max_num_f32 v1, v1, v10 :: v_dual_max_num_f32 v2, v2, v11
	s_delay_alu instid0(VALU_DEP_3) | instskip(NEXT) | instid1(VALU_DEP_3)
	v_dual_max_num_f32 v3, v3, v30 :: v_dual_max_num_f32 v4, v4, v31
	v_dual_max_num_f32 v5, v5, v32 :: v_dual_max_num_f32 v6, v6, v33
	ds_bpermute_b32 v10, v79, v1
	ds_bpermute_b32 v11, v79, v2
	;; [unrolled: 1-line block ×6, first 2 shown]
	s_wait_dscnt 0x6
	v_max_num_f32_e32 v9, v9, v9
	ds_bpermute_b32 v78, v79, v7
	v_max_num_f32_e32 v0, v0, v9
	s_wait_dscnt 0x6
	s_delay_alu instid0(VALU_DEP_1)
	v_dual_sub_f32 v9, v80, v0 :: v_dual_max_num_f32 v10, v10, v10
	s_wait_dscnt 0x4
	v_dual_max_num_f32 v11, v11, v11 :: v_dual_max_num_f32 v30, v30, v30
	s_wait_dscnt 0x2
	v_dual_max_num_f32 v31, v31, v31 :: v_dual_max_num_f32 v32, v32, v32
	s_wait_dscnt 0x1
	v_max_num_f32_e32 v33, v33, v33
	v_dual_max_num_f32 v1, v1, v10 :: v_dual_max_num_f32 v2, v2, v11
	s_wait_dscnt 0x0
	v_max_num_f32_e32 v78, v78, v78
	v_dual_max_num_f32 v3, v3, v30 :: v_dual_max_num_f32 v4, v4, v31
	v_dual_max_num_f32 v5, v5, v32 :: v_dual_max_num_f32 v6, v6, v33
	s_delay_alu instid0(VALU_DEP_3) | instskip(NEXT) | instid1(VALU_DEP_3)
	v_dual_max_num_f32 v7, v7, v78 :: v_dual_sub_f32 v78, v81, v1
	v_dual_sub_f32 v10, v82, v2 :: v_dual_sub_f32 v11, v83, v3
	s_delay_alu instid0(VALU_DEP_3) | instskip(NEXT) | instid1(VALU_DEP_3)
	v_dual_sub_f32 v30, v84, v4 :: v_dual_sub_f32 v31, v85, v5
	v_dual_sub_f32 v32, v86, v6 :: v_dual_sub_f32 v33, v8, v7
	s_delay_alu instid0(VALU_DEP_4) | instskip(NEXT) | instid1(VALU_DEP_3)
	v_dual_mul_f32 v8, 0x3fb8aa3b, v9 :: v_dual_mul_f32 v79, 0x3fb8aa3b, v78
	v_dual_mul_f32 v82, 0x3fb8aa3b, v30 :: v_dual_mul_f32 v83, 0x3fb8aa3b, v31
	s_delay_alu instid0(VALU_DEP_3) | instskip(NEXT) | instid1(VALU_DEP_3)
	v_mul_f32_e32 v84, 0x3fb8aa3b, v32
	v_fma_f32 v86, 0x3fb8aa3b, v9, -v8
	v_rndne_f32_e32 v87, v8
	v_fma_f32 v88, 0x3fb8aa3b, v78, -v79
	v_rndne_f32_e32 v89, v79
	v_mul_f32_e32 v85, 0x3fb8aa3b, v33
	v_rndne_f32_e32 v95, v82
	v_sub_f32_e32 v8, v8, v87
	s_delay_alu instid0(VALU_DEP_4) | instskip(SKIP_3) | instid1(VALU_DEP_4)
	v_dual_fmac_f32 v88, 0x32a5705f, v78 :: v_dual_sub_f32 v79, v79, v89
	v_fmac_f32_e32 v86, 0x32a5705f, v9
	v_dual_mul_f32 v80, 0x3fb8aa3b, v10 :: v_dual_mul_f32 v81, 0x3fb8aa3b, v11
	v_fma_f32 v94, 0x3fb8aa3b, v30, -v82
	v_dual_add_f32 v79, v79, v88 :: v_dual_sub_f32 v82, v82, v95
	s_delay_alu instid0(VALU_DEP_4) | instskip(NEXT) | instid1(VALU_DEP_4)
	v_add_f32_e32 v8, v8, v86
	v_fma_f32 v90, 0x3fb8aa3b, v10, -v80
	v_rndne_f32_e32 v91, v80
	v_fma_f32 v92, 0x3fb8aa3b, v11, -v81
	v_rndne_f32_e32 v93, v81
	v_exp_f32_e32 v8, v8
	v_rndne_f32_e32 v97, v83
	v_cvt_i32_f32_e32 v87, v87
	s_delay_alu instid0(VALU_DEP_3)
	v_dual_fmac_f32 v90, 0x32a5705f, v10 :: v_dual_sub_f32 v81, v81, v93
	v_sub_f32_e32 v80, v80, v91
	v_fma_f32 v96, 0x3fb8aa3b, v31, -v83
	v_rndne_f32_e32 v101, v85
	v_dual_fmac_f32 v92, 0x32a5705f, v11 :: v_dual_sub_f32 v83, v83, v97
	v_exp_f32_e32 v79, v79
	v_ldexp_f32 v8, v8, v87
	v_cmp_ngt_f32_e64 s3, 0xc2ce8ed0, v9
	v_add_f32_e32 v80, v80, v90
	v_fma_f32 v98, 0x3fb8aa3b, v32, -v84
	v_rndne_f32_e32 v99, v84
	v_cvt_i32_f32_e32 v89, v89
	v_fma_f32 v100, 0x3fb8aa3b, v33, -v85
	v_dual_sub_f32 v85, v85, v101 :: v_dual_fmac_f32 v94, 0x32a5705f, v30
	v_add_f32_e32 v81, v81, v92
	v_cndmask_b32_e64 v8, 0, v8, s3
	v_exp_f32_e32 v80, v80
	v_cvt_i32_f32_e32 v91, v91
	v_fmac_f32_e32 v98, 0x32a5705f, v32
	v_dual_sub_f32 v84, v84, v99 :: v_dual_add_f32 v82, v82, v94
	v_ldexp_f32 v79, v79, v89
	v_cmp_ngt_f32_e64 s3, 0xc2ce8ed0, v78
	v_fmac_f32_e32 v100, 0x32a5705f, v33
	v_fmac_f32_e32 v96, 0x32a5705f, v31
	v_exp_f32_e32 v81, v81
	v_cvt_i32_f32_e32 v93, v93
	v_dual_add_f32 v84, v84, v98 :: v_dual_cndmask_b32 v79, 0, v79, s3
	v_ldexp_f32 v80, v80, v91
	v_cmp_ngt_f32_e64 s3, 0xc2ce8ed0, v10
	v_add_f32_e32 v85, v85, v100
	v_add_f32_e32 v83, v83, v96
	v_exp_f32_e32 v82, v82
	v_cvt_i32_f32_e32 v95, v95
	v_ldexp_f32 v81, v81, v93
	v_cndmask_b32_e64 v80, 0, v80, s3
	v_cmp_ngt_f32_e64 s3, 0xc2ce8ed0, v11
	v_exp_f32_e32 v83, v83
	v_cvt_i32_f32_e32 v97, v97
	v_ldexp_f32 v82, v82, v95
	v_exp_f32_e32 v84, v84
	v_cndmask_b32_e64 v81, 0, v81, s3
	v_cmp_ngt_f32_e64 s3, 0xc2ce8ed0, v30
	v_cvt_i32_f32_e32 v99, v99
	v_ldexp_f32 v83, v83, v97
	v_exp_f32_e32 v85, v85
	v_cvt_i32_f32_e32 v101, v101
	v_cndmask_b32_e64 v82, 0, v82, s3
	v_cmp_ngt_f32_e64 s3, 0xc2ce8ed0, v31
	v_ldexp_f32 v84, v84, v99
	s_delay_alu instid0(TRANS32_DEP_1) | instid1(VALU_DEP_4)
	v_ldexp_f32 v85, v85, v101
	s_delay_alu instid0(VALU_DEP_3) | instskip(SKIP_1) | instid1(VALU_DEP_1)
	v_cndmask_b32_e64 v83, 0, v83, s3
	v_cmp_ngt_f32_e64 s3, 0xc2ce8ed0, v32
	v_cndmask_b32_e64 v84, 0, v84, s3
	v_cmp_ngt_f32_e64 s3, 0xc2ce8ed0, v33
	s_delay_alu instid0(VALU_DEP_1) | instskip(SKIP_1) | instid1(VALU_DEP_1)
	v_cndmask_b32_e64 v85, 0, v85, s3
	v_cmp_nlt_f32_e64 s3, 0x42b17218, v9
	v_cndmask_b32_e64 v8, 0x7f800000, v8, s3
	v_cmp_nlt_f32_e64 s3, 0x42b17218, v10
	s_delay_alu instid0(VALU_DEP_1) | instskip(SKIP_1) | instid1(VALU_DEP_1)
	v_cndmask_b32_e64 v10, 0x7f800000, v80, s3
	v_cmp_nlt_f32_e64 s3, 0x42b17218, v11
	v_cndmask_b32_e64 v11, 0x7f800000, v81, s3
	v_cmp_nlt_f32_e64 s3, 0x42b17218, v30
	;; [unrolled: 5-line block ×3, first 2 shown]
	s_delay_alu instid0(VALU_DEP_1) | instskip(SKIP_1) | instid1(VALU_DEP_2)
	v_cndmask_b32_e64 v33, 0x7f800000, v85, s3
	v_cmp_nlt_f32_e64 s3, 0x42b17218, v31
	v_cvt_pk_f16_f32 v81, v32, v33
	s_delay_alu instid0(VALU_DEP_2) | instskip(SKIP_1) | instid1(VALU_DEP_2)
	v_cndmask_b32_e64 v31, 0x7f800000, v83, s3
	v_cmp_nlt_f32_e64 s3, 0x42b17218, v78
	v_cvt_pk_f16_f32 v80, v30, v31
	s_delay_alu instid0(VALU_DEP_2) | instskip(SKIP_1) | instid1(VALU_DEP_2)
	v_cndmask_b32_e64 v9, 0x7f800000, v79, s3
	v_cvt_pk_f16_f32 v79, v10, v11
	v_cvt_pk_f16_f32 v78, v8, v9
	ds_store_b128 v53, v[78:81]
	s_wait_xcnt 0x0
	s_and_saveexec_b32 s3, vcc_lo
	s_cbranch_execz .LBB0_15
; %bb.14:                               ;   in Loop: Header=BB0_11 Depth=1
	v_lshl_add_u64 v[78:79], v[26:27], 2, s[26:27]
	global_load_b128 v[78:81], v[78:79], off offset:128
	s_wait_loadcnt 0x0
	ds_store_b128 v50, v[78:81]
.LBB0_15:                               ;   in Loop: Header=BB0_11 Depth=1
	s_or_b32 exec_lo, exec_lo, s3
	v_lshl_add_u64 v[78:79], v[28:29], 2, s[26:27]
	v_dual_sub_f32 v70, v70, v0 :: v_dual_sub_f32 v71, v71, v1
	v_dual_sub_f32 v72, v72, v2 :: v_dual_sub_f32 v73, v73, v3
	s_delay_alu instid0(VALU_DEP_3) | instskip(NEXT) | instid1(VALU_DEP_3)
	v_add_nc_u64_e32 v[78:79], v[78:79], v[24:25]
	v_dual_mul_f32 v82, 0x3fb8aa3b, v70 :: v_dual_mul_f32 v83, 0x3fb8aa3b, v71
	v_dual_sub_f32 v74, v74, v4 :: v_dual_sub_f32 v75, v75, v5
	v_dual_sub_f32 v76, v76, v6 :: v_dual_sub_f32 v77, v77, v7
	global_load_b128 v[78:81], v[78:79], off
	v_dual_mul_f32 v84, 0x3fb8aa3b, v72 :: v_dual_mul_f32 v85, 0x3fb8aa3b, v73
	v_fma_f32 v90, 0x3fb8aa3b, v70, -v82
	v_rndne_f32_e32 v91, v82
	v_dual_mul_f32 v86, 0x3fb8aa3b, v74 :: v_dual_mul_f32 v87, 0x3fb8aa3b, v75
	v_dual_mul_f32 v88, 0x3fb8aa3b, v76 :: v_dual_mul_f32 v89, 0x3fb8aa3b, v77
	v_fma_f32 v92, 0x3fb8aa3b, v71, -v83
	v_rndne_f32_e32 v93, v83
	v_fma_f32 v94, 0x3fb8aa3b, v72, -v84
	v_rndne_f32_e32 v95, v84
	v_rndne_f32_e32 v97, v85
	s_delay_alu instid0(VALU_DEP_4)
	v_dual_fmac_f32 v90, 0x32a5705f, v70 :: v_dual_sub_f32 v83, v83, v93
	v_sub_f32_e32 v82, v82, v91
	v_fma_f32 v96, 0x3fb8aa3b, v73, -v85
	v_rndne_f32_e32 v99, v86
	v_rndne_f32_e32 v101, v87
	;; [unrolled: 1-line block ×3, first 2 shown]
	v_fmac_f32_e32 v92, 0x32a5705f, v71
	v_dual_fmac_f32 v94, 0x32a5705f, v72 :: v_dual_sub_f32 v85, v85, v97
	v_dual_sub_f32 v84, v84, v95 :: v_dual_add_f32 v82, v82, v90
	v_fma_f32 v98, 0x3fb8aa3b, v74, -v86
	v_fma_f32 v100, 0x3fb8aa3b, v75, -v87
	v_fma_f32 v104, 0x3fb8aa3b, v77, -v89
	v_sub_f32_e32 v87, v87, v101
	v_dual_fmac_f32 v96, 0x32a5705f, v73 :: v_dual_add_f32 v83, v83, v92
	v_dual_sub_f32 v89, v89, v105 :: v_dual_sub_f32 v86, v86, v99
	v_add_f32_e32 v84, v84, v94
	v_exp_f32_e32 v82, v82
	v_cvt_i32_f32_e32 v91, v91
	v_exp_f32_e32 v83, v83
	v_fma_f32 v102, 0x3fb8aa3b, v76, -v88
	v_exp_f32_e32 v84, v84
	v_rndne_f32_e32 v103, v88
	v_cvt_i32_f32_e32 v93, v93
	v_cvt_i32_f32_e32 v95, v95
	v_ldexp_f32 v82, v82, v91
	v_cmp_ngt_f32_e64 s3, 0xc2ce8ed0, v70
	v_dual_fmac_f32 v98, 0x32a5705f, v74 :: v_dual_add_f32 v85, v85, v96
	v_fmac_f32_e32 v102, 0x32a5705f, v76
	v_sub_f32_e32 v88, v88, v103
	v_ldexp_f32 v83, v83, v93
	v_ldexp_f32 v84, v84, v95
	v_cndmask_b32_e64 v82, 0, v82, s3
	v_cmp_ngt_f32_e64 s3, 0xc2ce8ed0, v71
	v_fmac_f32_e32 v104, 0x32a5705f, v77
	v_fmac_f32_e32 v100, 0x32a5705f, v75
	v_add_f32_e32 v86, v86, v98
	v_exp_f32_e32 v85, v85
	v_cvt_i32_f32_e32 v97, v97
	v_dual_add_f32 v88, v88, v102 :: v_dual_cndmask_b32 v83, 0, v83, s3
	v_cmp_ngt_f32_e64 s3, 0xc2ce8ed0, v72
	v_add_f32_e32 v89, v89, v104
	v_add_f32_e32 v87, v87, v100
	v_exp_f32_e32 v86, v86
	v_cvt_i32_f32_e32 v99, v99
	v_ldexp_f32 v85, v85, v97
	v_cndmask_b32_e64 v84, 0, v84, s3
	v_cmp_ngt_f32_e64 s3, 0xc2ce8ed0, v73
	v_exp_f32_e32 v87, v87
	v_cvt_i32_f32_e32 v101, v101
	v_ldexp_f32 v86, v86, v99
	v_exp_f32_e32 v88, v88
	v_cndmask_b32_e64 v85, 0, v85, s3
	v_cmp_ngt_f32_e64 s3, 0xc2ce8ed0, v74
	v_cvt_i32_f32_e32 v103, v103
	v_ldexp_f32 v87, v87, v101
	v_exp_f32_e32 v89, v89
	v_cvt_i32_f32_e32 v105, v105
	v_cndmask_b32_e64 v86, 0, v86, s3
	v_cmp_ngt_f32_e64 s3, 0xc2ce8ed0, v75
	v_ldexp_f32 v88, v88, v103
	s_delay_alu instid0(TRANS32_DEP_1) | instid1(VALU_DEP_4)
	v_ldexp_f32 v89, v89, v105
	s_delay_alu instid0(VALU_DEP_3) | instskip(SKIP_1) | instid1(VALU_DEP_1)
	v_cndmask_b32_e64 v87, 0, v87, s3
	v_cmp_ngt_f32_e64 s3, 0xc2ce8ed0, v76
	v_cndmask_b32_e64 v88, 0, v88, s3
	v_cmp_ngt_f32_e64 s3, 0xc2ce8ed0, v77
	s_delay_alu instid0(VALU_DEP_1) | instskip(SKIP_1) | instid1(VALU_DEP_1)
	v_cndmask_b32_e64 v89, 0, v89, s3
	v_cmp_nlt_f32_e64 s3, 0x42b17218, v70
	v_cndmask_b32_e64 v70, 0x7f800000, v82, s3
	v_cmp_nlt_f32_e64 s3, 0x42b17218, v71
	s_delay_alu instid0(VALU_DEP_2) | instskip(NEXT) | instid1(VALU_DEP_2)
	v_cvt_f16_f32_e32 v82, v70
	v_cndmask_b32_e64 v71, 0x7f800000, v83, s3
	v_cmp_nlt_f32_e64 s3, 0x42b17218, v72
	s_delay_alu instid0(VALU_DEP_2) | instskip(NEXT) | instid1(VALU_DEP_2)
	v_cvt_f16_f32_e32 v83, v71
	v_cndmask_b32_e64 v72, 0x7f800000, v84, s3
	v_cmp_nlt_f32_e64 s3, 0x42b17218, v73
	v_pk_fma_f32 v[18:19], v[18:19], v[70:71], v[8:9]
	v_and_b32_e32 v9, 0xffff, v82
	s_delay_alu instid0(VALU_DEP_4) | instskip(NEXT) | instid1(VALU_DEP_4)
	v_cvt_f16_f32_e32 v84, v72
	v_cndmask_b32_e64 v73, 0x7f800000, v85, s3
	v_cmp_nlt_f32_e64 s3, 0x42b17218, v74
	s_delay_alu instid0(VALU_DEP_4) | instskip(NEXT) | instid1(VALU_DEP_3)
	v_mul_u32_u24_e32 v9, 0x10001, v9
	v_cvt_f16_f32_e32 v85, v73
	s_delay_alu instid0(VALU_DEP_3)
	v_cndmask_b32_e64 v74, 0x7f800000, v86, s3
	v_cmp_nlt_f32_e64 s3, 0x42b17218, v75
	v_pk_fma_f32 v[16:17], v[16:17], v[72:73], v[10:11]
	v_and_b32_e32 v10, 0xffff, v83
	v_and_b32_e32 v11, 0xffff, v84
	v_cvt_f16_f32_e32 v86, v74
	v_cndmask_b32_e64 v75, 0x7f800000, v87, s3
	v_cmp_nlt_f32_e64 s3, 0x42b17218, v76
	v_mul_u32_u24_e32 v10, 0x10001, v10
	v_mul_u32_u24_e32 v11, 0x10001, v11
	v_pk_mul_f16 v96, v68, v9
	v_cvt_f16_f32_e32 v87, v75
	v_cndmask_b32_e64 v76, 0x7f800000, v88, s3
	v_cmp_nlt_f32_e64 s3, 0x42b17218, v77
	v_pk_fma_f32 v[14:15], v[14:15], v[74:75], v[30:31]
	v_and_b32_e32 v30, 0xffff, v85
	v_and_b32_e32 v31, 0xffff, v86
	v_cvt_f16_f32_e32 v88, v76
	v_cndmask_b32_e64 v77, 0x7f800000, v89, s3
	v_pk_mul_f16 v97, v69, v9
	v_mul_u32_u24_e32 v30, 0x10001, v30
	v_mul_u32_u24_e32 v70, 0x10001, v31
	v_pk_mul_f16 v98, v66, v10
	v_pk_fma_f32 v[12:13], v[12:13], v[76:77], v[32:33]
	v_and_b32_e32 v32, 0xffff, v87
	v_and_b32_e32 v33, 0xffff, v88
	v_pk_mul_f16 v102, v63, v30
	v_pk_mul_f16 v103, v62, v30
	v_cvt_f16_f32_e32 v8, v77
	v_mul_u32_u24_e32 v71, 0x10001, v32
	v_mul_u32_u24_e32 v72, 0x10001, v33
	v_pk_mul_f16 v99, v67, v10
	v_pk_mul_f16 v100, v65, v11
	v_and_b32_e32 v8, 0xffff, v8
	v_pk_mul_f16 v106, v58, v71
	v_pk_mul_f16 v107, v59, v71
	;; [unrolled: 1-line block ×4, first 2 shown]
	v_mul_u32_u24_e32 v8, 0x10001, v8
	v_pk_mul_f16 v101, v64, v11
	v_pk_mul_f16 v104, v60, v70
	;; [unrolled: 1-line block ×3, first 2 shown]
	s_delay_alu instid0(VALU_DEP_4)
	v_pk_mul_f16 v54, v54, v8
	v_pk_mul_f16 v55, v55, v8
	s_wait_loadcnt 0x0
	ds_store_b128 v52, v[78:81]
	s_wait_dscnt 0x0
	s_barrier_signal -1
	s_barrier_wait -1
	ds_load_b128 v[30:33], v49
	ds_load_b128 v[56:59], v49 offset:16
	ds_load_2addr_b64 v[8:11], v51 offset1:18
	ds_load_b128 v[60:63], v49 offset:32
	ds_load_b128 v[64:67], v49 offset:48
	;; [unrolled: 1-line block ×6, first 2 shown]
	ds_load_2addr_b64 v[84:87], v51 offset0:36 offset1:54
	ds_load_2addr_b64 v[88:91], v51 offset0:72 offset1:90
	;; [unrolled: 1-line block ×3, first 2 shown]
	s_wait_dscnt 0x8
	v_dual_lshrrev_b32 v120, 16, v62 :: v_dual_lshrrev_b32 v121, 16, v63
	v_dual_lshrrev_b32 v118, 16, v60 :: v_dual_lshrrev_b32 v119, 16, v61
	v_and_b32_e32 v60, 0xffff, v60
	s_wait_dscnt 0x7
	v_dual_lshrrev_b32 v124, 16, v66 :: v_dual_lshrrev_b32 v125, 16, v67
	v_dual_lshrrev_b32 v110, 16, v30 :: v_dual_lshrrev_b32 v111, 16, v31
	;; [unrolled: 1-line block ×3, first 2 shown]
	v_and_b32_e32 v30, 0xffff, v30
	v_and_b32_e32 v31, 0xffff, v31
	v_and_b32_e32 v32, 0xffff, v32
	v_and_b32_e32 v33, 0xffff, v33
	v_dual_lshrrev_b32 v116, 16, v58 :: v_dual_lshrrev_b32 v117, 16, v59
	v_mul_u32_u24_e32 v30, 0x10001, v30
	v_mul_u32_u24_e32 v110, 0x10001, v110
	;; [unrolled: 1-line block ×8, first 2 shown]
	v_dual_lshrrev_b32 v114, 16, v56 :: v_dual_lshrrev_b32 v115, 16, v57
	v_and_b32_e32 v56, 0xffff, v56
	v_and_b32_e32 v57, 0xffff, v57
	;; [unrolled: 1-line block ×4, first 2 shown]
	v_mul_u32_u24_e32 v117, 0x10001, v117
	v_pk_fma_f16 v96, v8, v30, v96
	v_pk_fma_f16 v98, v8, v110, v98
	;; [unrolled: 1-line block ×16, first 2 shown]
	v_mul_u32_u24_e32 v56, 0x10001, v56
	v_mul_u32_u24_e32 v114, 0x10001, v114
	;; [unrolled: 1-line block ×8, first 2 shown]
	v_pk_fma_f16 v8, v10, v117, v8
	v_pk_fma_f16 v9, v11, v117, v9
	v_and_b32_e32 v63, 0xffff, v63
	v_dual_lshrrev_b32 v122, 16, v64 :: v_dual_lshrrev_b32 v123, 16, v65
	v_and_b32_e32 v64, 0xffff, v64
	s_wait_dscnt 0x6
	v_dual_lshrrev_b32 v128, 16, v70 :: v_dual_lshrrev_b32 v129, 16, v71
	v_mul_u32_u24_e32 v60, 0x10001, v60
	v_mul_u32_u24_e32 v125, 0x10001, v125
	v_pk_fma_f16 v54, v10, v56, v96
	v_pk_fma_f16 v55, v10, v114, v98
	;; [unrolled: 1-line block ×8, first 2 shown]
	s_wait_dscnt 0x2
	v_pk_fma_f16 v8, v84, v121, v8
	v_pk_fma_f16 v9, v85, v121, v9
	v_and_b32_e32 v61, 0xffff, v61
	v_and_b32_e32 v62, 0xffff, v62
	;; [unrolled: 1-line block ×3, first 2 shown]
	v_dual_lshrrev_b32 v126, 16, v68 :: v_dual_lshrrev_b32 v127, 16, v69
	v_and_b32_e32 v68, 0xffff, v68
	v_dual_lshrrev_b32 v132, 16, v74 :: v_dual_lshrrev_b32 v133, 16, v75
	v_mul_u32_u24_e32 v63, 0x10001, v63
	v_mul_u32_u24_e32 v64, 0x10001, v64
	;; [unrolled: 1-line block ×3, first 2 shown]
	v_pk_fma_f16 v30, v11, v114, v97
	v_pk_fma_f16 v31, v11, v57, v31
	;; [unrolled: 1-line block ×10, first 2 shown]
	v_and_b32_e32 v65, 0xffff, v65
	v_and_b32_e32 v66, 0xffff, v66
	;; [unrolled: 1-line block ×3, first 2 shown]
	v_dual_lshrrev_b32 v130, 16, v72 :: v_dual_lshrrev_b32 v131, 16, v73
	v_and_b32_e32 v72, 0xffff, v72
	v_dual_lshrrev_b32 v136, 16, v78 :: v_dual_lshrrev_b32 v137, 16, v79
	v_mul_u32_u24_e32 v118, 0x10001, v118
	v_mul_u32_u24_e32 v61, 0x10001, v61
	;; [unrolled: 1-line block ×8, first 2 shown]
	v_pk_fma_f16 v33, v85, v63, v33
	v_pk_fma_f16 v11, v86, v64, v11
	;; [unrolled: 1-line block ×3, first 2 shown]
	s_wait_dscnt 0x1
	v_pk_fma_f16 v8, v88, v129, v8
	v_pk_fma_f16 v9, v89, v129, v9
	v_and_b32_e32 v69, 0xffff, v69
	v_and_b32_e32 v70, 0xffff, v70
	;; [unrolled: 1-line block ×3, first 2 shown]
	v_dual_lshrrev_b32 v134, 16, v76 :: v_dual_lshrrev_b32 v135, 16, v77
	v_and_b32_e32 v76, 0xffff, v76
	v_mul_u32_u24_e32 v122, 0x10001, v122
	v_mul_u32_u24_e32 v65, 0x10001, v65
	;; [unrolled: 1-line block ×8, first 2 shown]
	v_pk_fma_f16 v54, v84, v118, v55
	v_pk_fma_f16 v55, v84, v61, v96
	;; [unrolled: 1-line block ×14, first 2 shown]
	v_and_b32_e32 v73, 0xffff, v73
	v_and_b32_e32 v74, 0xffff, v74
	;; [unrolled: 1-line block ×3, first 2 shown]
	v_mul_u32_u24_e32 v126, 0x10001, v126
	v_mul_u32_u24_e32 v69, 0x10001, v69
	;; [unrolled: 1-line block ×7, first 2 shown]
	v_pk_fma_f16 v97, v84, v63, v101
	v_pk_fma_f16 v54, v86, v122, v54
	v_pk_fma_f16 v55, v86, v65, v55
	v_pk_fma_f16 v58, v86, v123, v58
	v_pk_fma_f16 v59, v86, v66, v59
	v_pk_fma_f16 v30, v87, v122, v30
	v_pk_fma_f16 v31, v87, v65, v31
	v_pk_fma_f16 v56, v87, v123, v56
	v_pk_fma_f16 v32, v87, v66, v32
	v_pk_fma_f16 v57, v87, v124, v57
	v_pk_fma_f16 v33, v89, v71, v33
	v_pk_fma_f16 v11, v90, v72, v11
	v_pk_fma_f16 v10, v91, v72, v10
	s_wait_dscnt 0x0
	v_pk_fma_f16 v63, v92, v137, v8
	v_pk_fma_f16 v66, v93, v137, v9
	v_lshrrev_b32_e32 v8, 16, v80
	v_and_b32_e32 v9, 0xffff, v80
	v_and_b32_e32 v77, 0xffff, v77
	;; [unrolled: 1-line block ×3, first 2 shown]
	v_mul_u32_u24_e32 v130, 0x10001, v130
	v_mul_u32_u24_e32 v73, 0x10001, v73
	;; [unrolled: 1-line block ×6, first 2 shown]
	v_pk_fma_f16 v96, v84, v120, v100
	v_pk_fma_f16 v61, v86, v67, v97
	;; [unrolled: 1-line block ×14, first 2 shown]
	v_dual_lshrrev_b32 v10, 16, v81 :: v_dual_lshrrev_b32 v11, 16, v82
	v_mul_u32_u24_e32 v68, 0x10001, v9
	v_and_b32_e32 v9, 0xffff, v82
	v_mul_u32_u24_e32 v69, 0x10001, v8
	v_and_b32_e32 v8, 0xffff, v83
	v_mul_u32_u24_e32 v134, 0x10001, v134
	v_mul_u32_u24_e32 v77, 0x10001, v77
	;; [unrolled: 1-line block ×5, first 2 shown]
	v_pk_fma_f16 v60, v86, v124, v96
	v_pk_fma_f16 v61, v88, v71, v61
	;; [unrolled: 1-line block ×12, first 2 shown]
	v_lshrrev_b32_e32 v33, 16, v83
	v_and_b32_e32 v67, 0xffff, v81
	v_mul_u32_u24_e32 v70, 0x10001, v10
	v_mul_u32_u24_e32 v71, 0x10001, v9
	v_mul_u32_u24_e32 v72, 0x10001, v11
	v_mul_u32_u24_e32 v73, 0x10001, v8
	ds_load_b128 v[8:11], v49 offset:128
	v_pk_fma_f16 v60, v88, v128, v60
	v_pk_fma_f16 v54, v92, v134, v54
	;; [unrolled: 1-line block ×10, first 2 shown]
	v_mul_u32_u24_e32 v67, 0x10001, v67
	v_pk_fma_f16 v60, v90, v132, v60
	v_pk_fma_f16 v61, v90, v75, v61
	v_mul_u32_u24_e32 v74, 0x10001, v33
	v_pk_fma_f16 v62, v94, v68, v62
	v_pk_fma_f16 v75, v94, v69, v54
	;; [unrolled: 1-line block ×11, first 2 shown]
	ds_load_2addr_b64 v[30:33], v51 offset0:144 offset1:162
	ds_load_b128 v[54:57], v49 offset:144
	v_pk_fma_f16 v60, v92, v136, v60
	v_pk_fma_f16 v61, v92, v79, v61
	;; [unrolled: 1-line block ×7, first 2 shown]
	s_wait_dscnt 0x2
	v_dual_lshrrev_b32 v72, 16, v8 :: v_dual_lshrrev_b32 v73, 16, v9
	v_and_b32_e32 v8, 0xffff, v8
	v_dual_lshrrev_b32 v74, 16, v10 :: v_dual_lshrrev_b32 v77, 16, v11
	v_and_b32_e32 v9, 0xffff, v9
	v_and_b32_e32 v10, 0xffff, v10
	;; [unrolled: 1-line block ×3, first 2 shown]
	v_mul_u32_u24_e32 v8, 0x10001, v8
	v_mul_u32_u24_e32 v72, 0x10001, v72
	v_mul_u32_u24_e32 v9, 0x10001, v9
	v_mul_u32_u24_e32 v73, 0x10001, v73
	v_mul_u32_u24_e32 v10, 0x10001, v10
	v_mul_u32_u24_e32 v74, 0x10001, v74
	v_mul_u32_u24_e32 v11, 0x10001, v11
	v_mul_u32_u24_e32 v77, 0x10001, v77
	s_wait_dscnt 0x1
	v_pk_fma_f16 v62, v30, v8, v62
	v_pk_fma_f16 v75, v30, v72, v75
	;; [unrolled: 1-line block ×10, first 2 shown]
	s_wait_dscnt 0x0
	v_lshrrev_b32_e32 v8, 16, v54
	v_and_b32_e32 v9, 0xffff, v54
	v_pk_fma_f16 v64, v31, v72, v68
	v_pk_fma_f16 v68, v31, v73, v69
	;; [unrolled: 1-line block ×6, first 2 shown]
	v_dual_lshrrev_b32 v10, 16, v55 :: v_dual_lshrrev_b32 v11, 16, v56
	v_lshrrev_b32_e32 v54, 16, v57
	v_mul_u32_u24_e32 v66, 0x10001, v9
	v_and_b32_e32 v9, 0xffff, v56
	v_mul_u32_u24_e32 v56, 0x10001, v8
	v_and_b32_e32 v8, 0xffff, v57
	v_and_b32_e32 v55, 0xffff, v55
	v_mul_u32_u24_e32 v57, 0x10001, v10
	v_mul_u32_u24_e32 v71, 0x10001, v9
	;; [unrolled: 1-line block ×4, first 2 shown]
	ds_load_b128 v[8:11], v49 offset:160
	v_mul_u32_u24_e32 v55, 0x10001, v55
	v_mul_u32_u24_e32 v74, 0x10001, v54
	v_pk_fma_f16 v62, v32, v66, v62
	v_pk_fma_f16 v75, v32, v56, v75
	;; [unrolled: 1-line block ×14, first 2 shown]
	ds_load_2addr_b64 v[54:57], v51 offset0:180 offset1:198
	v_pk_fma_f16 v65, v33, v73, v65
	v_pk_fma_f16 v70, v33, v74, v31
	ds_load_b128 v[30:33], v49 offset:176
	s_wait_dscnt 0x2
	v_dual_lshrrev_b32 v71, 16, v8 :: v_dual_lshrrev_b32 v72, 16, v9
	v_and_b32_e32 v8, 0xffff, v8
	v_and_b32_e32 v9, 0xffff, v9
	v_dual_lshrrev_b32 v73, 16, v10 :: v_dual_lshrrev_b32 v74, 16, v11
	v_and_b32_e32 v10, 0xffff, v10
	s_delay_alu instid0(VALU_DEP_4)
	v_mul_u32_u24_e32 v8, 0x10001, v8
	v_and_b32_e32 v11, 0xffff, v11
	v_mul_u32_u24_e32 v9, 0x10001, v9
	v_mul_u32_u24_e32 v71, 0x10001, v71
	;; [unrolled: 1-line block ×7, first 2 shown]
	s_wait_dscnt 0x1
	v_pk_fma_f16 v62, v54, v8, v62
	v_pk_fma_f16 v76, v54, v9, v76
	;; [unrolled: 1-line block ×4, first 2 shown]
	s_wait_dscnt 0x0
	v_lshrrev_b32_e32 v8, 16, v30
	v_and_b32_e32 v9, 0xffff, v30
	v_pk_fma_f16 v59, v54, v10, v59
	v_pk_fma_f16 v61, v54, v11, v61
	;; [unrolled: 1-line block ×8, first 2 shown]
	v_dual_lshrrev_b32 v10, 16, v31 :: v_dual_lshrrev_b32 v11, 16, v32
	v_lshrrev_b32_e32 v30, 16, v33
	v_mul_u32_u24_e32 v70, 0x10001, v9
	v_and_b32_e32 v9, 0xffff, v32
	v_mul_u32_u24_e32 v32, 0x10001, v8
	v_and_b32_e32 v8, 0xffff, v33
	v_pk_fma_f16 v75, v54, v71, v75
	v_pk_fma_f16 v58, v54, v72, v58
	;; [unrolled: 1-line block ×3, first 2 shown]
	v_and_b32_e32 v31, 0xffff, v31
	v_mul_u32_u24_e32 v33, 0x10001, v10
	v_mul_u32_u24_e32 v71, 0x10001, v9
	;; [unrolled: 1-line block ×4, first 2 shown]
	ds_load_b128 v[8:11], v49 offset:192
	v_pk_fma_f16 v54, v54, v74, v77
	v_mul_u32_u24_e32 v31, 0x10001, v31
	v_mul_u32_u24_e32 v74, 0x10001, v30
	v_pk_fma_f16 v62, v56, v70, v62
	v_pk_fma_f16 v75, v56, v32, v75
	v_pk_fma_f16 v58, v56, v33, v58
	v_pk_fma_f16 v76, v56, v31, v76
	v_pk_fma_f16 v59, v56, v71, v59
	v_pk_fma_f16 v60, v56, v72, v60
	v_pk_fma_f16 v61, v56, v73, v61
	v_pk_fma_f16 v77, v56, v74, v54
	v_pk_fma_f16 v63, v57, v70, v63
	v_pk_fma_f16 v64, v57, v32, v64
	v_pk_fma_f16 v66, v57, v31, v66
	v_pk_fma_f16 v67, v57, v33, v67
	v_pk_fma_f16 v68, v57, v71, v68
	v_pk_fma_f16 v69, v57, v72, v69
	ds_load_2addr_b64 v[30:33], v51 offset0:216 offset1:234
	v_pk_fma_f16 v65, v57, v73, v65
	v_pk_fma_f16 v70, v57, v74, v55
	ds_load_b128 v[54:57], v49 offset:208
	s_wait_dscnt 0x2
	v_dual_lshrrev_b32 v71, 16, v8 :: v_dual_lshrrev_b32 v72, 16, v9
	v_and_b32_e32 v8, 0xffff, v8
	v_and_b32_e32 v9, 0xffff, v9
	v_dual_lshrrev_b32 v73, 16, v10 :: v_dual_lshrrev_b32 v74, 16, v11
	v_and_b32_e32 v10, 0xffff, v10
	s_delay_alu instid0(VALU_DEP_4)
	v_mul_u32_u24_e32 v8, 0x10001, v8
	v_and_b32_e32 v11, 0xffff, v11
	v_mul_u32_u24_e32 v9, 0x10001, v9
	v_mul_u32_u24_e32 v71, 0x10001, v71
	v_mul_u32_u24_e32 v72, 0x10001, v72
	v_mul_u32_u24_e32 v10, 0x10001, v10
	v_mul_u32_u24_e32 v73, 0x10001, v73
	v_mul_u32_u24_e32 v11, 0x10001, v11
	v_mul_u32_u24_e32 v74, 0x10001, v74
	s_wait_dscnt 0x1
	v_pk_fma_f16 v62, v30, v8, v62
	v_pk_fma_f16 v76, v30, v9, v76
	;; [unrolled: 1-line block ×4, first 2 shown]
	s_wait_dscnt 0x0
	v_lshrrev_b32_e32 v8, 16, v54
	v_and_b32_e32 v9, 0xffff, v54
	v_pk_fma_f16 v59, v30, v10, v59
	v_pk_fma_f16 v61, v30, v11, v61
	;; [unrolled: 1-line block ×8, first 2 shown]
	v_dual_lshrrev_b32 v10, 16, v55 :: v_dual_lshrrev_b32 v11, 16, v56
	v_lshrrev_b32_e32 v54, 16, v57
	v_mul_u32_u24_e32 v70, 0x10001, v9
	v_and_b32_e32 v9, 0xffff, v56
	v_mul_u32_u24_e32 v56, 0x10001, v8
	v_and_b32_e32 v8, 0xffff, v57
	v_pk_fma_f16 v75, v30, v71, v75
	v_pk_fma_f16 v58, v30, v72, v58
	;; [unrolled: 1-line block ×4, first 2 shown]
	v_and_b32_e32 v55, 0xffff, v55
	v_mul_u32_u24_e32 v57, 0x10001, v10
	v_mul_u32_u24_e32 v71, 0x10001, v9
	v_mul_u32_u24_e32 v72, 0x10001, v11
	v_mul_u32_u24_e32 v73, 0x10001, v8
	v_mul_u32_u24_e32 v74, 0x10001, v54
	ds_load_b128 v[8:11], v49 offset:224
	v_mul_u32_u24_e32 v55, 0x10001, v55
	v_pk_fma_f16 v62, v32, v70, v62
	v_pk_fma_f16 v75, v32, v56, v75
	;; [unrolled: 1-line block ×3, first 2 shown]
	v_add_nc_u32_e32 v30, 0x400, v51
	v_pk_fma_f16 v76, v32, v55, v76
	v_pk_fma_f16 v58, v32, v57, v58
	;; [unrolled: 1-line block ×11, first 2 shown]
	ds_load_2addr_b64 v[54:57], v30 offset0:124 offset1:142
	v_pk_fma_f16 v65, v33, v73, v65
	v_pk_fma_f16 v70, v33, v74, v31
	ds_load_b128 v[30:33], v49 offset:240
	s_wait_dscnt 0x2
	v_dual_lshrrev_b32 v71, 16, v8 :: v_dual_lshrrev_b32 v72, 16, v9
	v_and_b32_e32 v8, 0xffff, v8
	v_and_b32_e32 v9, 0xffff, v9
	v_dual_lshrrev_b32 v73, 16, v10 :: v_dual_lshrrev_b32 v74, 16, v11
	v_and_b32_e32 v10, 0xffff, v10
	s_delay_alu instid0(VALU_DEP_4)
	v_mul_u32_u24_e32 v8, 0x10001, v8
	v_and_b32_e32 v11, 0xffff, v11
	v_mul_u32_u24_e32 v9, 0x10001, v9
	v_mul_u32_u24_e32 v71, 0x10001, v71
	;; [unrolled: 1-line block ×7, first 2 shown]
	s_wait_dscnt 0x1
	v_pk_fma_f16 v62, v54, v8, v62
	v_pk_fma_f16 v76, v54, v9, v76
	;; [unrolled: 1-line block ×4, first 2 shown]
	s_wait_dscnt 0x0
	v_lshrrev_b32_e32 v8, 16, v30
	v_and_b32_e32 v9, 0xffff, v30
	v_pk_fma_f16 v59, v54, v10, v59
	v_pk_fma_f16 v61, v54, v11, v61
	;; [unrolled: 1-line block ×8, first 2 shown]
	v_dual_lshrrev_b32 v10, 16, v31 :: v_dual_lshrrev_b32 v11, 16, v32
	v_lshrrev_b32_e32 v30, 16, v33
	v_mul_u32_u24_e32 v70, 0x10001, v9
	v_and_b32_e32 v9, 0xffff, v32
	v_mul_u32_u24_e32 v32, 0x10001, v8
	v_and_b32_e32 v8, 0xffff, v33
	v_pk_fma_f16 v75, v54, v71, v75
	v_pk_fma_f16 v58, v54, v72, v58
	;; [unrolled: 1-line block ×3, first 2 shown]
	v_and_b32_e32 v31, 0xffff, v31
	v_mul_u32_u24_e32 v33, 0x10001, v10
	v_mul_u32_u24_e32 v71, 0x10001, v9
	;; [unrolled: 1-line block ×4, first 2 shown]
	ds_load_b128 v[8:11], v49 offset:256
	v_pk_fma_f16 v54, v54, v74, v77
	v_mul_u32_u24_e32 v31, 0x10001, v31
	v_mul_u32_u24_e32 v74, 0x10001, v30
	v_pk_fma_f16 v62, v56, v70, v62
	v_pk_fma_f16 v63, v57, v70, v63
	v_add_nc_u32_e32 v70, 0x800, v51
	v_pk_fma_f16 v75, v56, v32, v75
	v_pk_fma_f16 v76, v56, v31, v76
	;; [unrolled: 1-line block ×12, first 2 shown]
	ds_load_2addr_b64 v[30:33], v70 offset0:32 offset1:50
	v_pk_fma_f16 v65, v57, v73, v65
	v_pk_fma_f16 v71, v57, v74, v55
	ds_load_b128 v[54:57], v49 offset:272
	s_wait_dscnt 0x2
	v_dual_lshrrev_b32 v72, 16, v8 :: v_dual_lshrrev_b32 v73, 16, v9
	v_and_b32_e32 v8, 0xffff, v8
	v_and_b32_e32 v9, 0xffff, v9
	v_dual_lshrrev_b32 v74, 16, v10 :: v_dual_lshrrev_b32 v78, 16, v11
	v_and_b32_e32 v10, 0xffff, v10
	s_delay_alu instid0(VALU_DEP_4)
	v_mul_u32_u24_e32 v8, 0x10001, v8
	v_and_b32_e32 v11, 0xffff, v11
	v_mul_u32_u24_e32 v9, 0x10001, v9
	v_mul_u32_u24_e32 v72, 0x10001, v72
	;; [unrolled: 1-line block ×7, first 2 shown]
	s_wait_dscnt 0x1
	v_pk_fma_f16 v62, v30, v8, v62
	v_pk_fma_f16 v76, v30, v9, v76
	v_pk_fma_f16 v63, v31, v8, v63
	v_pk_fma_f16 v66, v31, v9, v66
	s_wait_dscnt 0x0
	v_lshrrev_b32_e32 v8, 16, v54
	v_and_b32_e32 v9, 0xffff, v54
	v_pk_fma_f16 v59, v30, v10, v59
	v_pk_fma_f16 v61, v30, v11, v61
	;; [unrolled: 1-line block ×8, first 2 shown]
	v_dual_lshrrev_b32 v10, 16, v55 :: v_dual_lshrrev_b32 v11, 16, v56
	v_lshrrev_b32_e32 v54, 16, v57
	v_mul_u32_u24_e32 v71, 0x10001, v9
	v_and_b32_e32 v9, 0xffff, v56
	v_mul_u32_u24_e32 v56, 0x10001, v8
	v_and_b32_e32 v8, 0xffff, v57
	v_pk_fma_f16 v75, v30, v72, v75
	v_pk_fma_f16 v58, v30, v73, v58
	;; [unrolled: 1-line block ×3, first 2 shown]
	v_and_b32_e32 v55, 0xffff, v55
	v_mul_u32_u24_e32 v57, 0x10001, v10
	v_mul_u32_u24_e32 v72, 0x10001, v9
	;; [unrolled: 1-line block ×4, first 2 shown]
	ds_load_b128 v[8:11], v49 offset:288
	v_pk_fma_f16 v30, v30, v78, v77
	v_mul_u32_u24_e32 v55, 0x10001, v55
	v_mul_u32_u24_e32 v77, 0x10001, v54
	v_pk_fma_f16 v62, v32, v71, v62
	v_pk_fma_f16 v75, v32, v56, v75
	v_pk_fma_f16 v58, v32, v57, v58
	v_pk_fma_f16 v76, v32, v55, v76
	v_pk_fma_f16 v59, v32, v72, v59
	v_pk_fma_f16 v60, v32, v73, v60
	v_pk_fma_f16 v61, v32, v74, v61
	v_pk_fma_f16 v78, v32, v77, v30
	v_pk_fma_f16 v63, v33, v71, v63
	v_pk_fma_f16 v64, v33, v56, v64
	v_pk_fma_f16 v66, v33, v55, v66
	v_pk_fma_f16 v67, v33, v57, v67
	v_pk_fma_f16 v68, v33, v72, v68
	v_pk_fma_f16 v69, v33, v73, v69
	ds_load_2addr_b64 v[54:57], v70 offset0:68 offset1:86
	v_pk_fma_f16 v65, v33, v74, v65
	v_pk_fma_f16 v71, v33, v77, v31
	ds_load_b128 v[30:33], v49 offset:304
	s_wait_dscnt 0x2
	v_dual_lshrrev_b32 v72, 16, v8 :: v_dual_lshrrev_b32 v73, 16, v9
	v_and_b32_e32 v8, 0xffff, v8
	v_and_b32_e32 v9, 0xffff, v9
	v_dual_lshrrev_b32 v74, 16, v10 :: v_dual_lshrrev_b32 v77, 16, v11
	v_and_b32_e32 v10, 0xffff, v10
	s_delay_alu instid0(VALU_DEP_4)
	v_mul_u32_u24_e32 v8, 0x10001, v8
	v_and_b32_e32 v11, 0xffff, v11
	v_mul_u32_u24_e32 v9, 0x10001, v9
	v_mul_u32_u24_e32 v72, 0x10001, v72
	;; [unrolled: 1-line block ×7, first 2 shown]
	s_wait_dscnt 0x1
	v_pk_fma_f16 v62, v54, v8, v62
	v_pk_fma_f16 v76, v54, v9, v76
	;; [unrolled: 1-line block ×4, first 2 shown]
	s_wait_dscnt 0x0
	v_lshrrev_b32_e32 v8, 16, v30
	v_and_b32_e32 v9, 0xffff, v30
	v_pk_fma_f16 v59, v54, v10, v59
	v_pk_fma_f16 v61, v54, v11, v61
	;; [unrolled: 1-line block ×8, first 2 shown]
	v_dual_lshrrev_b32 v10, 16, v31 :: v_dual_lshrrev_b32 v11, 16, v32
	v_lshrrev_b32_e32 v30, 16, v33
	v_mul_u32_u24_e32 v71, 0x10001, v9
	v_and_b32_e32 v9, 0xffff, v32
	v_mul_u32_u24_e32 v32, 0x10001, v8
	v_and_b32_e32 v8, 0xffff, v33
	v_pk_fma_f16 v75, v54, v72, v75
	v_pk_fma_f16 v58, v54, v73, v58
	;; [unrolled: 1-line block ×3, first 2 shown]
	v_and_b32_e32 v31, 0xffff, v31
	v_mul_u32_u24_e32 v33, 0x10001, v10
	v_mul_u32_u24_e32 v72, 0x10001, v9
	;; [unrolled: 1-line block ×4, first 2 shown]
	ds_load_b128 v[8:11], v49 offset:320
	v_pk_fma_f16 v54, v54, v77, v78
	v_mul_u32_u24_e32 v31, 0x10001, v31
	v_mul_u32_u24_e32 v77, 0x10001, v30
	v_pk_fma_f16 v62, v56, v71, v62
	v_pk_fma_f16 v75, v56, v32, v75
	;; [unrolled: 1-line block ×14, first 2 shown]
	ds_load_2addr_b64 v[30:33], v70 offset0:104 offset1:122
	v_pk_fma_f16 v65, v57, v74, v65
	v_pk_fma_f16 v71, v57, v77, v55
	ds_load_b128 v[54:57], v49 offset:336
	s_wait_dscnt 0x2
	v_dual_lshrrev_b32 v72, 16, v8 :: v_dual_lshrrev_b32 v73, 16, v9
	v_and_b32_e32 v8, 0xffff, v8
	v_and_b32_e32 v9, 0xffff, v9
	v_dual_lshrrev_b32 v74, 16, v10 :: v_dual_lshrrev_b32 v77, 16, v11
	v_and_b32_e32 v10, 0xffff, v10
	s_delay_alu instid0(VALU_DEP_4)
	v_mul_u32_u24_e32 v8, 0x10001, v8
	v_and_b32_e32 v11, 0xffff, v11
	v_mul_u32_u24_e32 v9, 0x10001, v9
	v_mul_u32_u24_e32 v72, 0x10001, v72
	;; [unrolled: 1-line block ×7, first 2 shown]
	s_wait_dscnt 0x1
	v_pk_fma_f16 v62, v30, v8, v62
	v_pk_fma_f16 v76, v30, v9, v76
	;; [unrolled: 1-line block ×4, first 2 shown]
	s_wait_dscnt 0x0
	v_lshrrev_b32_e32 v8, 16, v54
	v_and_b32_e32 v9, 0xffff, v54
	v_pk_fma_f16 v59, v30, v10, v59
	v_pk_fma_f16 v61, v30, v11, v61
	;; [unrolled: 1-line block ×8, first 2 shown]
	v_dual_lshrrev_b32 v10, 16, v55 :: v_dual_lshrrev_b32 v11, 16, v56
	v_lshrrev_b32_e32 v54, 16, v57
	v_mul_u32_u24_e32 v71, 0x10001, v9
	v_and_b32_e32 v9, 0xffff, v56
	v_mul_u32_u24_e32 v56, 0x10001, v8
	v_and_b32_e32 v8, 0xffff, v57
	v_pk_fma_f16 v75, v30, v72, v75
	v_pk_fma_f16 v58, v30, v73, v58
	;; [unrolled: 1-line block ×3, first 2 shown]
	v_and_b32_e32 v55, 0xffff, v55
	v_mul_u32_u24_e32 v57, 0x10001, v10
	v_mul_u32_u24_e32 v72, 0x10001, v9
	;; [unrolled: 1-line block ×4, first 2 shown]
	ds_load_b128 v[8:11], v49 offset:352
	v_pk_fma_f16 v30, v30, v77, v78
	v_mul_u32_u24_e32 v55, 0x10001, v55
	v_mul_u32_u24_e32 v77, 0x10001, v54
	v_pk_fma_f16 v62, v32, v71, v62
	v_pk_fma_f16 v75, v32, v56, v75
	;; [unrolled: 1-line block ×14, first 2 shown]
	ds_load_2addr_b64 v[54:57], v70 offset0:140 offset1:158
	v_pk_fma_f16 v65, v33, v74, v65
	v_pk_fma_f16 v71, v33, v77, v31
	ds_load_b128 v[30:33], v49 offset:368
	s_wait_dscnt 0x2
	v_dual_lshrrev_b32 v72, 16, v8 :: v_dual_lshrrev_b32 v73, 16, v9
	v_and_b32_e32 v8, 0xffff, v8
	v_and_b32_e32 v9, 0xffff, v9
	v_dual_lshrrev_b32 v74, 16, v10 :: v_dual_lshrrev_b32 v77, 16, v11
	v_and_b32_e32 v10, 0xffff, v10
	s_delay_alu instid0(VALU_DEP_4)
	v_mul_u32_u24_e32 v8, 0x10001, v8
	v_and_b32_e32 v11, 0xffff, v11
	v_mul_u32_u24_e32 v9, 0x10001, v9
	v_mul_u32_u24_e32 v72, 0x10001, v72
	;; [unrolled: 1-line block ×7, first 2 shown]
	s_wait_dscnt 0x1
	v_pk_fma_f16 v62, v54, v8, v62
	v_pk_fma_f16 v76, v54, v9, v76
	;; [unrolled: 1-line block ×4, first 2 shown]
	s_wait_dscnt 0x0
	v_lshrrev_b32_e32 v8, 16, v30
	v_and_b32_e32 v9, 0xffff, v30
	v_pk_fma_f16 v59, v54, v10, v59
	v_pk_fma_f16 v61, v54, v11, v61
	;; [unrolled: 1-line block ×8, first 2 shown]
	v_dual_lshrrev_b32 v10, 16, v31 :: v_dual_lshrrev_b32 v11, 16, v32
	v_lshrrev_b32_e32 v30, 16, v33
	v_mul_u32_u24_e32 v71, 0x10001, v9
	v_and_b32_e32 v9, 0xffff, v32
	v_mul_u32_u24_e32 v32, 0x10001, v8
	v_and_b32_e32 v8, 0xffff, v33
	v_pk_fma_f16 v75, v54, v72, v75
	v_pk_fma_f16 v58, v54, v73, v58
	;; [unrolled: 1-line block ×3, first 2 shown]
	v_and_b32_e32 v31, 0xffff, v31
	v_mul_u32_u24_e32 v33, 0x10001, v10
	v_mul_u32_u24_e32 v72, 0x10001, v9
	;; [unrolled: 1-line block ×4, first 2 shown]
	ds_load_b128 v[8:11], v49 offset:384
	v_pk_fma_f16 v54, v54, v77, v78
	v_mul_u32_u24_e32 v31, 0x10001, v31
	v_mul_u32_u24_e32 v77, 0x10001, v30
	v_pk_fma_f16 v62, v56, v71, v62
	v_pk_fma_f16 v75, v56, v32, v75
	;; [unrolled: 1-line block ×14, first 2 shown]
	ds_load_2addr_b64 v[30:33], v70 offset0:176 offset1:194
	v_pk_fma_f16 v65, v57, v74, v65
	v_pk_fma_f16 v71, v57, v77, v55
	ds_load_b128 v[54:57], v49 offset:400
	s_wait_dscnt 0x2
	v_dual_lshrrev_b32 v72, 16, v8 :: v_dual_lshrrev_b32 v73, 16, v9
	v_and_b32_e32 v8, 0xffff, v8
	v_and_b32_e32 v9, 0xffff, v9
	v_dual_lshrrev_b32 v74, 16, v10 :: v_dual_lshrrev_b32 v77, 16, v11
	v_and_b32_e32 v10, 0xffff, v10
	s_delay_alu instid0(VALU_DEP_4)
	v_mul_u32_u24_e32 v8, 0x10001, v8
	v_and_b32_e32 v11, 0xffff, v11
	v_mul_u32_u24_e32 v9, 0x10001, v9
	v_mul_u32_u24_e32 v72, 0x10001, v72
	;; [unrolled: 1-line block ×7, first 2 shown]
	s_wait_dscnt 0x1
	v_pk_fma_f16 v62, v30, v8, v62
	v_pk_fma_f16 v76, v30, v9, v76
	;; [unrolled: 1-line block ×4, first 2 shown]
	s_wait_dscnt 0x0
	v_lshrrev_b32_e32 v8, 16, v54
	v_and_b32_e32 v9, 0xffff, v54
	v_pk_fma_f16 v59, v30, v10, v59
	v_pk_fma_f16 v61, v30, v11, v61
	;; [unrolled: 1-line block ×8, first 2 shown]
	v_dual_lshrrev_b32 v10, 16, v55 :: v_dual_lshrrev_b32 v11, 16, v56
	v_lshrrev_b32_e32 v54, 16, v57
	v_mul_u32_u24_e32 v71, 0x10001, v9
	v_and_b32_e32 v9, 0xffff, v56
	v_mul_u32_u24_e32 v56, 0x10001, v8
	v_and_b32_e32 v8, 0xffff, v57
	v_pk_fma_f16 v75, v30, v72, v75
	v_pk_fma_f16 v58, v30, v73, v58
	;; [unrolled: 1-line block ×3, first 2 shown]
	v_and_b32_e32 v55, 0xffff, v55
	v_mul_u32_u24_e32 v57, 0x10001, v10
	v_mul_u32_u24_e32 v72, 0x10001, v9
	v_mul_u32_u24_e32 v73, 0x10001, v11
	v_mul_u32_u24_e32 v74, 0x10001, v8
	ds_load_b128 v[8:11], v49 offset:416
	v_pk_fma_f16 v30, v30, v77, v78
	v_mul_u32_u24_e32 v55, 0x10001, v55
	v_mul_u32_u24_e32 v77, 0x10001, v54
	v_pk_fma_f16 v62, v32, v71, v62
	v_pk_fma_f16 v75, v32, v56, v75
	;; [unrolled: 1-line block ×14, first 2 shown]
	ds_load_2addr_b64 v[54:57], v70 offset0:212 offset1:230
	v_pk_fma_f16 v65, v33, v74, v65
	v_pk_fma_f16 v70, v33, v77, v31
	ds_load_b128 v[30:33], v49 offset:432
	s_wait_dscnt 0x2
	v_dual_lshrrev_b32 v71, 16, v8 :: v_dual_lshrrev_b32 v72, 16, v9
	v_and_b32_e32 v8, 0xffff, v8
	v_and_b32_e32 v9, 0xffff, v9
	v_dual_lshrrev_b32 v73, 16, v10 :: v_dual_lshrrev_b32 v74, 16, v11
	v_and_b32_e32 v10, 0xffff, v10
	s_delay_alu instid0(VALU_DEP_4)
	v_mul_u32_u24_e32 v8, 0x10001, v8
	v_and_b32_e32 v11, 0xffff, v11
	v_mul_u32_u24_e32 v9, 0x10001, v9
	v_mul_u32_u24_e32 v71, 0x10001, v71
	v_mul_u32_u24_e32 v72, 0x10001, v72
	v_mul_u32_u24_e32 v10, 0x10001, v10
	v_mul_u32_u24_e32 v73, 0x10001, v73
	v_mul_u32_u24_e32 v11, 0x10001, v11
	v_mul_u32_u24_e32 v74, 0x10001, v74
	s_wait_dscnt 0x1
	v_pk_fma_f16 v62, v54, v8, v62
	v_pk_fma_f16 v76, v54, v9, v76
	;; [unrolled: 1-line block ×4, first 2 shown]
	s_wait_dscnt 0x0
	v_lshrrev_b32_e32 v8, 16, v30
	v_and_b32_e32 v9, 0xffff, v30
	v_pk_fma_f16 v59, v54, v10, v59
	v_pk_fma_f16 v61, v54, v11, v61
	;; [unrolled: 1-line block ×8, first 2 shown]
	v_dual_lshrrev_b32 v10, 16, v31 :: v_dual_lshrrev_b32 v11, 16, v32
	v_lshrrev_b32_e32 v30, 16, v33
	v_mul_u32_u24_e32 v70, 0x10001, v9
	v_and_b32_e32 v9, 0xffff, v32
	v_mul_u32_u24_e32 v32, 0x10001, v8
	v_and_b32_e32 v8, 0xffff, v33
	v_pk_fma_f16 v75, v54, v71, v75
	v_pk_fma_f16 v58, v54, v72, v58
	;; [unrolled: 1-line block ×3, first 2 shown]
	v_and_b32_e32 v31, 0xffff, v31
	v_mul_u32_u24_e32 v33, 0x10001, v10
	v_mul_u32_u24_e32 v71, 0x10001, v9
	;; [unrolled: 1-line block ×4, first 2 shown]
	ds_load_b128 v[8:11], v49 offset:448
	v_pk_fma_f16 v54, v54, v74, v78
	v_mul_u32_u24_e32 v31, 0x10001, v31
	v_mul_u32_u24_e32 v74, 0x10001, v30
	v_add_nc_u32_e32 v30, 0xc00, v51
	v_pk_fma_f16 v62, v56, v70, v62
	v_pk_fma_f16 v75, v56, v32, v75
	;; [unrolled: 1-line block ×14, first 2 shown]
	ds_load_2addr_b64 v[30:33], v30 offset0:120 offset1:138
	v_pk_fma_f16 v65, v57, v73, v65
	v_pk_fma_f16 v70, v57, v74, v55
	ds_load_b128 v[54:57], v49 offset:464
	s_wait_dscnt 0x2
	v_dual_lshrrev_b32 v71, 16, v8 :: v_dual_lshrrev_b32 v72, 16, v9
	v_and_b32_e32 v8, 0xffff, v8
	v_and_b32_e32 v9, 0xffff, v9
	v_dual_lshrrev_b32 v73, 16, v10 :: v_dual_lshrrev_b32 v74, 16, v11
	v_and_b32_e32 v10, 0xffff, v10
	s_delay_alu instid0(VALU_DEP_4)
	v_mul_u32_u24_e32 v8, 0x10001, v8
	v_and_b32_e32 v11, 0xffff, v11
	v_mul_u32_u24_e32 v9, 0x10001, v9
	v_mul_u32_u24_e32 v71, 0x10001, v71
	;; [unrolled: 1-line block ×7, first 2 shown]
	s_wait_dscnt 0x1
	v_pk_fma_f16 v62, v30, v8, v62
	v_pk_fma_f16 v76, v30, v9, v76
	;; [unrolled: 1-line block ×4, first 2 shown]
	s_wait_dscnt 0x0
	v_lshrrev_b32_e32 v8, 16, v54
	v_and_b32_e32 v9, 0xffff, v54
	v_pk_fma_f16 v59, v30, v10, v59
	v_pk_fma_f16 v61, v30, v11, v61
	;; [unrolled: 1-line block ×8, first 2 shown]
	v_dual_lshrrev_b32 v10, 16, v55 :: v_dual_lshrrev_b32 v11, 16, v56
	v_lshrrev_b32_e32 v54, 16, v57
	v_and_b32_e32 v55, 0xffff, v55
	v_mul_u32_u24_e32 v70, 0x10001, v9
	v_and_b32_e32 v9, 0xffff, v56
	v_mul_u32_u24_e32 v56, 0x10001, v8
	v_and_b32_e32 v8, 0xffff, v57
	v_pk_fma_f16 v75, v30, v71, v75
	v_pk_fma_f16 v58, v30, v72, v58
	;; [unrolled: 1-line block ×4, first 2 shown]
	v_mul_u32_u24_e32 v55, 0x10001, v55
	v_mul_u32_u24_e32 v57, 0x10001, v10
	;; [unrolled: 1-line block ×6, first 2 shown]
	ds_load_b128 v[8:11], v49 offset:480
	v_pk_fma_f16 v74, v32, v56, v75
	v_pk_fma_f16 v75, v32, v55, v76
	;; [unrolled: 1-line block ×4, first 2 shown]
	v_add_nc_u32_e32 v30, 0x1000, v51
	v_pk_fma_f16 v58, v32, v57, v58
	v_pk_fma_f16 v59, v32, v71, v59
	;; [unrolled: 1-line block ×10, first 2 shown]
	ds_load_2addr_b64 v[68:71], v30 offset0:28 offset1:46
	v_pk_fma_f16 v65, v33, v73, v65
	v_pk_fma_f16 v54, v33, v54, v31
	ds_load_b128 v[30:33], v49 offset:496
	s_wait_dscnt 0x0
	s_barrier_signal -1
	s_barrier_wait -1
	s_load_b32 s3, s[24:25], 0x4
	v_dual_lshrrev_b32 v67, 16, v8 :: v_dual_lshrrev_b32 v72, 16, v9
	v_and_b32_e32 v8, 0xffff, v8
	v_dual_lshrrev_b32 v73, 16, v10 :: v_dual_lshrrev_b32 v77, 16, v11
	v_and_b32_e32 v9, 0xffff, v9
	v_and_b32_e32 v10, 0xffff, v10
	s_delay_alu instid0(VALU_DEP_4)
	v_mul_u32_u24_e32 v8, 0x10001, v8
	v_mul_u32_u24_e32 v67, 0x10001, v67
	v_and_b32_e32 v11, 0xffff, v11
	v_mul_u32_u24_e32 v9, 0x10001, v9
	v_mul_u32_u24_e32 v72, 0x10001, v72
	;; [unrolled: 1-line block ×6, first 2 shown]
	v_pk_fma_f16 v62, v68, v8, v62
	v_pk_fma_f16 v74, v68, v67, v74
	;; [unrolled: 1-line block ×10, first 2 shown]
	v_dual_lshrrev_b32 v54, 16, v30 :: v_dual_lshrrev_b32 v56, 16, v31
	v_and_b32_e32 v30, 0xffff, v30
	v_and_b32_e32 v31, 0xffff, v31
	v_dual_lshrrev_b32 v60, 16, v32 :: v_dual_lshrrev_b32 v63, 16, v33
	v_and_b32_e32 v32, 0xffff, v32
	v_and_b32_e32 v33, 0xffff, v33
	v_pk_fma_f16 v59, v68, v10, v59
	v_pk_fma_f16 v61, v68, v11, v61
	;; [unrolled: 1-line block ×6, first 2 shown]
	v_mul_u32_u24_e32 v30, 0x10001, v30
	v_mul_u32_u24_e32 v64, 0x10001, v54
	;; [unrolled: 1-line block ×8, first 2 shown]
	s_wait_kmcnt 0x0
	s_lshl_b32 s3, s3, 5
	v_pk_fma_f16 v68, v70, v30, v62
	v_pk_fma_f16 v66, v70, v64, v74
	;; [unrolled: 1-line block ×16, first 2 shown]
	s_add_co_i32 s4, s3, s4
	s_delay_alu instid0(SALU_CYCLE_1)
	s_cmp_ge_i32 s4, s30
	s_cbranch_scc1 .LBB0_17
; %bb.16:                               ;   in Loop: Header=BB0_11 Depth=1
	v_dual_mov_b32 v70, v0 :: v_dual_mov_b32 v71, v1
	v_dual_mov_b32 v72, v2 :: v_dual_mov_b32 v73, v3
	;; [unrolled: 1-line block ×4, first 2 shown]
	s_branch .LBB0_11
.LBB0_17:
	v_mov_b32_e32 v8, v42
.LBB0_18:
	v_cmp_lt_i32_e32 vcc_lo, v43, v37
	s_cmp_lg_u64 s[12:13], 0
	s_cselect_b32 s3, -1, 0
	s_cmp_eq_u32 s31, 0
	v_cndmask_b32_e32 v9, v8, v43, vcc_lo
	v_cmp_lt_i32_e32 vcc_lo, v41, v37
	s_cselect_b32 s4, -1, 0
	s_delay_alu instid0(SALU_CYCLE_1) | instskip(NEXT) | instid1(VALU_DEP_2)
	s_and_b32 s3, s4, s3
	v_lshlrev_b32_e32 v9, 2, v9
	ds_bpermute_b32 v10, v9, v18
	ds_bpermute_b32 v11, v9, v19
	;; [unrolled: 1-line block ×8, first 2 shown]
	v_cndmask_b32_e32 v9, v8, v41, vcc_lo
	v_cmp_lt_i32_e32 vcc_lo, v40, v37
	s_delay_alu instid0(VALU_DEP_2)
	v_lshlrev_b32_e32 v9, 2, v9
	s_wait_dscnt 0x6
	v_pk_add_f32 v[10:11], v[18:19], v[10:11]
	s_wait_dscnt 0x4
	v_pk_add_f32 v[16:17], v[16:17], v[20:21]
	;; [unrolled: 2-line block ×3, first 2 shown]
	ds_bpermute_b32 v18, v9, v10
	s_wait_dscnt 0x1
	v_pk_add_f32 v[12:13], v[12:13], v[24:25]
	ds_bpermute_b32 v19, v9, v11
	ds_bpermute_b32 v20, v9, v16
	;; [unrolled: 1-line block ×7, first 2 shown]
	v_cndmask_b32_e32 v9, v8, v40, vcc_lo
	v_cmp_lt_i32_e32 vcc_lo, v39, v37
	s_delay_alu instid0(VALU_DEP_2)
	v_lshlrev_b32_e32 v9, 2, v9
	s_wait_dscnt 0x6
	v_pk_add_f32 v[10:11], v[10:11], v[18:19]
	s_wait_dscnt 0x4
	v_pk_add_f32 v[16:17], v[16:17], v[20:21]
	;; [unrolled: 2-line block ×3, first 2 shown]
	ds_bpermute_b32 v18, v9, v10
	s_wait_dscnt 0x1
	v_pk_add_f32 v[12:13], v[12:13], v[24:25]
	ds_bpermute_b32 v19, v9, v11
	ds_bpermute_b32 v20, v9, v16
	;; [unrolled: 1-line block ×7, first 2 shown]
	v_cndmask_b32_e32 v9, v8, v39, vcc_lo
	v_cmp_lt_i32_e32 vcc_lo, v38, v37
	s_delay_alu instid0(VALU_DEP_2) | instskip(SKIP_1) | instid1(VALU_DEP_1)
	v_dual_cndmask_b32 v8, v8, v38 :: v_dual_lshlrev_b32 v9, 2, v9
	s_and_b32 vcc_lo, exec_lo, s3
	v_lshlrev_b32_e32 v26, 2, v8
	s_wait_dscnt 0x6
	v_pk_add_f32 v[10:11], v[10:11], v[18:19]
	s_wait_dscnt 0x4
	v_pk_add_f32 v[16:17], v[16:17], v[20:21]
	;; [unrolled: 2-line block ×3, first 2 shown]
	ds_bpermute_b32 v18, v9, v10
	s_wait_dscnt 0x1
	v_pk_add_f32 v[12:13], v[12:13], v[24:25]
	ds_bpermute_b32 v19, v9, v11
	ds_bpermute_b32 v20, v9, v16
	;; [unrolled: 1-line block ×7, first 2 shown]
	s_wait_dscnt 0x6
	v_pk_add_f32 v[8:9], v[10:11], v[18:19]
	s_wait_dscnt 0x4
	v_pk_add_f32 v[10:11], v[16:17], v[20:21]
	;; [unrolled: 2-line block ×4, first 2 shown]
	ds_bpermute_b32 v12, v26, v8
	ds_bpermute_b32 v13, v26, v9
	;; [unrolled: 1-line block ×8, first 2 shown]
	s_wait_dscnt 0x6
	v_pk_add_f32 v[14:15], v[8:9], v[12:13]
	s_wait_dscnt 0x4
	v_pk_add_f32 v[12:13], v[10:11], v[20:21]
	;; [unrolled: 2-line block ×4, first 2 shown]
	s_cbranch_vccz .LBB0_20
; %bb.19:
	s_ashr_i32 s11, s10, 31
	v_dual_mov_b32 v16, 0 :: v_dual_max_num_f32 v17, v1, v1
	s_lshl_b64 s[4:5], s[10:11], 2
	v_dual_max_num_f32 v19, v3, v3 :: v_dual_max_num_f32 v20, v4, v4
	s_add_nc_u64 s[4:5], s[12:13], s[4:5]
	s_clause 0x1
	global_load_b128 v[24:27], v16, s[4:5]
	global_load_b128 v[28:31], v16, s[4:5] offset:16
	s_wait_xcnt 0x0
	v_dual_max_num_f32 v16, v0, v0 :: v_dual_max_num_f32 v18, v2, v2
	v_dual_max_num_f32 v23, v7, v7 :: v_dual_max_num_f32 v21, v5, v5
	s_wait_loadcnt 0x1
	v_dual_max_num_f32 v22, v6, v6 :: v_dual_max_num_f32 v32, v24, v24
	v_dual_max_num_f32 v33, v25, v25 :: v_dual_max_num_f32 v37, v26, v26
	s_wait_loadcnt 0x0
	v_dual_max_num_f32 v38, v27, v27 :: v_dual_max_num_f32 v39, v28, v28
	s_delay_alu instid0(VALU_DEP_3) | instskip(SKIP_1) | instid1(VALU_DEP_3)
	v_dual_max_num_f32 v42, v31, v31 :: v_dual_max_num_f32 v16, v16, v32
	v_dual_max_num_f32 v40, v29, v29 :: v_dual_max_num_f32 v41, v30, v30
	;; [unrolled: 1-line block ×3, first 2 shown]
	s_delay_alu instid0(VALU_DEP_4) | instskip(NEXT) | instid1(VALU_DEP_4)
	v_dual_max_num_f32 v18, v18, v37 :: v_dual_max_num_f32 v20, v20, v39
	v_dual_max_num_f32 v23, v23, v42 :: v_dual_sub_f32 v0, v0, v16
	s_delay_alu instid0(VALU_DEP_4) | instskip(NEXT) | instid1(VALU_DEP_4)
	v_dual_max_num_f32 v21, v21, v40 :: v_dual_max_num_f32 v22, v22, v41
	v_dual_sub_f32 v24, v24, v16 :: v_dual_sub_f32 v1, v1, v17
	s_delay_alu instid0(VALU_DEP_4)
	v_dual_sub_f32 v25, v25, v17 :: v_dual_sub_f32 v32, v2, v18
	v_dual_sub_f32 v26, v26, v18 :: v_dual_sub_f32 v33, v3, v19
	v_dual_sub_f32 v27, v27, v19 :: v_dual_sub_f32 v37, v4, v20
	v_dual_sub_f32 v31, v31, v23 :: v_dual_mul_f32 v2, 0x3fb8aa3b, v0
	v_dual_sub_f32 v28, v28, v20 :: v_dual_sub_f32 v38, v5, v21
	v_dual_sub_f32 v29, v29, v21 :: v_dual_sub_f32 v39, v6, v22
	;; [unrolled: 1-line block ×3, first 2 shown]
	v_dual_mul_f32 v3, 0x3fb8aa3b, v24 :: v_dual_mul_f32 v4, 0x3fb8aa3b, v1
	v_dual_mul_f32 v7, 0x3fb8aa3b, v26 :: v_dual_mul_f32 v42, 0x3fb8aa3b, v27
	v_fma_f32 v51, 0x3fb8aa3b, v0, -v2
	v_rndne_f32_e32 v52, v2
	v_dual_mul_f32 v41, 0x3fb8aa3b, v33 :: v_dual_mul_f32 v44, 0x3fb8aa3b, v28
	v_dual_mul_f32 v45, 0x3fb8aa3b, v38 :: v_dual_mul_f32 v46, 0x3fb8aa3b, v29
	s_delay_alu instid0(VALU_DEP_3)
	v_dual_mul_f32 v47, 0x3fb8aa3b, v39 :: v_dual_sub_f32 v2, v2, v52
	v_fma_f32 v53, 0x3fb8aa3b, v24, -v3
	v_rndne_f32_e32 v70, v3
	v_fma_f32 v77, 0x3fb8aa3b, v26, -v7
	v_rndne_f32_e32 v82, v42
	v_fmac_f32_e32 v51, 0x32a5705f, v0
	v_dual_mul_f32 v5, 0x3fb8aa3b, v25 :: v_dual_mul_f32 v6, 0x3fb8aa3b, v32
	v_dual_mul_f32 v43, 0x3fb8aa3b, v37 :: v_dual_mul_f32 v48, 0x3fb8aa3b, v30
	v_fma_f32 v71, 0x3fb8aa3b, v1, -v4
	v_rndne_f32_e32 v72, v4
	v_fma_f32 v81, 0x3fb8aa3b, v27, -v42
	v_rndne_f32_e32 v86, v44
	v_rndne_f32_e32 v88, v45
	v_fmac_f32_e32 v53, 0x32a5705f, v24
	v_dual_sub_f32 v3, v3, v70 :: v_dual_sub_f32 v4, v4, v72
	v_sub_f32_e32 v42, v42, v82
	v_dual_fmac_f32 v77, 0x32a5705f, v26 :: v_dual_add_f32 v2, v2, v51
	v_fma_f32 v73, 0x3fb8aa3b, v25, -v5
	v_rndne_f32_e32 v74, v5
	v_rndne_f32_e32 v76, v6
	v_fma_f32 v83, 0x3fb8aa3b, v37, -v43
	v_fma_f32 v85, 0x3fb8aa3b, v28, -v44
	;; [unrolled: 1-line block ×3, first 2 shown]
	v_dual_fmac_f32 v71, 0x32a5705f, v1 :: v_dual_sub_f32 v44, v44, v86
	v_dual_sub_f32 v45, v45, v88 :: v_dual_add_f32 v3, v3, v53
	v_exp_f32_e32 v2, v2
	v_cvt_i32_f32_e32 v52, v52
	v_fma_f32 v75, 0x3fb8aa3b, v32, -v6
	v_rndne_f32_e32 v84, v43
	v_rndne_f32_e32 v90, v46
	v_rndne_f32_e32 v92, v47
	v_fmac_f32_e32 v73, 0x32a5705f, v25
	s_delay_alu instid0(VALU_DEP_4)
	v_dual_sub_f32 v5, v5, v74 :: v_dual_sub_f32 v43, v43, v84
	v_dual_sub_f32 v6, v6, v76 :: v_dual_fmac_f32 v83, 0x32a5705f, v37
	v_add_f32_e32 v4, v4, v71
	v_exp_f32_e32 v3, v3
	v_fma_f32 v89, 0x3fb8aa3b, v29, -v46
	v_cvt_i32_f32_e32 v70, v70
	v_ldexp_f32 v2, v2, v52
	v_cmp_ngt_f32_e32 vcc_lo, 0xc2ce8ed0, v0
	v_dual_mul_f32 v49, 0x3fb8aa3b, v40 :: v_dual_mul_f32 v50, 0x3fb8aa3b, v31
	v_rndne_f32_e32 v78, v7
	v_fma_f32 v91, 0x3fb8aa3b, v39, -v47
	v_rndne_f32_e32 v94, v48
	v_dual_fmac_f32 v75, 0x32a5705f, v32 :: v_dual_sub_f32 v46, v46, v90
	v_dual_sub_f32 v47, v47, v92 :: v_dual_add_f32 v5, v5, v73
	v_exp_f32_e32 v4, v4
	v_cvt_i32_f32_e32 v72, v72
	v_dual_fmac_f32 v89, 0x32a5705f, v29 :: v_dual_cndmask_b32 v2, 0, v2
	v_ldexp_f32 v3, v3, v70
	v_cmp_ngt_f32_e32 vcc_lo, 0xc2ce8ed0, v24
	v_fma_f32 v79, 0x3fb8aa3b, v33, -v41
	v_rndne_f32_e32 v80, v41
	v_fma_f32 v93, 0x3fb8aa3b, v30, -v48
	v_rndne_f32_e32 v96, v49
	v_sub_f32_e32 v7, v7, v78
	v_dual_sub_f32 v48, v48, v94 :: v_dual_fmac_f32 v85, 0x32a5705f, v28
	v_add_f32_e32 v6, v6, v75
	v_exp_f32_e32 v5, v5
	v_fma_f32 v97, 0x3fb8aa3b, v31, -v50
	v_cvt_i32_f32_e32 v74, v74
	v_ldexp_f32 v4, v4, v72
	v_cndmask_b32_e32 v3, 0, v3, vcc_lo
	v_cmp_ngt_f32_e32 vcc_lo, 0xc2ce8ed0, v1
	v_fma_f32 v95, 0x3fb8aa3b, v40, -v49
	v_rndne_f32_e32 v98, v50
	v_fmac_f32_e32 v79, 0x32a5705f, v33
	v_sub_f32_e32 v41, v41, v80
	v_dual_sub_f32 v49, v49, v96 :: v_dual_add_f32 v7, v7, v77
	v_exp_f32_e32 v6, v6
	v_cvt_i32_f32_e32 v76, v76
	v_dual_fmac_f32 v97, 0x32a5705f, v31 :: v_dual_cndmask_b32 v4, 0, v4
	v_ldexp_f32 v5, v5, v74
	v_cmp_ngt_f32_e32 vcc_lo, 0xc2ce8ed0, v25
	v_dual_fmac_f32 v81, 0x32a5705f, v27 :: v_dual_add_f32 v44, v44, v85
	v_dual_fmac_f32 v91, 0x32a5705f, v39 :: v_dual_add_f32 v46, v46, v89
	v_dual_sub_f32 v50, v50, v98 :: v_dual_add_f32 v41, v41, v79
	v_cndmask_b32_e32 v5, 0, v5, vcc_lo
	v_exp_f32_e32 v7, v7
	v_cvt_i32_f32_e32 v78, v78
	v_ldexp_f32 v6, v6, v76
	v_cmp_ngt_f32_e32 vcc_lo, 0xc2ce8ed0, v32
	v_dual_fmac_f32 v87, 0x32a5705f, v38 :: v_dual_add_f32 v42, v42, v81
	v_exp_f32_e32 v41, v41
	v_exp_f32_e32 v46, v46
	v_cvt_i32_f32_e32 v80, v80
	v_cvt_i32_f32_e32 v90, v90
	v_dual_add_f32 v43, v43, v83 :: v_dual_cndmask_b32 v6, 0, v6
	v_ldexp_f32 v7, v7, v78
	v_cmp_ngt_f32_e32 vcc_lo, 0xc2ce8ed0, v26
	v_dual_fmac_f32 v93, 0x32a5705f, v30 :: v_dual_add_f32 v50, v50, v97
	v_exp_f32_e32 v42, v42
	v_cvt_i32_f32_e32 v82, v82
	v_ldexp_f32 v41, v41, v80
	v_ldexp_f32 v46, v46, v90
	v_cndmask_b32_e32 v7, 0, v7, vcc_lo
	v_cmp_ngt_f32_e32 vcc_lo, 0xc2ce8ed0, v33
	v_dual_fmac_f32 v95, 0x32a5705f, v40 :: v_dual_add_f32 v48, v48, v93
	v_exp_f32_e32 v43, v43
	v_cvt_i32_f32_e32 v84, v84
	v_dual_add_f32 v45, v45, v87 :: v_dual_cndmask_b32 v41, 0, v41, vcc_lo
	v_ldexp_f32 v42, v42, v82
	v_cmp_ngt_f32_e32 vcc_lo, 0xc2ce8ed0, v27
	v_exp_f32_e32 v44, v44
	v_exp_f32_e32 v48, v48
	v_cvt_i32_f32_e32 v86, v86
	v_cvt_i32_f32_e32 v94, v94
	v_dual_add_f32 v47, v47, v91 :: v_dual_cndmask_b32 v42, 0, v42
	v_ldexp_f32 v43, v43, v84
	v_cmp_ngt_f32_e32 vcc_lo, 0xc2ce8ed0, v37
	v_exp_f32_e32 v45, v45
	v_cvt_i32_f32_e32 v88, v88
	v_ldexp_f32 v44, v44, v86
	v_ldexp_f32 v48, v48, v94
	v_cndmask_b32_e32 v43, 0, v43, vcc_lo
	v_cmp_ngt_f32_e32 vcc_lo, 0xc2ce8ed0, v28
	v_add_f32_e32 v49, v49, v95
	v_ldexp_f32 v45, v45, v88
	v_exp_f32_e32 v47, v47
	v_cvt_i32_f32_e32 v92, v92
	v_cndmask_b32_e32 v44, 0, v44, vcc_lo
	v_cmp_ngt_f32_e32 vcc_lo, 0xc2ce8ed0, v38
	v_exp_f32_e32 v49, v49
	v_cvt_i32_f32_e32 v96, v96
	v_exp_f32_e32 v50, v50
	v_ldexp_f32 v47, v47, v92
	v_cndmask_b32_e32 v45, 0, v45, vcc_lo
	v_cmp_ngt_f32_e32 vcc_lo, 0xc2ce8ed0, v29
	v_cvt_i32_f32_e32 v98, v98
	v_ldexp_f32 v49, v49, v96
	v_cndmask_b32_e32 v46, 0, v46, vcc_lo
	v_cmp_ngt_f32_e32 vcc_lo, 0xc2ce8ed0, v39
	s_delay_alu instid0(VALU_DEP_4)
	v_ldexp_f32 v50, v50, v98
	v_cndmask_b32_e32 v47, 0, v47, vcc_lo
	v_cmp_ngt_f32_e32 vcc_lo, 0xc2ce8ed0, v30
	v_cndmask_b32_e32 v48, 0, v48, vcc_lo
	v_cmp_ngt_f32_e32 vcc_lo, 0xc2ce8ed0, v40
	;; [unrolled: 2-line block ×3, first 2 shown]
	v_cndmask_b32_e32 v50, 0, v50, vcc_lo
	v_cmp_nlt_f32_e32 vcc_lo, 0x42b17218, v0
	v_cndmask_b32_e32 v0, 0x7f800000, v2, vcc_lo
	v_cmp_nlt_f32_e32 vcc_lo, 0x42b17218, v24
	;; [unrolled: 2-line block ×5, first 2 shown]
	v_cvt_f16_f32_e32 v32, v0
	s_delay_alu instid0(VALU_DEP_3) | instskip(SKIP_2) | instid1(VALU_DEP_4)
	v_pk_fma_f32 v[14:15], v[14:15], v[0:1], v[2:3]
	v_cndmask_b32_e32 v4, 0x7f800000, v6, vcc_lo
	v_cmp_nlt_f32_e32 vcc_lo, 0x42b17218, v26
	v_and_b32_e32 v0, 0xffff, v32
	v_cndmask_b32_e32 v6, 0x7f800000, v7, vcc_lo
	v_cmp_nlt_f32_e32 vcc_lo, 0x42b17218, v33
	v_cvt_f16_f32_e32 v33, v1
	s_delay_alu instid0(VALU_DEP_4) | instskip(SKIP_2) | instid1(VALU_DEP_4)
	v_mul_u32_u24_e32 v0, 0x10001, v0
	v_cndmask_b32_e32 v5, 0x7f800000, v41, vcc_lo
	v_cmp_nlt_f32_e32 vcc_lo, 0x42b17218, v27
	v_and_b32_e32 v1, 0xffff, v33
	s_delay_alu instid0(VALU_DEP_4)
	v_pk_mul_f16 v68, v68, v0
	v_pk_mul_f16 v69, v69, v0
	v_cndmask_b32_e32 v7, 0x7f800000, v42, vcc_lo
	v_cmp_nlt_f32_e32 vcc_lo, 0x42b17218, v37
	v_cvt_f16_f32_e32 v37, v4
	v_mul_u32_u24_e32 v1, 0x10001, v1
	s_delay_alu instid0(VALU_DEP_4)
	v_pk_fma_f32 v[12:13], v[12:13], v[4:5], v[6:7]
	v_cndmask_b32_e32 v24, 0x7f800000, v43, vcc_lo
	v_cmp_nlt_f32_e32 vcc_lo, 0x42b17218, v28
	v_and_b32_e32 v2, 0xffff, v37
	v_pk_mul_f16 v66, v66, v1
	v_pk_mul_f16 v67, v67, v1
	v_cndmask_b32_e32 v26, 0x7f800000, v44, vcc_lo
	v_cmp_nlt_f32_e32 vcc_lo, 0x42b17218, v38
	v_cvt_f16_f32_e32 v38, v5
	v_mul_u32_u24_e32 v2, 0x10001, v2
	v_cndmask_b32_e32 v25, 0x7f800000, v45, vcc_lo
	v_cmp_nlt_f32_e32 vcc_lo, 0x42b17218, v29
	s_delay_alu instid0(VALU_DEP_4) | instskip(NEXT) | instid1(VALU_DEP_4)
	v_and_b32_e32 v3, 0xffff, v38
	v_pk_mul_f16 v65, v65, v2
	v_pk_mul_f16 v64, v64, v2
	v_cndmask_b32_e32 v27, 0x7f800000, v46, vcc_lo
	v_cmp_nlt_f32_e32 vcc_lo, 0x42b17218, v39
	v_cvt_f16_f32_e32 v39, v24
	v_mul_u32_u24_e32 v3, 0x10001, v3
	s_delay_alu instid0(VALU_DEP_4)
	v_pk_fma_f32 v[10:11], v[10:11], v[24:25], v[26:27]
	v_cndmask_b32_e32 v28, 0x7f800000, v47, vcc_lo
	v_cmp_nlt_f32_e32 vcc_lo, 0x42b17218, v30
	v_and_b32_e32 v4, 0xffff, v39
	v_pk_mul_f16 v63, v63, v3
	v_pk_mul_f16 v62, v62, v3
	v_cvt_f16_f32_e32 v41, v28
	v_cndmask_b32_e32 v30, 0x7f800000, v48, vcc_lo
	v_cmp_nlt_f32_e32 vcc_lo, 0x42b17218, v40
	v_cvt_f16_f32_e32 v40, v25
	v_mul_u32_u24_e32 v4, 0x10001, v4
	v_and_b32_e32 v6, 0xffff, v41
	v_cndmask_b32_e32 v29, 0x7f800000, v49, vcc_lo
	s_delay_alu instid0(VALU_DEP_4) | instskip(SKIP_1) | instid1(VALU_DEP_4)
	v_and_b32_e32 v5, 0xffff, v40
	v_cmp_nlt_f32_e32 vcc_lo, 0x42b17218, v31
	v_mul_u32_u24_e32 v6, 0x10001, v6
	v_pk_mul_f16 v60, v60, v4
	v_cvt_f16_f32_e32 v42, v29
	v_mul_u32_u24_e32 v5, 0x10001, v5
	v_cndmask_b32_e32 v31, 0x7f800000, v50, vcc_lo
	v_pk_mul_f16 v61, v61, v4
	v_pk_mul_f16 v56, v56, v6
	v_and_b32_e32 v7, 0xffff, v42
	v_pk_mul_f16 v58, v58, v5
	v_pk_mul_f16 v59, v59, v5
	;; [unrolled: 1-line block ×3, first 2 shown]
	v_pk_fma_f32 v[8:9], v[8:9], v[28:29], v[30:31]
	v_mul_u32_u24_e32 v7, 0x10001, v7
	s_delay_alu instid0(VALU_DEP_1)
	v_pk_mul_f16 v54, v54, v7
	v_pk_mul_f16 v55, v55, v7
	v_mov_b64_e32 v[0:1], v[16:17]
	v_mov_b64_e32 v[2:3], v[18:19]
	;; [unrolled: 1-line block ×4, first 2 shown]
.LBB0_20:
	s_mov_b32 s3, exec_lo
	v_cmpx_gt_i32_e64 s22, v36
	s_cbranch_execz .LBB0_55
; %bb.21:
	s_load_b32 s0, s[0:1], 0xd4
	v_mov_b32_e32 v16, 1.0
	s_wait_kmcnt 0x0
	s_cmp_lg_u32 s0, 1
	s_cselect_b32 s1, -1, 0
	s_cmp_eq_u32 s0, 1
	s_cselect_b32 s3, -1, 0
	s_and_b32 vcc_lo, exec_lo, s1
	s_cbranch_vccnz .LBB0_23
; %bb.22:
	v_div_scale_f32 v16, null, v14, v14, 1.0
	s_delay_alu instid0(VALU_DEP_1) | instskip(SKIP_1) | instid1(TRANS32_DEP_1)
	v_rcp_f32_e32 v17, v16
	v_nop
	v_fma_f32 v18, -v16, v17, 1.0
	s_delay_alu instid0(VALU_DEP_1) | instskip(SKIP_1) | instid1(VALU_DEP_1)
	v_fmac_f32_e32 v17, v18, v17
	v_div_scale_f32 v18, vcc_lo, 1.0, v14, 1.0
	v_mul_f32_e32 v19, v18, v17
	s_delay_alu instid0(VALU_DEP_1) | instskip(NEXT) | instid1(VALU_DEP_1)
	v_fma_f32 v20, -v16, v19, v18
	v_fmac_f32_e32 v19, v20, v17
	s_delay_alu instid0(VALU_DEP_1) | instskip(NEXT) | instid1(VALU_DEP_1)
	v_fma_f32 v16, -v16, v19, v18
	v_div_fmas_f32 v16, v16, v17, v19
	s_delay_alu instid0(VALU_DEP_1)
	v_div_fixup_f32 v16, v16, v14, 1.0
.LBB0_23:
	v_mad_u32 v17, s28, s22, v36
	s_delay_alu instid0(VALU_DEP_1) | instskip(NEXT) | instid1(VALU_DEP_1)
	v_mad_u32 v17, v17, s23, s10
	v_mul_lo_u32 v17, s0, v17
	s_delay_alu instid0(VALU_DEP_1)
	v_add_nc_u32_e32 v18, s31, v17
	s_and_saveexec_b32 s4, s2
	s_cbranch_execz .LBB0_25
; %bb.24:
	s_delay_alu instid0(VALU_DEP_1) | instskip(SKIP_4) | instid1(VALU_DEP_4)
	v_mad_u32 v22, 0x48, v18, v34
	v_dual_lshrrev_b32 v19, 16, v68 :: v_dual_lshrrev_b32 v25, 16, v69
	v_mov_b32_e32 v23, 0
	v_cvt_f32_f16_e32 v20, v68
	v_cvt_f32_f16_e32 v24, v69
	;; [unrolled: 1-line block ×4, first 2 shown]
	s_delay_alu instid0(VALU_DEP_2) | instskip(SKIP_1) | instid1(VALU_DEP_3)
	v_pk_mul_f32 v[20:21], v[16:17], v[20:21] op_sel_hi:[0,1]
	v_lshl_add_u64 v[26:27], v[22:23], 2, s[16:17]
	v_pk_mul_f32 v[22:23], v[16:17], v[24:25] op_sel_hi:[0,1]
	global_store_b128 v[26:27], v[20:23], off
.LBB0_25:
	s_wait_xcnt 0x0
	s_or_b32 exec_lo, exec_lo, s4
	v_cmp_eq_u32_e32 vcc_lo, 0, v35
	s_and_b32 s1, vcc_lo, s1
	s_delay_alu instid0(SALU_CYCLE_1)
	s_and_saveexec_b32 s4, s1
	s_cbranch_execz .LBB0_27
; %bb.26:
	v_dual_mov_b32 v20, v0 :: v_dual_mov_b32 v21, v14
	global_store_b64 v18, v[20:21], s[18:19] scale_offset
.LBB0_27:
	s_wait_xcnt 0x0
	s_or_b32 exec_lo, exec_lo, s4
	v_cndmask_b32_e64 v16, 0, 1, s3
	v_mov_b32_e32 v0, 1.0
	s_and_not1_b32 vcc_lo, exec_lo, s3
	s_cbranch_vccz .LBB0_56
; %bb.28:
	v_add_nc_u32_e32 v17, s0, v17
	s_delay_alu instid0(VALU_DEP_1)
	v_add_nc_u32_e32 v18, s31, v17
	s_and_saveexec_b32 s3, s2
	s_cbranch_execnz .LBB0_57
.LBB0_29:
	s_or_b32 exec_lo, exec_lo, s3
	s_and_saveexec_b32 s3, s1
	s_cbranch_execz .LBB0_31
.LBB0_30:
	v_mov_b32_e32 v14, v1
	global_store_b64 v18, v[14:15], s[18:19] scale_offset
.LBB0_31:
	s_wait_xcnt 0x0
	s_or_b32 exec_lo, exec_lo, s3
	v_cmp_ne_u32_e32 vcc_lo, 1, v16
	v_mov_b32_e32 v0, 1.0
	s_cbranch_vccz .LBB0_58
; %bb.32:
	v_add_nc_u32_e32 v1, s0, v17
	s_delay_alu instid0(VALU_DEP_1)
	v_add_nc_u32_e32 v14, s31, v1
	s_and_saveexec_b32 s3, s2
	s_cbranch_execnz .LBB0_59
.LBB0_33:
	s_or_b32 exec_lo, exec_lo, s3
	s_and_saveexec_b32 s3, s1
	s_cbranch_execz .LBB0_35
.LBB0_34:
	v_dual_mov_b32 v18, v2 :: v_dual_mov_b32 v19, v12
	global_store_b64 v14, v[18:19], s[18:19] scale_offset
.LBB0_35:
	s_wait_xcnt 0x0
	s_or_b32 exec_lo, exec_lo, s3
	v_cmp_ne_u32_e32 vcc_lo, 1, v16
	v_mov_b32_e32 v0, 1.0
	s_cbranch_vccz .LBB0_60
; %bb.36:
	v_add_nc_u32_e32 v1, s0, v1
	s_delay_alu instid0(VALU_DEP_1)
	v_add_nc_u32_e32 v2, s31, v1
	s_and_saveexec_b32 s3, s2
	s_cbranch_execnz .LBB0_61
.LBB0_37:
	s_or_b32 exec_lo, exec_lo, s3
	s_and_saveexec_b32 s3, s1
	s_cbranch_execz .LBB0_39
.LBB0_38:
	v_mov_b32_e32 v12, v3
	global_store_b64 v2, v[12:13], s[18:19] scale_offset
.LBB0_39:
	s_wait_xcnt 0x0
	s_or_b32 exec_lo, exec_lo, s3
	v_cmp_ne_u32_e32 vcc_lo, 1, v16
	v_mov_b32_e32 v0, 1.0
	s_cbranch_vccz .LBB0_62
; %bb.40:
	v_add_nc_u32_e32 v1, s0, v1
	s_delay_alu instid0(VALU_DEP_1)
	v_add_nc_u32_e32 v2, s31, v1
	s_and_saveexec_b32 s3, s2
	s_cbranch_execnz .LBB0_63
.LBB0_41:
	s_or_b32 exec_lo, exec_lo, s3
	s_and_saveexec_b32 s3, s1
	s_cbranch_execz .LBB0_43
.LBB0_42:
	v_dual_mov_b32 v12, v4 :: v_dual_mov_b32 v13, v10
	global_store_b64 v2, v[12:13], s[18:19] scale_offset
.LBB0_43:
	s_wait_xcnt 0x0
	s_or_b32 exec_lo, exec_lo, s3
	v_cmp_ne_u32_e32 vcc_lo, 1, v16
	v_mov_b32_e32 v0, 1.0
	s_cbranch_vccz .LBB0_64
; %bb.44:
	v_add_nc_u32_e32 v1, s0, v1
	s_delay_alu instid0(VALU_DEP_1)
	v_add_nc_u32_e32 v2, s31, v1
	s_and_saveexec_b32 s3, s2
	s_cbranch_execnz .LBB0_65
.LBB0_45:
	s_or_b32 exec_lo, exec_lo, s3
	s_and_saveexec_b32 s3, s1
	s_cbranch_execz .LBB0_47
.LBB0_46:
	v_mov_b32_e32 v10, v5
	global_store_b64 v2, v[10:11], s[18:19] scale_offset
.LBB0_47:
	s_wait_xcnt 0x0
	s_or_b32 exec_lo, exec_lo, s3
	v_cmp_ne_u32_e32 vcc_lo, 1, v16
	v_mov_b32_e32 v0, 1.0
	s_cbranch_vccz .LBB0_66
; %bb.48:
	v_add_nc_u32_e32 v1, s0, v1
	s_delay_alu instid0(VALU_DEP_1)
	v_add_nc_u32_e32 v2, s31, v1
	s_and_saveexec_b32 s3, s2
	s_cbranch_execnz .LBB0_67
.LBB0_49:
	s_or_b32 exec_lo, exec_lo, s3
	s_and_saveexec_b32 s3, s1
	s_cbranch_execz .LBB0_51
.LBB0_50:
	v_dual_mov_b32 v4, v6 :: v_dual_mov_b32 v5, v8
	global_store_b64 v2, v[4:5], s[18:19] scale_offset
.LBB0_51:
	s_wait_xcnt 0x0
	s_or_b32 exec_lo, exec_lo, s3
	v_cmp_ne_u32_e32 vcc_lo, 1, v16
	v_mov_b32_e32 v0, 1.0
	s_cbranch_vccz .LBB0_68
; %bb.52:
	v_add3_u32 v1, s31, s0, v1
	s_and_saveexec_b32 s0, s2
	s_cbranch_execnz .LBB0_69
.LBB0_53:
	s_or_b32 exec_lo, exec_lo, s0
	s_delay_alu instid0(SALU_CYCLE_1)
	s_and_b32 exec_lo, exec_lo, s1
	s_cbranch_execz .LBB0_55
.LBB0_54:
	v_mov_b32_e32 v8, v7
	global_store_b64 v1, v[8:9], s[18:19] scale_offset
.LBB0_55:
	s_sendmsg sendmsg(MSG_DEALLOC_VGPRS)
	s_endpgm
.LBB0_56:
	v_div_scale_f32 v0, null, v15, v15, 1.0
	s_delay_alu instid0(VALU_DEP_1) | instskip(SKIP_1) | instid1(TRANS32_DEP_1)
	v_rcp_f32_e32 v14, v0
	v_nop
	v_fma_f32 v18, -v0, v14, 1.0
	s_delay_alu instid0(VALU_DEP_1) | instskip(SKIP_1) | instid1(VALU_DEP_1)
	v_fmac_f32_e32 v14, v18, v14
	v_div_scale_f32 v18, vcc_lo, 1.0, v15, 1.0
	v_mul_f32_e32 v19, v18, v14
	s_delay_alu instid0(VALU_DEP_1) | instskip(NEXT) | instid1(VALU_DEP_1)
	v_fma_f32 v20, -v0, v19, v18
	v_fmac_f32_e32 v19, v20, v14
	s_delay_alu instid0(VALU_DEP_1) | instskip(NEXT) | instid1(VALU_DEP_1)
	v_fma_f32 v0, -v0, v19, v18
	v_div_fmas_f32 v0, v0, v14, v19
	s_delay_alu instid0(VALU_DEP_1) | instskip(SKIP_1) | instid1(VALU_DEP_1)
	v_div_fixup_f32 v0, v0, v15, 1.0
	v_add_nc_u32_e32 v17, s0, v17
	v_add_nc_u32_e32 v18, s31, v17
	s_and_saveexec_b32 s3, s2
	s_cbranch_execz .LBB0_29
.LBB0_57:
	s_delay_alu instid0(VALU_DEP_1) | instskip(SKIP_4) | instid1(VALU_DEP_4)
	v_mad_u32 v22, 0x48, v18, v34
	v_dual_lshrrev_b32 v14, 16, v66 :: v_dual_lshrrev_b32 v19, 16, v67
	v_mov_b32_e32 v23, 0
	v_cvt_f32_f16_e32 v20, v66
	v_cvt_f32_f16_e32 v24, v67
	;; [unrolled: 1-line block ×4, first 2 shown]
	s_delay_alu instid0(VALU_DEP_2) | instskip(SKIP_1) | instid1(VALU_DEP_3)
	v_pk_mul_f32 v[20:21], v[0:1], v[20:21] op_sel_hi:[0,1]
	v_lshl_add_u64 v[26:27], v[22:23], 2, s[16:17]
	v_pk_mul_f32 v[22:23], v[0:1], v[24:25] op_sel_hi:[0,1]
	global_store_b128 v[26:27], v[20:23], off
	s_wait_xcnt 0x0
	s_or_b32 exec_lo, exec_lo, s3
	s_and_saveexec_b32 s3, s1
	s_cbranch_execnz .LBB0_30
	s_branch .LBB0_31
.LBB0_58:
	v_div_scale_f32 v0, null, v12, v12, 1.0
	s_delay_alu instid0(VALU_DEP_1) | instskip(SKIP_1) | instid1(TRANS32_DEP_1)
	v_rcp_f32_e32 v1, v0
	v_nop
	v_fma_f32 v14, -v0, v1, 1.0
	s_delay_alu instid0(VALU_DEP_1) | instskip(SKIP_1) | instid1(VALU_DEP_1)
	v_fmac_f32_e32 v1, v14, v1
	v_div_scale_f32 v14, vcc_lo, 1.0, v12, 1.0
	v_mul_f32_e32 v15, v14, v1
	s_delay_alu instid0(VALU_DEP_1) | instskip(NEXT) | instid1(VALU_DEP_1)
	v_fma_f32 v18, -v0, v15, v14
	v_fmac_f32_e32 v15, v18, v1
	s_delay_alu instid0(VALU_DEP_1) | instskip(NEXT) | instid1(VALU_DEP_1)
	v_fma_f32 v0, -v0, v15, v14
	v_div_fmas_f32 v0, v0, v1, v15
	s_delay_alu instid0(VALU_DEP_1) | instskip(SKIP_1) | instid1(VALU_DEP_1)
	v_div_fixup_f32 v0, v0, v12, 1.0
	v_add_nc_u32_e32 v1, s0, v17
	v_add_nc_u32_e32 v14, s31, v1
	s_and_saveexec_b32 s3, s2
	s_cbranch_execz .LBB0_33
.LBB0_59:
	s_delay_alu instid0(VALU_DEP_1) | instskip(SKIP_4) | instid1(VALU_DEP_4)
	v_mad_u32 v20, 0x48, v14, v34
	v_dual_lshrrev_b32 v15, 16, v65 :: v_dual_lshrrev_b32 v17, 16, v64
	v_mov_b32_e32 v21, 0
	v_cvt_f32_f16_e32 v18, v65
	v_cvt_f32_f16_e32 v22, v64
	;; [unrolled: 1-line block ×4, first 2 shown]
	s_delay_alu instid0(VALU_DEP_2) | instskip(SKIP_1) | instid1(VALU_DEP_3)
	v_pk_mul_f32 v[18:19], v[0:1], v[18:19] op_sel_hi:[0,1]
	v_lshl_add_u64 v[24:25], v[20:21], 2, s[16:17]
	v_pk_mul_f32 v[20:21], v[0:1], v[22:23] op_sel_hi:[0,1]
	global_store_b128 v[24:25], v[18:21], off
	s_wait_xcnt 0x0
	s_or_b32 exec_lo, exec_lo, s3
	s_and_saveexec_b32 s3, s1
	s_cbranch_execnz .LBB0_34
	s_branch .LBB0_35
.LBB0_60:
	v_div_scale_f32 v0, null, v13, v13, 1.0
	s_delay_alu instid0(VALU_DEP_1) | instskip(SKIP_1) | instid1(TRANS32_DEP_1)
	v_rcp_f32_e32 v2, v0
	v_nop
	v_fma_f32 v12, -v0, v2, 1.0
	s_delay_alu instid0(VALU_DEP_1) | instskip(SKIP_1) | instid1(VALU_DEP_1)
	v_fmac_f32_e32 v2, v12, v2
	v_div_scale_f32 v12, vcc_lo, 1.0, v13, 1.0
	v_mul_f32_e32 v14, v12, v2
	s_delay_alu instid0(VALU_DEP_1) | instskip(NEXT) | instid1(VALU_DEP_1)
	v_fma_f32 v15, -v0, v14, v12
	v_fmac_f32_e32 v14, v15, v2
	s_delay_alu instid0(VALU_DEP_1) | instskip(NEXT) | instid1(VALU_DEP_1)
	v_fma_f32 v0, -v0, v14, v12
	v_div_fmas_f32 v0, v0, v2, v14
	s_delay_alu instid0(VALU_DEP_1) | instskip(SKIP_1) | instid1(VALU_DEP_1)
	v_div_fixup_f32 v0, v0, v13, 1.0
	v_add_nc_u32_e32 v1, s0, v1
	v_add_nc_u32_e32 v2, s31, v1
	s_and_saveexec_b32 s3, s2
	s_cbranch_execz .LBB0_37
.LBB0_61:
	s_delay_alu instid0(VALU_DEP_1) | instskip(SKIP_4) | instid1(VALU_DEP_4)
	v_mad_u32 v14, 0x48, v2, v34
	v_dual_lshrrev_b32 v12, 16, v63 :: v_dual_lshrrev_b32 v17, 16, v62
	v_mov_b32_e32 v15, 0
	v_cvt_f32_f16_e32 v18, v63
	v_cvt_f32_f16_e32 v20, v62
	;; [unrolled: 1-line block ×4, first 2 shown]
	s_delay_alu instid0(VALU_DEP_2) | instskip(SKIP_1) | instid1(VALU_DEP_3)
	v_pk_mul_f32 v[18:19], v[0:1], v[18:19] op_sel_hi:[0,1]
	v_lshl_add_u64 v[14:15], v[14:15], 2, s[16:17]
	v_pk_mul_f32 v[20:21], v[0:1], v[20:21] op_sel_hi:[0,1]
	global_store_b128 v[14:15], v[18:21], off
	s_wait_xcnt 0x0
	s_or_b32 exec_lo, exec_lo, s3
	s_and_saveexec_b32 s3, s1
	s_cbranch_execnz .LBB0_38
	s_branch .LBB0_39
.LBB0_62:
	v_div_scale_f32 v0, null, v10, v10, 1.0
	s_delay_alu instid0(VALU_DEP_1) | instskip(SKIP_1) | instid1(TRANS32_DEP_1)
	v_rcp_f32_e32 v2, v0
	v_nop
	v_fma_f32 v3, -v0, v2, 1.0
	s_delay_alu instid0(VALU_DEP_1) | instskip(SKIP_1) | instid1(VALU_DEP_1)
	v_fmac_f32_e32 v2, v3, v2
	v_div_scale_f32 v3, vcc_lo, 1.0, v10, 1.0
	v_mul_f32_e32 v12, v3, v2
	s_delay_alu instid0(VALU_DEP_1) | instskip(NEXT) | instid1(VALU_DEP_1)
	v_fma_f32 v13, -v0, v12, v3
	v_fmac_f32_e32 v12, v13, v2
	s_delay_alu instid0(VALU_DEP_1) | instskip(NEXT) | instid1(VALU_DEP_1)
	v_fma_f32 v0, -v0, v12, v3
	v_div_fmas_f32 v0, v0, v2, v12
	s_delay_alu instid0(VALU_DEP_1) | instskip(SKIP_1) | instid1(VALU_DEP_1)
	v_div_fixup_f32 v0, v0, v10, 1.0
	v_add_nc_u32_e32 v1, s0, v1
	v_add_nc_u32_e32 v2, s31, v1
	s_and_saveexec_b32 s3, s2
	s_cbranch_execz .LBB0_41
.LBB0_63:
	s_delay_alu instid0(VALU_DEP_1) | instskip(SKIP_4) | instid1(VALU_DEP_4)
	v_mad_u32 v14, 0x48, v2, v34
	v_dual_lshrrev_b32 v3, 16, v60 :: v_dual_lshrrev_b32 v17, 16, v61
	v_mov_b32_e32 v15, 0
	v_cvt_f32_f16_e32 v12, v60
	v_cvt_f32_f16_e32 v18, v61
	;; [unrolled: 1-line block ×4, first 2 shown]
	s_delay_alu instid0(VALU_DEP_2) | instskip(SKIP_1) | instid1(VALU_DEP_3)
	v_pk_mul_f32 v[12:13], v[0:1], v[12:13] op_sel_hi:[0,1]
	v_lshl_add_u64 v[20:21], v[14:15], 2, s[16:17]
	v_pk_mul_f32 v[14:15], v[0:1], v[18:19] op_sel_hi:[0,1]
	global_store_b128 v[20:21], v[12:15], off
	s_wait_xcnt 0x0
	s_or_b32 exec_lo, exec_lo, s3
	s_and_saveexec_b32 s3, s1
	s_cbranch_execnz .LBB0_42
	s_branch .LBB0_43
.LBB0_64:
	v_div_scale_f32 v0, null, v11, v11, 1.0
	s_delay_alu instid0(VALU_DEP_1) | instskip(SKIP_1) | instid1(TRANS32_DEP_1)
	v_rcp_f32_e32 v2, v0
	v_nop
	v_fma_f32 v3, -v0, v2, 1.0
	s_delay_alu instid0(VALU_DEP_1) | instskip(SKIP_1) | instid1(VALU_DEP_1)
	v_fmac_f32_e32 v2, v3, v2
	v_div_scale_f32 v3, vcc_lo, 1.0, v11, 1.0
	v_mul_f32_e32 v4, v3, v2
	s_delay_alu instid0(VALU_DEP_1) | instskip(NEXT) | instid1(VALU_DEP_1)
	v_fma_f32 v10, -v0, v4, v3
	v_fmac_f32_e32 v4, v10, v2
	s_delay_alu instid0(VALU_DEP_1) | instskip(NEXT) | instid1(VALU_DEP_1)
	v_fma_f32 v0, -v0, v4, v3
	v_div_fmas_f32 v0, v0, v2, v4
	s_delay_alu instid0(VALU_DEP_1) | instskip(SKIP_1) | instid1(VALU_DEP_1)
	v_div_fixup_f32 v0, v0, v11, 1.0
	v_add_nc_u32_e32 v1, s0, v1
	v_add_nc_u32_e32 v2, s31, v1
	s_and_saveexec_b32 s3, s2
	s_cbranch_execz .LBB0_45
.LBB0_65:
	s_delay_alu instid0(VALU_DEP_1) | instskip(SKIP_4) | instid1(VALU_DEP_4)
	v_mad_u32 v14, 0x48, v2, v34
	v_dual_lshrrev_b32 v3, 16, v58 :: v_dual_lshrrev_b32 v4, 16, v59
	v_mov_b32_e32 v15, 0
	v_cvt_f32_f16_e32 v12, v58
	v_cvt_f32_f16_e32 v18, v59
	;; [unrolled: 1-line block ×4, first 2 shown]
	s_delay_alu instid0(VALU_DEP_2) | instskip(SKIP_1) | instid1(VALU_DEP_3)
	v_pk_mul_f32 v[12:13], v[0:1], v[12:13] op_sel_hi:[0,1]
	v_lshl_add_u64 v[20:21], v[14:15], 2, s[16:17]
	v_pk_mul_f32 v[14:15], v[0:1], v[18:19] op_sel_hi:[0,1]
	global_store_b128 v[20:21], v[12:15], off
	s_wait_xcnt 0x0
	s_or_b32 exec_lo, exec_lo, s3
	s_and_saveexec_b32 s3, s1
	s_cbranch_execnz .LBB0_46
	s_branch .LBB0_47
.LBB0_66:
	v_div_scale_f32 v0, null, v8, v8, 1.0
	s_delay_alu instid0(VALU_DEP_1) | instskip(SKIP_1) | instid1(TRANS32_DEP_1)
	v_rcp_f32_e32 v2, v0
	v_nop
	v_fma_f32 v3, -v0, v2, 1.0
	s_delay_alu instid0(VALU_DEP_1) | instskip(SKIP_1) | instid1(VALU_DEP_1)
	v_fmac_f32_e32 v2, v3, v2
	v_div_scale_f32 v3, vcc_lo, 1.0, v8, 1.0
	v_mul_f32_e32 v4, v3, v2
	s_delay_alu instid0(VALU_DEP_1) | instskip(NEXT) | instid1(VALU_DEP_1)
	v_fma_f32 v5, -v0, v4, v3
	v_fmac_f32_e32 v4, v5, v2
	s_delay_alu instid0(VALU_DEP_1) | instskip(NEXT) | instid1(VALU_DEP_1)
	v_fma_f32 v0, -v0, v4, v3
	v_div_fmas_f32 v0, v0, v2, v4
	s_delay_alu instid0(VALU_DEP_1) | instskip(SKIP_1) | instid1(VALU_DEP_1)
	v_div_fixup_f32 v0, v0, v8, 1.0
	v_add_nc_u32_e32 v1, s0, v1
	v_add_nc_u32_e32 v2, s31, v1
	s_and_saveexec_b32 s3, s2
	s_cbranch_execz .LBB0_49
.LBB0_67:
	s_delay_alu instid0(VALU_DEP_1) | instskip(SKIP_4) | instid1(VALU_DEP_4)
	v_mad_u32 v4, 0x48, v2, v34
	v_dual_lshrrev_b32 v3, 16, v56 :: v_dual_lshrrev_b32 v13, 16, v57
	v_mov_b32_e32 v5, 0
	v_cvt_f32_f16_e32 v10, v56
	v_cvt_f32_f16_e32 v12, v57
	;; [unrolled: 1-line block ×4, first 2 shown]
	s_delay_alu instid0(VALU_DEP_2) | instskip(SKIP_1) | instid1(VALU_DEP_3)
	v_pk_mul_f32 v[10:11], v[0:1], v[10:11] op_sel_hi:[0,1]
	v_lshl_add_u64 v[4:5], v[4:5], 2, s[16:17]
	v_pk_mul_f32 v[12:13], v[0:1], v[12:13] op_sel_hi:[0,1]
	global_store_b128 v[4:5], v[10:13], off
	s_wait_xcnt 0x0
	s_or_b32 exec_lo, exec_lo, s3
	s_and_saveexec_b32 s3, s1
	s_cbranch_execnz .LBB0_50
	s_branch .LBB0_51
.LBB0_68:
	v_div_scale_f32 v0, null, v9, v9, 1.0
	s_delay_alu instid0(VALU_DEP_1) | instskip(SKIP_1) | instid1(TRANS32_DEP_1)
	v_rcp_f32_e32 v2, v0
	v_nop
	v_fma_f32 v3, -v0, v2, 1.0
	s_delay_alu instid0(VALU_DEP_1) | instskip(SKIP_1) | instid1(VALU_DEP_1)
	v_fmac_f32_e32 v2, v3, v2
	v_div_scale_f32 v3, vcc_lo, 1.0, v9, 1.0
	v_mul_f32_e32 v4, v3, v2
	s_delay_alu instid0(VALU_DEP_1) | instskip(NEXT) | instid1(VALU_DEP_1)
	v_fma_f32 v5, -v0, v4, v3
	v_fmac_f32_e32 v4, v5, v2
	s_delay_alu instid0(VALU_DEP_1) | instskip(NEXT) | instid1(VALU_DEP_1)
	v_fma_f32 v0, -v0, v4, v3
	v_div_fmas_f32 v0, v0, v2, v4
	s_delay_alu instid0(VALU_DEP_1)
	v_div_fixup_f32 v0, v0, v9, 1.0
	v_add3_u32 v1, s31, s0, v1
	s_and_saveexec_b32 s0, s2
	s_cbranch_execz .LBB0_53
.LBB0_69:
	s_delay_alu instid0(VALU_DEP_1) | instskip(SKIP_4) | instid1(VALU_DEP_4)
	v_mad_u32 v4, 0x48, v1, v34
	v_dual_lshrrev_b32 v3, 16, v54 :: v_dual_lshrrev_b32 v6, 16, v55
	v_mov_b32_e32 v5, 0
	v_cvt_f32_f16_e32 v2, v54
	v_cvt_f32_f16_e32 v10, v55
	v_cvt_f32_f16_e32 v3, v3
	v_cvt_f32_f16_e32 v11, v6
	s_delay_alu instid0(VALU_DEP_2) | instskip(SKIP_1) | instid1(VALU_DEP_3)
	v_pk_mul_f32 v[2:3], v[0:1], v[2:3] op_sel_hi:[0,1]
	v_lshl_add_u64 v[12:13], v[4:5], 2, s[16:17]
	v_pk_mul_f32 v[4:5], v[0:1], v[10:11] op_sel_hi:[0,1]
	global_store_b128 v[12:13], v[2:5], off
	s_wait_xcnt 0x0
	s_or_b32 exec_lo, exec_lo, s0
	s_delay_alu instid0(SALU_CYCLE_1)
	s_and_b32 exec_lo, exec_lo, s1
	s_cbranch_execnz .LBB0_54
	s_branch .LBB0_55
	.section	.rodata,"a",@progbits
	.p2align	6, 0x0
	.amdhsa_kernel _ZL15flash_attn_tileILi72ELi72ELi8ELi8ELb0EEvPKcS1_S1_S1_S1_PKiPfP15HIP_vector_typeIfLj2EEffffjfiS5_IjLj3EEiiiiiiiiiiiliiliiiiil
		.amdhsa_group_segment_fixed_size 18656
		.amdhsa_private_segment_fixed_size 0
		.amdhsa_kernarg_size 464
		.amdhsa_user_sgpr_count 2
		.amdhsa_user_sgpr_dispatch_ptr 0
		.amdhsa_user_sgpr_queue_ptr 0
		.amdhsa_user_sgpr_kernarg_segment_ptr 1
		.amdhsa_user_sgpr_dispatch_id 0
		.amdhsa_user_sgpr_kernarg_preload_length 0
		.amdhsa_user_sgpr_kernarg_preload_offset 0
		.amdhsa_user_sgpr_private_segment_size 0
		.amdhsa_wavefront_size32 1
		.amdhsa_uses_dynamic_stack 0
		.amdhsa_enable_private_segment 0
		.amdhsa_system_sgpr_workgroup_id_x 1
		.amdhsa_system_sgpr_workgroup_id_y 1
		.amdhsa_system_sgpr_workgroup_id_z 1
		.amdhsa_system_sgpr_workgroup_info 0
		.amdhsa_system_vgpr_workitem_id 1
		.amdhsa_next_free_vgpr 138
		.amdhsa_next_free_sgpr 43
		.amdhsa_named_barrier_count 0
		.amdhsa_reserve_vcc 1
		.amdhsa_float_round_mode_32 0
		.amdhsa_float_round_mode_16_64 0
		.amdhsa_float_denorm_mode_32 3
		.amdhsa_float_denorm_mode_16_64 3
		.amdhsa_fp16_overflow 0
		.amdhsa_memory_ordered 1
		.amdhsa_forward_progress 1
		.amdhsa_inst_pref_size 162
		.amdhsa_round_robin_scheduling 0
		.amdhsa_exception_fp_ieee_invalid_op 0
		.amdhsa_exception_fp_denorm_src 0
		.amdhsa_exception_fp_ieee_div_zero 0
		.amdhsa_exception_fp_ieee_overflow 0
		.amdhsa_exception_fp_ieee_underflow 0
		.amdhsa_exception_fp_ieee_inexact 0
		.amdhsa_exception_int_div_zero 0
	.end_amdhsa_kernel
	.section	.text._ZL15flash_attn_tileILi72ELi72ELi8ELi8ELb0EEvPKcS1_S1_S1_S1_PKiPfP15HIP_vector_typeIfLj2EEffffjfiS5_IjLj3EEiiiiiiiiiiiliiliiiiil,"axG",@progbits,_ZL15flash_attn_tileILi72ELi72ELi8ELi8ELb0EEvPKcS1_S1_S1_S1_PKiPfP15HIP_vector_typeIfLj2EEffffjfiS5_IjLj3EEiiiiiiiiiiiliiliiiiil,comdat
.Lfunc_end0:
	.size	_ZL15flash_attn_tileILi72ELi72ELi8ELi8ELb0EEvPKcS1_S1_S1_S1_PKiPfP15HIP_vector_typeIfLj2EEffffjfiS5_IjLj3EEiiiiiiiiiiiliiliiiiil, .Lfunc_end0-_ZL15flash_attn_tileILi72ELi72ELi8ELi8ELb0EEvPKcS1_S1_S1_S1_PKiPfP15HIP_vector_typeIfLj2EEffffjfiS5_IjLj3EEiiiiiiiiiiiliiliiiiil
                                        ; -- End function
	.set _ZL15flash_attn_tileILi72ELi72ELi8ELi8ELb0EEvPKcS1_S1_S1_S1_PKiPfP15HIP_vector_typeIfLj2EEffffjfiS5_IjLj3EEiiiiiiiiiiiliiliiiiil.num_vgpr, 138
	.set _ZL15flash_attn_tileILi72ELi72ELi8ELi8ELb0EEvPKcS1_S1_S1_S1_PKiPfP15HIP_vector_typeIfLj2EEffffjfiS5_IjLj3EEiiiiiiiiiiiliiliiiiil.num_agpr, 0
	.set _ZL15flash_attn_tileILi72ELi72ELi8ELi8ELb0EEvPKcS1_S1_S1_S1_PKiPfP15HIP_vector_typeIfLj2EEffffjfiS5_IjLj3EEiiiiiiiiiiiliiliiiiil.numbered_sgpr, 43
	.set _ZL15flash_attn_tileILi72ELi72ELi8ELi8ELb0EEvPKcS1_S1_S1_S1_PKiPfP15HIP_vector_typeIfLj2EEffffjfiS5_IjLj3EEiiiiiiiiiiiliiliiiiil.num_named_barrier, 0
	.set _ZL15flash_attn_tileILi72ELi72ELi8ELi8ELb0EEvPKcS1_S1_S1_S1_PKiPfP15HIP_vector_typeIfLj2EEffffjfiS5_IjLj3EEiiiiiiiiiiiliiliiiiil.private_seg_size, 0
	.set _ZL15flash_attn_tileILi72ELi72ELi8ELi8ELb0EEvPKcS1_S1_S1_S1_PKiPfP15HIP_vector_typeIfLj2EEffffjfiS5_IjLj3EEiiiiiiiiiiiliiliiiiil.uses_vcc, 1
	.set _ZL15flash_attn_tileILi72ELi72ELi8ELi8ELb0EEvPKcS1_S1_S1_S1_PKiPfP15HIP_vector_typeIfLj2EEffffjfiS5_IjLj3EEiiiiiiiiiiiliiliiiiil.uses_flat_scratch, 0
	.set _ZL15flash_attn_tileILi72ELi72ELi8ELi8ELb0EEvPKcS1_S1_S1_S1_PKiPfP15HIP_vector_typeIfLj2EEffffjfiS5_IjLj3EEiiiiiiiiiiiliiliiiiil.has_dyn_sized_stack, 0
	.set _ZL15flash_attn_tileILi72ELi72ELi8ELi8ELb0EEvPKcS1_S1_S1_S1_PKiPfP15HIP_vector_typeIfLj2EEffffjfiS5_IjLj3EEiiiiiiiiiiiliiliiiiil.has_recursion, 0
	.set _ZL15flash_attn_tileILi72ELi72ELi8ELi8ELb0EEvPKcS1_S1_S1_S1_PKiPfP15HIP_vector_typeIfLj2EEffffjfiS5_IjLj3EEiiiiiiiiiiiliiliiiiil.has_indirect_call, 0
	.section	.AMDGPU.csdata,"",@progbits
; Kernel info:
; codeLenInByte = 20728
; TotalNumSgprs: 45
; NumVgprs: 138
; ScratchSize: 0
; MemoryBound: 0
; FloatMode: 240
; IeeeMode: 1
; LDSByteSize: 18656 bytes/workgroup (compile time only)
; SGPRBlocks: 0
; VGPRBlocks: 8
; NumSGPRsForWavesPerEU: 45
; NumVGPRsForWavesPerEU: 138
; NamedBarCnt: 0
; Occupancy: 7
; WaveLimiterHint : 1
; COMPUTE_PGM_RSRC2:SCRATCH_EN: 0
; COMPUTE_PGM_RSRC2:USER_SGPR: 2
; COMPUTE_PGM_RSRC2:TRAP_HANDLER: 0
; COMPUTE_PGM_RSRC2:TGID_X_EN: 1
; COMPUTE_PGM_RSRC2:TGID_Y_EN: 1
; COMPUTE_PGM_RSRC2:TGID_Z_EN: 1
; COMPUTE_PGM_RSRC2:TIDIG_COMP_CNT: 1
	.section	.text._ZL25flash_attn_mask_to_KV_maxILi8EEvPK7__half2Piiii,"axG",@progbits,_ZL25flash_attn_mask_to_KV_maxILi8EEvPK7__half2Piiii,comdat
	.globl	_ZL25flash_attn_mask_to_KV_maxILi8EEvPK7__half2Piiii ; -- Begin function _ZL25flash_attn_mask_to_KV_maxILi8EEvPK7__half2Piiii
	.p2align	8
	.type	_ZL25flash_attn_mask_to_KV_maxILi8EEvPK7__half2Piiii,@function
_ZL25flash_attn_mask_to_KV_maxILi8EEvPK7__half2Piiii: ; @_ZL25flash_attn_mask_to_KV_maxILi8EEvPK7__half2Piiii
; %bb.0:
	s_load_b128 s[4:7], s[0:1], 0x0
	s_mov_b32 s2, exec_lo
	v_cmpx_gt_u32_e32 32, v0
; %bb.1:
	v_dual_mov_b32 v2, 1 :: v_dual_lshlrev_b32 v1, 2, v0
	ds_store_b32 v1, v2
; %bb.2:
	s_or_b32 exec_lo, exec_lo, s2
	s_clause 0x1
	s_load_b96 s[8:10], s[0:1], 0x10
	s_load_b32 s11, s[0:1], 0x20
	s_wait_xcnt 0x0
	s_bfe_u32 s1, ttmp6, 0x4000c
	s_bfe_u32 s2, ttmp6, 0x40010
	s_add_co_i32 s1, s1, 1
	s_add_co_i32 s2, s2, 1
	s_and_b32 s0, ttmp6, 15
	s_bfe_u32 s3, ttmp6, 0x40004
	s_mul_i32 s1, ttmp9, s1
	s_mul_i32 s2, ttmp7, s2
	s_getreg_b32 s12, hwreg(HW_REG_IB_STS2, 6, 4)
	s_add_co_i32 s0, s0, s1
	s_add_co_i32 s3, s3, s2
	s_cmp_eq_u32 s12, 0
	v_dual_lshrrev_b32 v1, 3, v0 :: v_dual_bitop2_b32 v2, 31, v0 bitop3:0x40
	s_cselect_b32 s1, ttmp9, s0
	s_cselect_b32 s12, ttmp7, s3
	s_wait_dscnt 0x0
	s_barrier_signal -1
	s_wait_kmcnt 0x0
	s_mul_i32 s0, s1, s9
	s_mul_i32 s2, s10, s12
	s_lshl_b32 s0, s0, 3
	s_barrier_wait -1
	s_add_co_i32 s2, s2, s0
	v_cmp_eq_u32_e64 s0, 0, v2
	s_ashr_i32 s3, s2, 31
	v_lshlrev_b32_e32 v2, 2, v2
	s_lshl_b64 s[2:3], s[2:3], 2
	s_delay_alu instid0(SALU_CYCLE_1)
	s_add_nc_u64 s[2:3], s[4:5], s[2:3]
	s_lshl_b32 s5, s8, 8
	s_branch .LBB1_4
.LBB1_3:                                ;   in Loop: Header=BB1_4 Depth=1
	s_or_b32 exec_lo, exec_lo, s8
	s_wait_dscnt 0x0
	s_barrier_signal -1
	s_barrier_wait -1
	ds_load_b32 v3, v2
	s_wait_dscnt 0x0
	s_barrier_signal -1
	s_barrier_wait -1
	v_cmp_ne_u32_e32 vcc_lo, 0, v3
	s_cmp_lg_u32 vcc_lo, exec_lo
	s_cselect_b32 s8, -1, 0
	s_delay_alu instid0(SALU_CYCLE_1)
	s_and_b32 vcc_lo, exec_lo, s8
	s_cbranch_vccnz .LBB1_36
.LBB1_4:                                ; =>This Inner Loop Header: Depth=1
	s_mov_b32 s4, s5
	s_addk_co_i32 s5, 0xff00
	s_delay_alu instid0(SALU_CYCLE_1)
	s_cmp_lt_i32 s5, 0
	s_cbranch_scc1 .LBB1_35
; %bb.5:                                ;   in Loop: Header=BB1_4 Depth=1
	s_lshr_b32 s8, s5, 1
	s_delay_alu instid0(SALU_CYCLE_1) | instskip(SKIP_4) | instid1(VALU_DEP_2)
	v_add_nc_u32_e32 v3, s8, v0
	global_load_b32 v4, v3, s[2:3] scale_offset
	s_wait_loadcnt 0x0
	v_lshrrev_b32_e32 v5, 16, v4
	v_cmp_class_f16_e64 s8, v4, 0x204
	v_cmp_class_f16_e64 s10, v5, 0x204
	s_and_b32 s13, s8, s10
	s_mov_b32 s10, 0
	s_and_saveexec_b32 s8, s13
	s_cbranch_execz .LBB1_33
; %bb.6:                                ;   in Loop: Header=BB1_4 Depth=1
	v_add_nc_u32_e32 v3, s9, v3
	s_mov_b32 s13, 0
	global_load_b32 v4, v3, s[2:3] scale_offset
	s_wait_loadcnt 0x0
	v_cmp_class_f16_e64 s14, v4, 0x204
	s_and_saveexec_b32 s10, s14
	s_cbranch_execz .LBB1_32
; %bb.7:                                ;   in Loop: Header=BB1_4 Depth=1
	v_lshrrev_b32_e32 v4, 16, v4
	s_mov_b32 s14, 0
	s_delay_alu instid0(VALU_DEP_1)
	v_cmp_class_f16_e64 s15, v4, 0x204
	s_and_saveexec_b32 s13, s15
	s_cbranch_execz .LBB1_31
; %bb.8:                                ;   in Loop: Header=BB1_4 Depth=1
	v_add_nc_u32_e32 v3, s9, v3
	s_mov_b32 s15, 0
	global_load_b32 v4, v3, s[2:3] scale_offset
	s_wait_loadcnt 0x0
	v_cmp_class_f16_e64 s16, v4, 0x204
	s_and_saveexec_b32 s14, s16
	s_cbranch_execz .LBB1_30
; %bb.9:                                ;   in Loop: Header=BB1_4 Depth=1
	v_lshrrev_b32_e32 v4, 16, v4
	s_mov_b32 s16, 0
	s_delay_alu instid0(VALU_DEP_1)
	v_cmp_class_f16_e64 s17, v4, 0x204
	s_and_saveexec_b32 s15, s17
	s_cbranch_execz .LBB1_29
; %bb.10:                               ;   in Loop: Header=BB1_4 Depth=1
	v_add_nc_u32_e32 v3, s9, v3
	s_mov_b32 s17, 0
	global_load_b32 v4, v3, s[2:3] scale_offset
	s_wait_loadcnt 0x0
	v_cmp_class_f16_e64 s18, v4, 0x204
	s_and_saveexec_b32 s16, s18
	s_cbranch_execz .LBB1_28
; %bb.11:                               ;   in Loop: Header=BB1_4 Depth=1
	v_lshrrev_b32_e32 v4, 16, v4
	s_mov_b32 s18, 0
	s_delay_alu instid0(VALU_DEP_1)
	v_cmp_class_f16_e64 s19, v4, 0x204
	s_and_saveexec_b32 s17, s19
	s_cbranch_execz .LBB1_27
; %bb.12:                               ;   in Loop: Header=BB1_4 Depth=1
	v_add_nc_u32_e32 v3, s9, v3
	s_mov_b32 s19, 0
	global_load_b32 v4, v3, s[2:3] scale_offset
	s_wait_loadcnt 0x0
	v_cmp_class_f16_e64 s20, v4, 0x204
	s_and_saveexec_b32 s18, s20
	s_cbranch_execz .LBB1_26
; %bb.13:                               ;   in Loop: Header=BB1_4 Depth=1
	;; [unrolled: 15-line block ×4, first 2 shown]
	v_lshrrev_b32_e32 v4, 16, v4
	s_mov_b32 s24, 0
	s_delay_alu instid0(VALU_DEP_1)
	v_cmp_class_f16_e64 s25, v4, 0x204
	s_and_saveexec_b32 s23, s25
	s_cbranch_execz .LBB1_21
; %bb.18:                               ;   in Loop: Header=BB1_4 Depth=1
	v_add_nc_u32_e32 v3, s9, v3
	global_load_b32 v3, v3, s[2:3] scale_offset
	s_wait_loadcnt 0x0
	v_cmp_class_f16_e64 s26, v3, 0x204
	s_and_saveexec_b32 s25, s26
; %bb.19:                               ;   in Loop: Header=BB1_4 Depth=1
	v_lshrrev_b32_e32 v3, 16, v3
	s_delay_alu instid0(VALU_DEP_1)
	v_cmp_class_f16_e64 s24, v3, 0x204
	s_and_b32 s24, s24, exec_lo
; %bb.20:                               ;   in Loop: Header=BB1_4 Depth=1
	s_or_b32 exec_lo, exec_lo, s25
	s_delay_alu instid0(SALU_CYCLE_1)
	s_and_b32 s24, s24, exec_lo
.LBB1_21:                               ;   in Loop: Header=BB1_4 Depth=1
	s_or_b32 exec_lo, exec_lo, s23
	s_delay_alu instid0(SALU_CYCLE_1)
	s_and_b32 s23, s24, exec_lo
.LBB1_22:                               ;   in Loop: Header=BB1_4 Depth=1
	s_or_b32 exec_lo, exec_lo, s22
	s_delay_alu instid0(SALU_CYCLE_1)
	s_and_b32 s22, s23, exec_lo
.LBB1_23:                               ;   in Loop: Header=BB1_4 Depth=1
	s_or_b32 exec_lo, exec_lo, s21
	s_delay_alu instid0(SALU_CYCLE_1)
	s_and_b32 s21, s22, exec_lo
.LBB1_24:                               ;   in Loop: Header=BB1_4 Depth=1
	s_or_b32 exec_lo, exec_lo, s20
	s_delay_alu instid0(SALU_CYCLE_1)
	s_and_b32 s20, s21, exec_lo
.LBB1_25:                               ;   in Loop: Header=BB1_4 Depth=1
	s_or_b32 exec_lo, exec_lo, s19
	s_delay_alu instid0(SALU_CYCLE_1)
	s_and_b32 s19, s20, exec_lo
.LBB1_26:                               ;   in Loop: Header=BB1_4 Depth=1
	s_or_b32 exec_lo, exec_lo, s18
	s_delay_alu instid0(SALU_CYCLE_1)
	s_and_b32 s18, s19, exec_lo
.LBB1_27:                               ;   in Loop: Header=BB1_4 Depth=1
	s_or_b32 exec_lo, exec_lo, s17
	s_delay_alu instid0(SALU_CYCLE_1)
	s_and_b32 s17, s18, exec_lo
.LBB1_28:                               ;   in Loop: Header=BB1_4 Depth=1
	s_or_b32 exec_lo, exec_lo, s16
	s_delay_alu instid0(SALU_CYCLE_1)
	s_and_b32 s16, s17, exec_lo
.LBB1_29:                               ;   in Loop: Header=BB1_4 Depth=1
	s_or_b32 exec_lo, exec_lo, s15
	s_delay_alu instid0(SALU_CYCLE_1)
	s_and_b32 s15, s16, exec_lo
.LBB1_30:                               ;   in Loop: Header=BB1_4 Depth=1
	s_or_b32 exec_lo, exec_lo, s14
	s_delay_alu instid0(SALU_CYCLE_1)
	s_and_b32 s14, s15, exec_lo
.LBB1_31:                               ;   in Loop: Header=BB1_4 Depth=1
	s_or_b32 exec_lo, exec_lo, s13
	s_delay_alu instid0(SALU_CYCLE_1)
	s_and_b32 s13, s14, exec_lo
.LBB1_32:                               ;   in Loop: Header=BB1_4 Depth=1
	s_or_b32 exec_lo, exec_lo, s10
	s_delay_alu instid0(SALU_CYCLE_1)
	s_and_b32 s10, s13, exec_lo
.LBB1_33:                               ;   in Loop: Header=BB1_4 Depth=1
	s_or_b32 exec_lo, exec_lo, s8
	v_cndmask_b32_e64 v3, 0, 1, s10
	s_mov_b32 s13, exec_lo
	s_delay_alu instid0(VALU_DEP_1)
	v_cmp_ne_u32_e32 vcc_lo, 0, v3
	s_and_saveexec_b32 s8, s0
	s_cbranch_execz .LBB1_3
; %bb.34:                               ;   in Loop: Header=BB1_4 Depth=1
	s_cmp_eq_u32 vcc_lo, s13
	s_cselect_b32 s10, -1, 0
	s_delay_alu instid0(SALU_CYCLE_1)
	v_cndmask_b32_e64 v3, 0, 1, s10
	ds_store_b32 v1, v3
	s_branch .LBB1_3
.LBB1_35:                               ;   in Loop: Header=BB1_4 Depth=1
	s_cbranch_execz .LBB1_4
.LBB1_36:
	s_mov_b32 s0, exec_lo
	v_cmpx_eq_u32_e32 0, v0
	s_cbranch_execz .LBB1_38
; %bb.37:
	s_mul_i32 s0, s11, s12
	v_mov_b32_e32 v1, s4
	s_add_co_i32 s0, s0, s1
	s_delay_alu instid0(SALU_CYCLE_1)
	v_mov_b32_e32 v0, s0
	global_store_b32 v0, v1, s[6:7] scale_offset
.LBB1_38:
	s_endpgm
	.section	.rodata,"a",@progbits
	.p2align	6, 0x0
	.amdhsa_kernel _ZL25flash_attn_mask_to_KV_maxILi8EEvPK7__half2Piiii
		.amdhsa_group_segment_fixed_size 128
		.amdhsa_private_segment_fixed_size 0
		.amdhsa_kernarg_size 288
		.amdhsa_user_sgpr_count 2
		.amdhsa_user_sgpr_dispatch_ptr 0
		.amdhsa_user_sgpr_queue_ptr 0
		.amdhsa_user_sgpr_kernarg_segment_ptr 1
		.amdhsa_user_sgpr_dispatch_id 0
		.amdhsa_user_sgpr_kernarg_preload_length 0
		.amdhsa_user_sgpr_kernarg_preload_offset 0
		.amdhsa_user_sgpr_private_segment_size 0
		.amdhsa_wavefront_size32 1
		.amdhsa_uses_dynamic_stack 0
		.amdhsa_enable_private_segment 0
		.amdhsa_system_sgpr_workgroup_id_x 1
		.amdhsa_system_sgpr_workgroup_id_y 1
		.amdhsa_system_sgpr_workgroup_id_z 0
		.amdhsa_system_sgpr_workgroup_info 0
		.amdhsa_system_vgpr_workitem_id 0
		.amdhsa_next_free_vgpr 6
		.amdhsa_next_free_sgpr 27
		.amdhsa_named_barrier_count 0
		.amdhsa_reserve_vcc 1
		.amdhsa_float_round_mode_32 0
		.amdhsa_float_round_mode_16_64 0
		.amdhsa_float_denorm_mode_32 3
		.amdhsa_float_denorm_mode_16_64 3
		.amdhsa_fp16_overflow 0
		.amdhsa_memory_ordered 1
		.amdhsa_forward_progress 1
		.amdhsa_inst_pref_size 9
		.amdhsa_round_robin_scheduling 0
		.amdhsa_exception_fp_ieee_invalid_op 0
		.amdhsa_exception_fp_denorm_src 0
		.amdhsa_exception_fp_ieee_div_zero 0
		.amdhsa_exception_fp_ieee_overflow 0
		.amdhsa_exception_fp_ieee_underflow 0
		.amdhsa_exception_fp_ieee_inexact 0
		.amdhsa_exception_int_div_zero 0
	.end_amdhsa_kernel
	.section	.text._ZL25flash_attn_mask_to_KV_maxILi8EEvPK7__half2Piiii,"axG",@progbits,_ZL25flash_attn_mask_to_KV_maxILi8EEvPK7__half2Piiii,comdat
.Lfunc_end1:
	.size	_ZL25flash_attn_mask_to_KV_maxILi8EEvPK7__half2Piiii, .Lfunc_end1-_ZL25flash_attn_mask_to_KV_maxILi8EEvPK7__half2Piiii
                                        ; -- End function
	.set _ZL25flash_attn_mask_to_KV_maxILi8EEvPK7__half2Piiii.num_vgpr, 6
	.set _ZL25flash_attn_mask_to_KV_maxILi8EEvPK7__half2Piiii.num_agpr, 0
	.set _ZL25flash_attn_mask_to_KV_maxILi8EEvPK7__half2Piiii.numbered_sgpr, 27
	.set _ZL25flash_attn_mask_to_KV_maxILi8EEvPK7__half2Piiii.num_named_barrier, 0
	.set _ZL25flash_attn_mask_to_KV_maxILi8EEvPK7__half2Piiii.private_seg_size, 0
	.set _ZL25flash_attn_mask_to_KV_maxILi8EEvPK7__half2Piiii.uses_vcc, 1
	.set _ZL25flash_attn_mask_to_KV_maxILi8EEvPK7__half2Piiii.uses_flat_scratch, 0
	.set _ZL25flash_attn_mask_to_KV_maxILi8EEvPK7__half2Piiii.has_dyn_sized_stack, 0
	.set _ZL25flash_attn_mask_to_KV_maxILi8EEvPK7__half2Piiii.has_recursion, 0
	.set _ZL25flash_attn_mask_to_KV_maxILi8EEvPK7__half2Piiii.has_indirect_call, 0
	.section	.AMDGPU.csdata,"",@progbits
; Kernel info:
; codeLenInByte = 1148
; TotalNumSgprs: 29
; NumVgprs: 6
; ScratchSize: 0
; MemoryBound: 0
; FloatMode: 240
; IeeeMode: 1
; LDSByteSize: 128 bytes/workgroup (compile time only)
; SGPRBlocks: 0
; VGPRBlocks: 0
; NumSGPRsForWavesPerEU: 29
; NumVGPRsForWavesPerEU: 6
; NamedBarCnt: 0
; Occupancy: 16
; WaveLimiterHint : 0
; COMPUTE_PGM_RSRC2:SCRATCH_EN: 0
; COMPUTE_PGM_RSRC2:USER_SGPR: 2
; COMPUTE_PGM_RSRC2:TRAP_HANDLER: 0
; COMPUTE_PGM_RSRC2:TGID_X_EN: 1
; COMPUTE_PGM_RSRC2:TGID_Y_EN: 1
; COMPUTE_PGM_RSRC2:TGID_Z_EN: 0
; COMPUTE_PGM_RSRC2:TIDIG_COMP_CNT: 0
	.section	.text._ZL33flash_attn_stream_k_fixup_uniformILi72ELi8ELi8EEvPfPK15HIP_vector_typeIfLj2EEiiiiiiS1_IjLj3EES5_S5_,"axG",@progbits,_ZL33flash_attn_stream_k_fixup_uniformILi72ELi8ELi8EEvPfPK15HIP_vector_typeIfLj2EEiiiiiiS1_IjLj3EES5_S5_,comdat
	.globl	_ZL33flash_attn_stream_k_fixup_uniformILi72ELi8ELi8EEvPfPK15HIP_vector_typeIfLj2EEiiiiiiS1_IjLj3EES5_S5_ ; -- Begin function _ZL33flash_attn_stream_k_fixup_uniformILi72ELi8ELi8EEvPfPK15HIP_vector_typeIfLj2EEiiiiiiS1_IjLj3EES5_S5_
	.p2align	8
	.type	_ZL33flash_attn_stream_k_fixup_uniformILi72ELi8ELi8EEvPfPK15HIP_vector_typeIfLj2EEiiiiiiS1_IjLj3EES5_S5_,@function
_ZL33flash_attn_stream_k_fixup_uniformILi72ELi8ELi8EEvPfPK15HIP_vector_typeIfLj2EEiiiiiiS1_IjLj3EES5_S5_: ; @_ZL33flash_attn_stream_k_fixup_uniformILi72ELi8ELi8EEvPfPK15HIP_vector_typeIfLj2EEiiiiiiS1_IjLj3EES5_S5_
; %bb.0:
	s_load_b256 s[4:11], s[0:1], 0x1c
	s_bfe_u32 s2, ttmp6, 0x40014
	s_lshr_b32 s3, ttmp7, 16
	s_add_co_i32 s2, s2, 1
	s_bfe_u32 s13, ttmp6, 0x40010
	s_mul_i32 s2, s3, s2
	s_bfe_u32 s12, ttmp6, 0x40008
	s_and_b32 s15, ttmp7, 0xffff
	s_add_co_i32 s13, s13, 1
	s_bfe_u32 s14, ttmp6, 0x4000c
	s_add_co_i32 s2, s12, s2
	s_mul_i32 s12, s15, s13
	s_bfe_u32 s13, ttmp6, 0x40004
	s_add_co_i32 s14, s14, 1
	s_add_co_i32 s13, s13, s12
	s_and_b32 s12, ttmp6, 15
	s_mul_i32 s14, ttmp9, s14
	s_getreg_b32 s20, hwreg(HW_REG_IB_STS2, 6, 4)
	s_add_co_i32 s12, s12, s14
	s_load_b128 s[16:19], s[0:1], 0x3c
	s_cmp_eq_u32 s20, 0
	s_cselect_b32 s14, ttmp9, s12
	s_cselect_b32 s12, s15, s13
	s_wait_kmcnt 0x0
	s_mul_hi_u32 s7, s7, s14
	s_cselect_b32 s13, s3, s2
	s_add_co_i32 s2, s14, s7
	s_delay_alu instid0(SALU_CYCLE_1) | instskip(NEXT) | instid1(SALU_CYCLE_1)
	s_lshr_b32 s7, s2, s8
	s_mul_i32 s2, s7, s9
	s_delay_alu instid0(SALU_CYCLE_1) | instskip(NEXT) | instid1(SALU_CYCLE_1)
	s_sub_co_i32 s8, s14, s2
	s_mul_hi_u32 s2, s8, s10
	s_delay_alu instid0(SALU_CYCLE_1) | instskip(SKIP_2) | instid1(SALU_CYCLE_1)
	s_add_co_i32 s9, s8, s2
	s_load_b64 s[2:3], s[0:1], 0x10
	s_lshr_b32 s15, s9, s11
	s_mul_i32 s9, s15, s16
	s_delay_alu instid0(SALU_CYCLE_1) | instskip(NEXT) | instid1(SALU_CYCLE_1)
	s_sub_co_i32 s8, s8, s9
	s_mul_hi_u32 s9, s8, s17
	s_delay_alu instid0(SALU_CYCLE_1) | instskip(NEXT) | instid1(SALU_CYCLE_1)
	s_add_co_i32 s9, s8, s9
	s_lshr_b32 s9, s9, s18
	s_delay_alu instid0(SALU_CYCLE_1) | instskip(SKIP_2) | instid1(SALU_CYCLE_1)
	s_mul_i32 s10, s9, s19
	s_lshl_b32 s17, s9, 3
	s_sub_co_i32 s16, s8, s10
	s_lshl_b32 s8, s16, 3
	s_delay_alu instid0(SALU_CYCLE_1) | instskip(SKIP_4) | instid1(SALU_CYCLE_1)
	s_add_co_i32 s8, s8, s12
	s_wait_kmcnt 0x0
	s_cmp_lt_i32 s8, s2
	s_cselect_b32 s8, -1, 0
	s_add_co_i32 s17, s17, s13
	s_cmp_lt_i32 s17, s5
	s_cselect_b32 s9, -1, 0
	s_delay_alu instid0(SALU_CYCLE_1) | instskip(NEXT) | instid1(SALU_CYCLE_1)
	s_and_b32 s8, s8, s9
	s_and_not1_b32 vcc_lo, exec_lo, s8
	s_cbranch_vccnz .LBB2_6
; %bb.1:
	s_load_b128 s[8:11], s[0:1], 0x0
	s_wait_xcnt 0x0
	s_mul_i32 s0, s7, s2
	s_mul_i32 s15, s15, s5
	s_add_co_i32 s0, s0, s12
	s_add_co_i32 s1, s17, s15
	s_mul_i32 s0, s0, s3
	s_mul_i32 s2, s3, s16
	s_add_co_i32 s0, s1, s0
	s_mulk_i32 s2, 0x240
	s_mulk_i32 s0, 0x48
	s_mul_i32 s7, s6, s14
	v_add3_u32 v4, s0, s2, v0
	s_lshl_b32 s5, s12, 3
	s_add_co_i32 s15, s7, s6
	s_add_co_i32 s0, s5, s13
	s_lshl_b32 s1, s15, 6
	v_ashrrev_i32_e32 v5, 31, v4
	s_add_co_i32 s0, s0, s1
	s_add_co_i32 s2, s15, -2
	s_sub_co_i32 s0, s0, 64
	s_wait_kmcnt 0x0
	global_load_b32 v3, v4, s[8:9] scale_offset
	s_ashr_i32 s1, s0, 31
	s_delay_alu instid0(SALU_CYCLE_1)
	s_lshl_b64 s[0:1], s[0:1], 3
	s_cmp_lt_i32 s2, s7
	s_add_nc_u64 s[0:1], s[10:11], s[0:1]
	s_load_b32 s16, s[0:1], 0x4
	s_cbranch_scc1 .LBB2_4
; %bb.2:
	s_wait_xcnt 0x0
	s_load_b32 s0, s[0:1], 0x0
	s_add_co_i32 s14, s14, 1
	s_mulk_i32 s12, 0x240
	s_wait_xcnt 0x0
	s_mul_i32 s1, s6, s14
	s_lshl_b32 s2, s4, 8
	s_lshl_b32 s6, s1, 6
	s_mulk_i32 s1, 0x1200
	s_add_co_i32 s6, s13, s6
	s_mulk_i32 s13, 0x48
	s_lshl_b32 s4, s4, 6
	s_add_co_i32 s12, s13, s12
	s_ashr_i32 s3, s2, 31
	s_add_co_i32 s12, s12, s1
	s_add_co_i32 s1, s6, s4
	v_add3_u32 v0, s12, v0, 0xffffdc00
	s_wait_kmcnt 0x0
	v_mov_b32_e32 v2, s16
	s_lshl_b64 s[2:3], s[2:3], 2
	s_add_co_i32 s4, s1, s5
	s_add_nc_u64 s[2:3], s[10:11], s[2:3]
	s_add_co_i32 s1, s15, -1
	s_addk_co_i32 s4, 0xff80
.LBB2_3:                                ; =>This Inner Loop Header: Depth=1
	global_load_b32 v7, v0, s[2:3] scale_offset
	s_ashr_i32 s5, s4, 31
	v_max_num_f32_e64 v1, s0, s0
	s_lshl_b64 s[12:13], s[4:5], 3
	s_delay_alu instid0(SALU_CYCLE_1) | instskip(SKIP_1) | instid1(VALU_DEP_1)
	s_add_nc_u64 s[12:13], s[10:11], s[12:13]
	s_load_b64 s[12:13], s[12:13], 0x0
	v_readfirstlane_b32 s5, v1
	v_add_nc_u32_e32 v0, 0xffffee00, v0
	s_wait_kmcnt 0x0
	v_max_num_f32_e64 v1, s12, s12
	s_delay_alu instid0(VALU_DEP_1) | instskip(SKIP_1) | instid1(SALU_CYCLE_3)
	v_readfirstlane_b32 s6, v1
	s_max_num_f32 s5, s5, s6
	s_sub_f32 s0, s0, s5
	s_sub_f32 s6, s12, s5
	s_delay_alu instid0(SALU_CYCLE_2) | instskip(NEXT) | instid1(SALU_CYCLE_2)
	s_mul_f32 s12, s0, 0x3fb8aa3b
	s_mul_f32 s14, s6, 0x3fb8aa3b
	s_delay_alu instid0(SALU_CYCLE_2)
	s_xor_b32 s15, s12, 0x80000000
	s_rndne_f32 s16, s12
	s_fmamk_f32 s15, s0, 0x3fb8aa3b, s15
	s_cmp_nlt_f32 s0, 0xc2ce8ed0
	s_rndne_f32 s17, s14
	s_sub_f32 s12, s12, s16
	s_fmamk_f32 s15, s0, 0x32a5705f, s15
	s_cselect_b32 vcc_lo, -1, 0
	s_cmp_ngt_f32 s0, 0x42b17218
	s_delay_alu instid0(SALU_CYCLE_1) | instskip(SKIP_2) | instid1(SALU_CYCLE_1)
	s_add_f32 s12, s12, s15
	s_cvt_i32_f32 s15, s16
	s_sub_f32 s16, s14, s17
	v_s_exp_f32 s12, s12
	v_nop
	s_delay_alu instid0(TRANS32_DEP_1) | instskip(SKIP_1) | instid1(VALU_DEP_1)
	v_ldexp_f32 v1, s12, s15
	s_cvt_i32_f32 s12, s17
	v_cndmask_b32_e32 v1, 0, v1, vcc_lo
	s_cselect_b32 vcc_lo, -1, 0
	s_cmp_ge_f32 s0, 0xc1a00000
	s_delay_alu instid0(VALU_DEP_1)
	v_cndmask_b32_e32 v1, 0x7f800000, v1, vcc_lo
	s_cselect_b32 vcc_lo, -1, 0
	s_xor_b32 s0, s14, 0x80000000
	s_cmp_nlt_f32 s6, 0xc2ce8ed0
	s_fmamk_f32 s0, s6, 0x3fb8aa3b, s0
	v_cndmask_b32_e32 v10, 0, v1, vcc_lo
	s_delay_alu instid0(SALU_CYCLE_2) | instskip(NEXT) | instid1(SALU_CYCLE_3)
	s_fmamk_f32 s0, s6, 0x32a5705f, s0
	s_add_f32 s0, s16, s0
	s_delay_alu instid0(SALU_CYCLE_3) | instskip(SKIP_1) | instid1(TRANS32_DEP_1)
	v_s_exp_f32 s0, s0
	v_nop
	v_ldexp_f32 v6, s0, s12
	s_cselect_b32 s0, -1, 0
	s_cmp_ngt_f32 s6, 0x42b17218
	s_delay_alu instid0(VALU_DEP_1) | instskip(SKIP_2) | instid1(VALU_DEP_1)
	v_cndmask_b32_e64 v6, 0, v6, s0
	s_cselect_b32 s0, -1, 0
	s_cmp_ge_f32 s6, 0xc1a00000
	v_cndmask_b32_e64 v8, 0x7f800000, v6, s0
	s_cselect_b32 s0, -1, 0
	v_mov_b32_e32 v6, s13
	s_add_co_i32 s1, s1, -1
	s_sub_co_i32 s4, s4, 64
	v_cndmask_b32_e64 v8, 0, v8, s0
	s_cmp_le_i32 s1, s7
	s_mov_b32 s0, s5
	s_wait_loadcnt 0x0
	s_delay_alu instid0(VALU_DEP_1) | instskip(NEXT) | instid1(VALU_DEP_1)
	v_pk_mul_f32 v[6:7], v[6:7], v[8:9] op_sel_hi:[1,0]
	v_pk_fma_f32 v[2:3], v[2:3], v[10:11], v[6:7] op_sel_hi:[1,0,1]
	s_cbranch_scc0 .LBB2_3
	s_branch .LBB2_5
.LBB2_4:
	s_wait_kmcnt 0x0
	v_mov_b32_e32 v2, s16
.LBB2_5:
	v_lshl_add_u64 v[0:1], v[4:5], 2, s[8:9]
	s_wait_loadcnt 0x0
	s_delay_alu instid0(VALU_DEP_2) | instskip(NEXT) | instid1(VALU_DEP_1)
	v_div_scale_f32 v4, null, v2, v2, v3
	v_rcp_f32_e32 v5, v4
	v_nop
	s_delay_alu instid0(TRANS32_DEP_1) | instskip(NEXT) | instid1(VALU_DEP_1)
	v_fma_f32 v6, -v4, v5, 1.0
	v_fmac_f32_e32 v5, v6, v5
	v_div_scale_f32 v6, vcc_lo, v3, v2, v3
	s_delay_alu instid0(VALU_DEP_1) | instskip(NEXT) | instid1(VALU_DEP_1)
	v_mul_f32_e32 v7, v6, v5
	v_fma_f32 v8, -v4, v7, v6
	s_delay_alu instid0(VALU_DEP_1) | instskip(NEXT) | instid1(VALU_DEP_1)
	v_fmac_f32_e32 v7, v8, v5
	v_fma_f32 v4, -v4, v7, v6
	s_delay_alu instid0(VALU_DEP_1) | instskip(NEXT) | instid1(VALU_DEP_1)
	v_div_fmas_f32 v4, v4, v5, v7
	v_div_fixup_f32 v2, v4, v2, v3
	global_store_b32 v[0:1], v2, off
.LBB2_6:
	s_endpgm
	.section	.rodata,"a",@progbits
	.p2align	6, 0x0
	.amdhsa_kernel _ZL33flash_attn_stream_k_fixup_uniformILi72ELi8ELi8EEvPfPK15HIP_vector_typeIfLj2EEiiiiiiS1_IjLj3EES5_S5_
		.amdhsa_group_segment_fixed_size 0
		.amdhsa_private_segment_fixed_size 0
		.amdhsa_kernarg_size 76
		.amdhsa_user_sgpr_count 2
		.amdhsa_user_sgpr_dispatch_ptr 0
		.amdhsa_user_sgpr_queue_ptr 0
		.amdhsa_user_sgpr_kernarg_segment_ptr 1
		.amdhsa_user_sgpr_dispatch_id 0
		.amdhsa_user_sgpr_kernarg_preload_length 0
		.amdhsa_user_sgpr_kernarg_preload_offset 0
		.amdhsa_user_sgpr_private_segment_size 0
		.amdhsa_wavefront_size32 1
		.amdhsa_uses_dynamic_stack 0
		.amdhsa_enable_private_segment 0
		.amdhsa_system_sgpr_workgroup_id_x 1
		.amdhsa_system_sgpr_workgroup_id_y 1
		.amdhsa_system_sgpr_workgroup_id_z 1
		.amdhsa_system_sgpr_workgroup_info 0
		.amdhsa_system_vgpr_workitem_id 0
		.amdhsa_next_free_vgpr 12
		.amdhsa_next_free_sgpr 21
		.amdhsa_named_barrier_count 0
		.amdhsa_reserve_vcc 1
		.amdhsa_float_round_mode_32 0
		.amdhsa_float_round_mode_16_64 0
		.amdhsa_float_denorm_mode_32 3
		.amdhsa_float_denorm_mode_16_64 3
		.amdhsa_fp16_overflow 0
		.amdhsa_memory_ordered 1
		.amdhsa_forward_progress 1
		.amdhsa_inst_pref_size 9
		.amdhsa_round_robin_scheduling 0
		.amdhsa_exception_fp_ieee_invalid_op 0
		.amdhsa_exception_fp_denorm_src 0
		.amdhsa_exception_fp_ieee_div_zero 0
		.amdhsa_exception_fp_ieee_overflow 0
		.amdhsa_exception_fp_ieee_underflow 0
		.amdhsa_exception_fp_ieee_inexact 0
		.amdhsa_exception_int_div_zero 0
	.end_amdhsa_kernel
	.section	.text._ZL33flash_attn_stream_k_fixup_uniformILi72ELi8ELi8EEvPfPK15HIP_vector_typeIfLj2EEiiiiiiS1_IjLj3EES5_S5_,"axG",@progbits,_ZL33flash_attn_stream_k_fixup_uniformILi72ELi8ELi8EEvPfPK15HIP_vector_typeIfLj2EEiiiiiiS1_IjLj3EES5_S5_,comdat
.Lfunc_end2:
	.size	_ZL33flash_attn_stream_k_fixup_uniformILi72ELi8ELi8EEvPfPK15HIP_vector_typeIfLj2EEiiiiiiS1_IjLj3EES5_S5_, .Lfunc_end2-_ZL33flash_attn_stream_k_fixup_uniformILi72ELi8ELi8EEvPfPK15HIP_vector_typeIfLj2EEiiiiiiS1_IjLj3EES5_S5_
                                        ; -- End function
	.set _ZL33flash_attn_stream_k_fixup_uniformILi72ELi8ELi8EEvPfPK15HIP_vector_typeIfLj2EEiiiiiiS1_IjLj3EES5_S5_.num_vgpr, 12
	.set _ZL33flash_attn_stream_k_fixup_uniformILi72ELi8ELi8EEvPfPK15HIP_vector_typeIfLj2EEiiiiiiS1_IjLj3EES5_S5_.num_agpr, 0
	.set _ZL33flash_attn_stream_k_fixup_uniformILi72ELi8ELi8EEvPfPK15HIP_vector_typeIfLj2EEiiiiiiS1_IjLj3EES5_S5_.numbered_sgpr, 21
	.set _ZL33flash_attn_stream_k_fixup_uniformILi72ELi8ELi8EEvPfPK15HIP_vector_typeIfLj2EEiiiiiiS1_IjLj3EES5_S5_.num_named_barrier, 0
	.set _ZL33flash_attn_stream_k_fixup_uniformILi72ELi8ELi8EEvPfPK15HIP_vector_typeIfLj2EEiiiiiiS1_IjLj3EES5_S5_.private_seg_size, 0
	.set _ZL33flash_attn_stream_k_fixup_uniformILi72ELi8ELi8EEvPfPK15HIP_vector_typeIfLj2EEiiiiiiS1_IjLj3EES5_S5_.uses_vcc, 1
	.set _ZL33flash_attn_stream_k_fixup_uniformILi72ELi8ELi8EEvPfPK15HIP_vector_typeIfLj2EEiiiiiiS1_IjLj3EES5_S5_.uses_flat_scratch, 0
	.set _ZL33flash_attn_stream_k_fixup_uniformILi72ELi8ELi8EEvPfPK15HIP_vector_typeIfLj2EEiiiiiiS1_IjLj3EES5_S5_.has_dyn_sized_stack, 0
	.set _ZL33flash_attn_stream_k_fixup_uniformILi72ELi8ELi8EEvPfPK15HIP_vector_typeIfLj2EEiiiiiiS1_IjLj3EES5_S5_.has_recursion, 0
	.set _ZL33flash_attn_stream_k_fixup_uniformILi72ELi8ELi8EEvPfPK15HIP_vector_typeIfLj2EEiiiiiiS1_IjLj3EES5_S5_.has_indirect_call, 0
	.section	.AMDGPU.csdata,"",@progbits
; Kernel info:
; codeLenInByte = 1084
; TotalNumSgprs: 23
; NumVgprs: 12
; ScratchSize: 0
; MemoryBound: 0
; FloatMode: 240
; IeeeMode: 1
; LDSByteSize: 0 bytes/workgroup (compile time only)
; SGPRBlocks: 0
; VGPRBlocks: 0
; NumSGPRsForWavesPerEU: 23
; NumVGPRsForWavesPerEU: 12
; NamedBarCnt: 0
; Occupancy: 16
; WaveLimiterHint : 0
; COMPUTE_PGM_RSRC2:SCRATCH_EN: 0
; COMPUTE_PGM_RSRC2:USER_SGPR: 2
; COMPUTE_PGM_RSRC2:TRAP_HANDLER: 0
; COMPUTE_PGM_RSRC2:TGID_X_EN: 1
; COMPUTE_PGM_RSRC2:TGID_Y_EN: 1
; COMPUTE_PGM_RSRC2:TGID_Z_EN: 1
; COMPUTE_PGM_RSRC2:TIDIG_COMP_CNT: 0
	.section	.text._ZL33flash_attn_stream_k_fixup_generalILi72ELi8ELi8EEvPfPK15HIP_vector_typeIfLj2EEiiiiS1_IjLj3EES5_S5_S5_,"axG",@progbits,_ZL33flash_attn_stream_k_fixup_generalILi72ELi8ELi8EEvPfPK15HIP_vector_typeIfLj2EEiiiiS1_IjLj3EES5_S5_S5_,comdat
	.globl	_ZL33flash_attn_stream_k_fixup_generalILi72ELi8ELi8EEvPfPK15HIP_vector_typeIfLj2EEiiiiS1_IjLj3EES5_S5_S5_ ; -- Begin function _ZL33flash_attn_stream_k_fixup_generalILi72ELi8ELi8EEvPfPK15HIP_vector_typeIfLj2EEiiiiS1_IjLj3EES5_S5_S5_
	.p2align	8
	.type	_ZL33flash_attn_stream_k_fixup_generalILi72ELi8ELi8EEvPfPK15HIP_vector_typeIfLj2EEiiiiS1_IjLj3EES5_S5_S5_,@function
_ZL33flash_attn_stream_k_fixup_generalILi72ELi8ELi8EEvPfPK15HIP_vector_typeIfLj2EEiiiiS1_IjLj3EES5_S5_S5_: ; @_ZL33flash_attn_stream_k_fixup_generalILi72ELi8ELi8EEvPfPK15HIP_vector_typeIfLj2EEiiiiS1_IjLj3EES5_S5_S5_
; %bb.0:
	s_clause 0x1
	s_load_b128 s[4:7], s[0:1], 0x10
	s_load_b32 s16, s[0:1], 0x50
	s_bfe_u32 s2, ttmp6, 0x4000c
	s_and_b32 s3, ttmp6, 15
	s_add_co_i32 s2, s2, 1
	s_getreg_b32 s15, hwreg(HW_REG_IB_STS2, 6, 4)
	s_mul_i32 s2, ttmp9, s2
	s_mov_b32 s17, 0
	s_add_co_i32 s3, s3, s2
	s_cmp_eq_u32 s15, 0
	s_cselect_b32 s2, ttmp9, s3
	s_delay_alu instid0(SALU_CYCLE_1) | instskip(SKIP_3) | instid1(SALU_CYCLE_1)
	s_ashr_i32 s3, s2, 31
	s_wait_kmcnt 0x0
	s_ashr_i32 s19, s7, 31
	s_mov_b32 s18, s7
	s_mul_u64 s[8:9], s[18:19], s[2:3]
	s_delay_alu instid0(SALU_CYCLE_1) | instskip(NEXT) | instid1(SALU_CYCLE_1)
	s_and_b64 s[10:11], s[8:9], 0xffffffff00000000
	s_cmp_lg_u64 s[10:11], 0
	s_cbranch_scc0 .LBB3_21
; %bb.1:
	s_add_nc_u64 s[10:11], s[16:17], 0
	s_mov_b32 s23, s17
	s_xor_b64 s[10:11], s[10:11], 0
	s_mov_b32 s27, s17
	s_cvt_f32_u32 s3, s10
	s_cvt_f32_u32 s7, s11
	s_sub_nc_u64 s[20:21], 0, s[10:11]
	s_delay_alu instid0(SALU_CYCLE_2) | instskip(NEXT) | instid1(SALU_CYCLE_3)
	s_fmamk_f32 s3, s7, 0x4f800000, s3
	v_s_rcp_f32 s3, s3
	s_delay_alu instid0(TRANS32_DEP_1) | instskip(NEXT) | instid1(SALU_CYCLE_3)
	s_mul_f32 s3, s3, 0x5f7ffffc
	s_mul_f32 s7, s3, 0x2f800000
	s_delay_alu instid0(SALU_CYCLE_3) | instskip(NEXT) | instid1(SALU_CYCLE_3)
	s_trunc_f32 s7, s7
	s_fmamk_f32 s3, s7, 0xcf800000, s3
	s_cvt_u32_f32 s13, s7
	s_delay_alu instid0(SALU_CYCLE_2) | instskip(NEXT) | instid1(SALU_CYCLE_3)
	s_cvt_u32_f32 s12, s3
	s_mul_u64 s[24:25], s[20:21], s[12:13]
	s_delay_alu instid0(SALU_CYCLE_1)
	s_mul_hi_u32 s29, s12, s25
	s_mul_i32 s28, s12, s25
	s_mul_hi_u32 s22, s12, s24
	s_mul_i32 s7, s13, s24
	s_add_nc_u64 s[22:23], s[22:23], s[28:29]
	s_mul_hi_u32 s3, s13, s24
	s_mul_hi_u32 s14, s13, s25
	s_add_co_u32 s7, s22, s7
	s_add_co_ci_u32 s26, s23, s3
	s_mul_i32 s24, s13, s25
	s_add_co_ci_u32 s25, s14, 0
	s_delay_alu instid0(SALU_CYCLE_1) | instskip(SKIP_3) | instid1(SALU_CYCLE_1)
	s_add_nc_u64 s[22:23], s[26:27], s[24:25]
	s_mov_b32 s25, s17
	s_add_co_u32 s12, s12, s22
	s_cselect_b32 s3, -1, 0
	s_cmp_lg_u32 s3, 0
	s_add_co_ci_u32 s13, s13, s23
	s_mov_b32 s23, s17
	s_mul_u64 s[20:21], s[20:21], s[12:13]
	s_delay_alu instid0(SALU_CYCLE_1)
	s_mul_hi_u32 s27, s12, s21
	s_mul_i32 s26, s12, s21
	s_mul_hi_u32 s22, s12, s20
	s_mul_i32 s7, s13, s20
	s_add_nc_u64 s[22:23], s[22:23], s[26:27]
	s_mul_hi_u32 s3, s13, s20
	s_mul_hi_u32 s14, s13, s21
	s_add_co_u32 s7, s22, s7
	s_add_co_ci_u32 s24, s23, s3
	s_mul_i32 s20, s13, s21
	s_add_co_ci_u32 s21, s14, 0
	s_mov_b32 s23, s17
	s_add_nc_u64 s[20:21], s[24:25], s[20:21]
	s_delay_alu instid0(SALU_CYCLE_1) | instskip(SKIP_1) | instid1(SALU_CYCLE_1)
	s_add_co_u32 s3, s12, s20
	s_cselect_b32 s7, -1, 0
	s_cmp_lg_u32 s7, 0
	s_add_co_ci_u32 s7, s13, s21
	s_ashr_i32 s12, s9, 31
	s_delay_alu instid0(SALU_CYCLE_1) | instskip(NEXT) | instid1(SALU_CYCLE_1)
	s_mov_b32 s13, s12
	s_add_nc_u64 s[20:21], s[8:9], s[12:13]
	s_delay_alu instid0(SALU_CYCLE_1) | instskip(NEXT) | instid1(SALU_CYCLE_1)
	s_xor_b64 s[20:21], s[20:21], s[12:13]
	s_mul_hi_u32 s27, s20, s7
	s_mul_i32 s26, s20, s7
	s_mul_hi_u32 s22, s20, s3
	s_mul_hi_u32 s14, s21, s3
	s_mul_i32 s3, s21, s3
	s_add_nc_u64 s[22:23], s[22:23], s[26:27]
	s_mul_hi_u32 s9, s21, s7
	s_add_co_u32 s3, s22, s3
	s_add_co_ci_u32 s24, s23, s14
	s_mul_i32 s26, s21, s7
	s_add_co_ci_u32 s27, s9, 0
	s_delay_alu instid0(SALU_CYCLE_1) | instskip(NEXT) | instid1(SALU_CYCLE_1)
	s_add_nc_u64 s[22:23], s[24:25], s[26:27]
	s_and_b64 s[24:25], s[22:23], 0xffffffff00000000
	s_delay_alu instid0(SALU_CYCLE_1) | instskip(NEXT) | instid1(SALU_CYCLE_1)
	s_or_b32 s24, s24, s22
	s_mul_u64 s[22:23], s[10:11], s[24:25]
	s_add_nc_u64 s[26:27], s[24:25], 1
	s_sub_co_u32 s3, s20, s22
	s_cselect_b32 s7, -1, 0
	s_sub_co_i32 s9, s21, s23
	s_cmp_lg_u32 s7, 0
	s_add_nc_u64 s[28:29], s[24:25], 2
	s_sub_co_ci_u32 s9, s9, s11
	s_sub_co_u32 s14, s3, s10
	s_cselect_b32 s20, -1, 0
	s_delay_alu instid0(SALU_CYCLE_1) | instskip(SKIP_1) | instid1(SALU_CYCLE_1)
	s_cmp_lg_u32 s20, 0
	s_sub_co_ci_u32 s9, s9, 0
	s_cmp_ge_u32 s9, s11
	s_cselect_b32 s20, -1, 0
	s_cmp_ge_u32 s14, s10
	s_cselect_b32 s14, -1, 0
	s_cmp_eq_u32 s9, s11
	s_cselect_b32 s9, s14, s20
	s_delay_alu instid0(SALU_CYCLE_1) | instskip(SKIP_4) | instid1(SALU_CYCLE_1)
	s_cmp_lg_u32 s9, 0
	s_cselect_b32 s9, s28, s26
	s_cselect_b32 s14, s29, s27
	s_cmp_lg_u32 s7, 0
	s_sub_co_ci_u32 s7, s21, s23
	s_cmp_ge_u32 s7, s11
	s_cselect_b32 s20, -1, 0
	s_cmp_ge_u32 s3, s10
	s_cselect_b32 s3, -1, 0
	s_cmp_eq_u32 s7, s11
	s_cselect_b32 s3, s3, s20
	s_delay_alu instid0(SALU_CYCLE_1) | instskip(SKIP_4) | instid1(SALU_CYCLE_1)
	s_cmp_lg_u32 s3, 0
	s_mov_b32 s3, s17
	s_cselect_b32 s11, s14, s25
	s_cselect_b32 s10, s9, s24
	s_xor_b64 s[12:13], s[12:13], 0
	s_xor_b64 s[10:11], s[10:11], s[12:13]
	s_delay_alu instid0(SALU_CYCLE_1)
	s_sub_nc_u64 s[20:21], s[10:11], s[12:13]
	s_and_not1_b32 vcc_lo, exec_lo, s3
	s_cbranch_vccnz .LBB3_3
.LBB3_2:
	v_cvt_f32_u32_e32 v1, s16
	s_sub_co_i32 s7, 0, s16
	s_mov_b32 s21, 0
	s_delay_alu instid0(VALU_DEP_1) | instskip(SKIP_1) | instid1(TRANS32_DEP_1)
	v_rcp_iflag_f32_e32 v1, v1
	v_nop
	v_mul_f32_e32 v1, 0x4f7ffffe, v1
	s_delay_alu instid0(VALU_DEP_1) | instskip(NEXT) | instid1(VALU_DEP_1)
	v_cvt_u32_f32_e32 v1, v1
	v_readfirstlane_b32 s3, v1
	s_mul_i32 s7, s7, s3
	s_delay_alu instid0(SALU_CYCLE_1) | instskip(NEXT) | instid1(SALU_CYCLE_1)
	s_mul_hi_u32 s7, s3, s7
	s_add_co_i32 s3, s3, s7
	s_delay_alu instid0(SALU_CYCLE_1) | instskip(NEXT) | instid1(SALU_CYCLE_1)
	s_mul_hi_u32 s3, s8, s3
	s_mul_i32 s7, s3, s16
	s_delay_alu instid0(SALU_CYCLE_1)
	s_sub_co_i32 s7, s8, s7
	s_add_co_i32 s8, s3, 1
	s_sub_co_i32 s9, s7, s16
	s_cmp_ge_u32 s7, s16
	s_cselect_b32 s3, s8, s3
	s_cselect_b32 s7, s9, s7
	s_add_co_i32 s8, s3, 1
	s_cmp_ge_u32 s7, s16
	s_cselect_b32 s20, s8, s3
.LBB3_3:
	s_add_co_i32 s8, s2, 1
	s_delay_alu instid0(SALU_CYCLE_1) | instskip(NEXT) | instid1(SALU_CYCLE_1)
	s_ashr_i32 s9, s8, 31
	s_mul_u64 s[8:9], s[18:19], s[8:9]
	s_delay_alu instid0(SALU_CYCLE_1) | instskip(NEXT) | instid1(SALU_CYCLE_1)
	s_and_b64 s[10:11], s[8:9], 0xffffffff00000000
	s_cmp_lg_u64 s[10:11], 0
	s_cbranch_scc0 .LBB3_22
; %bb.4:
	s_add_nc_u64 s[10:11], s[16:17], 0
	s_delay_alu instid0(SALU_CYCLE_1) | instskip(SKIP_4) | instid1(SALU_CYCLE_2)
	s_xor_b64 s[12:13], s[10:11], 0
	s_mov_b32 s11, 0
	s_cvt_f32_u32 s3, s12
	s_cvt_f32_u32 s7, s13
	s_sub_nc_u64 s[24:25], 0, s[12:13]
	s_fmamk_f32 s3, s7, 0x4f800000, s3
	s_delay_alu instid0(SALU_CYCLE_3) | instskip(NEXT) | instid1(TRANS32_DEP_1)
	v_s_rcp_f32 s3, s3
	s_mul_f32 s3, s3, 0x5f7ffffc
	s_delay_alu instid0(SALU_CYCLE_3) | instskip(NEXT) | instid1(SALU_CYCLE_3)
	s_mul_f32 s7, s3, 0x2f800000
	s_trunc_f32 s7, s7
	s_delay_alu instid0(SALU_CYCLE_3) | instskip(SKIP_1) | instid1(SALU_CYCLE_2)
	s_fmamk_f32 s3, s7, 0xcf800000, s3
	s_cvt_u32_f32 s23, s7
	s_cvt_u32_f32 s22, s3
	s_delay_alu instid0(SALU_CYCLE_3) | instskip(NEXT) | instid1(SALU_CYCLE_1)
	s_mul_u64 s[26:27], s[24:25], s[22:23]
	s_mul_hi_u32 s29, s22, s27
	s_mul_i32 s28, s22, s27
	s_mul_hi_u32 s10, s22, s26
	s_mul_i32 s7, s23, s26
	s_add_nc_u64 s[28:29], s[10:11], s[28:29]
	s_mul_hi_u32 s3, s23, s26
	s_mul_hi_u32 s14, s23, s27
	s_add_co_u32 s7, s28, s7
	s_add_co_ci_u32 s10, s29, s3
	s_mul_i32 s26, s23, s27
	s_add_co_ci_u32 s27, s14, 0
	s_delay_alu instid0(SALU_CYCLE_1) | instskip(NEXT) | instid1(SALU_CYCLE_1)
	s_add_nc_u64 s[26:27], s[10:11], s[26:27]
	s_add_co_u32 s22, s22, s26
	s_cselect_b32 s3, -1, 0
	s_delay_alu instid0(SALU_CYCLE_1) | instskip(SKIP_1) | instid1(SALU_CYCLE_1)
	s_cmp_lg_u32 s3, 0
	s_add_co_ci_u32 s23, s23, s27
	s_mul_u64 s[24:25], s[24:25], s[22:23]
	s_delay_alu instid0(SALU_CYCLE_1)
	s_mul_hi_u32 s27, s22, s25
	s_mul_i32 s26, s22, s25
	s_mul_hi_u32 s10, s22, s24
	s_mul_i32 s7, s23, s24
	s_add_nc_u64 s[26:27], s[10:11], s[26:27]
	s_mul_hi_u32 s3, s23, s24
	s_mul_hi_u32 s14, s23, s25
	s_add_co_u32 s7, s26, s7
	s_add_co_ci_u32 s10, s27, s3
	s_mul_i32 s24, s23, s25
	s_add_co_ci_u32 s25, s14, 0
	s_delay_alu instid0(SALU_CYCLE_1) | instskip(NEXT) | instid1(SALU_CYCLE_1)
	s_add_nc_u64 s[24:25], s[10:11], s[24:25]
	s_add_co_u32 s3, s22, s24
	s_cselect_b32 s7, -1, 0
	s_delay_alu instid0(SALU_CYCLE_1) | instskip(SKIP_2) | instid1(SALU_CYCLE_1)
	s_cmp_lg_u32 s7, 0
	s_add_co_ci_u32 s7, s23, s25
	s_ashr_i32 s22, s9, 31
	s_mov_b32 s23, s22
	s_delay_alu instid0(SALU_CYCLE_1) | instskip(NEXT) | instid1(SALU_CYCLE_1)
	s_add_nc_u64 s[24:25], s[8:9], s[22:23]
	s_xor_b64 s[24:25], s[24:25], s[22:23]
	s_delay_alu instid0(SALU_CYCLE_1)
	s_mul_hi_u32 s27, s24, s7
	s_mul_i32 s26, s24, s7
	s_mul_hi_u32 s10, s24, s3
	s_mul_hi_u32 s14, s25, s3
	s_mul_i32 s3, s25, s3
	s_add_nc_u64 s[26:27], s[10:11], s[26:27]
	s_mul_hi_u32 s9, s25, s7
	s_add_co_u32 s3, s26, s3
	s_add_co_ci_u32 s10, s27, s14
	s_mul_i32 s28, s25, s7
	s_add_co_ci_u32 s29, s9, 0
	s_delay_alu instid0(SALU_CYCLE_1) | instskip(NEXT) | instid1(SALU_CYCLE_1)
	s_add_nc_u64 s[26:27], s[10:11], s[28:29]
	s_and_b64 s[28:29], s[26:27], 0xffffffff00000000
	s_delay_alu instid0(SALU_CYCLE_1) | instskip(NEXT) | instid1(SALU_CYCLE_1)
	s_or_b32 s28, s28, s26
	s_mul_u64 s[26:27], s[12:13], s[28:29]
	s_add_nc_u64 s[30:31], s[28:29], 1
	s_sub_co_u32 s3, s24, s26
	s_cselect_b32 s7, -1, 0
	s_sub_co_i32 s9, s25, s27
	s_cmp_lg_u32 s7, 0
	s_add_nc_u64 s[34:35], s[28:29], 2
	s_sub_co_ci_u32 s9, s9, s13
	s_sub_co_u32 s10, s3, s12
	s_cselect_b32 s14, -1, 0
	s_delay_alu instid0(SALU_CYCLE_1) | instskip(SKIP_1) | instid1(SALU_CYCLE_1)
	s_cmp_lg_u32 s14, 0
	s_sub_co_ci_u32 s9, s9, 0
	s_cmp_ge_u32 s9, s13
	s_cselect_b32 s14, -1, 0
	s_cmp_ge_u32 s10, s12
	s_cselect_b32 s10, -1, 0
	s_cmp_eq_u32 s9, s13
	s_cselect_b32 s9, s10, s14
	s_delay_alu instid0(SALU_CYCLE_1) | instskip(SKIP_4) | instid1(SALU_CYCLE_1)
	s_cmp_lg_u32 s9, 0
	s_cselect_b32 s9, s34, s30
	s_cselect_b32 s10, s35, s31
	s_cmp_lg_u32 s7, 0
	s_sub_co_ci_u32 s7, s25, s27
	s_cmp_ge_u32 s7, s13
	s_cselect_b32 s14, -1, 0
	s_cmp_ge_u32 s3, s12
	s_cselect_b32 s3, -1, 0
	s_cmp_eq_u32 s7, s13
	s_cselect_b32 s3, s3, s14
	s_delay_alu instid0(SALU_CYCLE_1) | instskip(SKIP_3) | instid1(SALU_CYCLE_1)
	s_cmp_lg_u32 s3, 0
	s_cselect_b32 s13, s10, s29
	s_cselect_b32 s12, s9, s28
	s_xor_b64 s[22:23], s[22:23], 0
	s_xor_b64 s[12:13], s[12:13], s[22:23]
	s_delay_alu instid0(SALU_CYCLE_1)
	s_sub_nc_u64 s[24:25], s[12:13], s[22:23]
	s_load_b96 s[12:14], s[0:1], 0x44
	s_cbranch_execnz .LBB3_6
.LBB3_5:
	v_cvt_f32_u32_e32 v1, s16
	s_sub_co_i32 s7, 0, s16
	s_delay_alu instid0(VALU_DEP_1) | instskip(SKIP_1) | instid1(TRANS32_DEP_1)
	v_rcp_iflag_f32_e32 v1, v1
	v_nop
	v_mul_f32_e32 v1, 0x4f7ffffe, v1
	s_delay_alu instid0(VALU_DEP_1) | instskip(NEXT) | instid1(VALU_DEP_1)
	v_cvt_u32_f32_e32 v1, v1
	v_readfirstlane_b32 s3, v1
	s_mul_i32 s7, s7, s3
	s_delay_alu instid0(SALU_CYCLE_1) | instskip(NEXT) | instid1(SALU_CYCLE_1)
	s_mul_hi_u32 s7, s3, s7
	s_add_co_i32 s3, s3, s7
	s_delay_alu instid0(SALU_CYCLE_1) | instskip(NEXT) | instid1(SALU_CYCLE_1)
	s_mul_hi_u32 s3, s8, s3
	s_mul_i32 s7, s3, s16
	s_delay_alu instid0(SALU_CYCLE_1)
	s_sub_co_i32 s7, s8, s7
	s_add_co_i32 s8, s3, 1
	s_sub_co_i32 s9, s7, s16
	s_cmp_ge_u32 s7, s16
	s_cselect_b32 s3, s8, s3
	s_cselect_b32 s7, s9, s7
	s_add_co_i32 s8, s3, 1
	s_cmp_ge_u32 s7, s16
	s_cselect_b32 s24, s8, s3
.LBB3_6:
	s_delay_alu instid0(SALU_CYCLE_1)
	s_cmp_eq_u32 s20, s24
	s_mov_b64 s[8:9], 0xffffffff
	s_cselect_b32 s3, -1, 0
	s_and_b64 s[8:9], s[20:21], s[8:9]
	s_mov_b32 s23, 0
	s_wait_kmcnt 0x0
	s_mov_b32 s22, s12
	s_mov_b32 s25, s23
	s_mul_u64 s[10:11], s[8:9], s[22:23]
	s_delay_alu instid0(SALU_CYCLE_1) | instskip(SKIP_2) | instid1(SALU_CYCLE_1)
	s_add_co_i32 s7, s11, s20
	s_mul_u64 s[10:11], s[24:25], s[22:23]
	s_lshr_b32 s12, s7, s13
	s_mul_i32 s7, s12, s14
	s_delay_alu instid0(SALU_CYCLE_1) | instskip(SKIP_2) | instid1(SALU_CYCLE_1)
	s_cmp_eq_u32 s7, s20
	s_cselect_b32 s7, -1, 0
	s_add_co_i32 s10, s11, s24
	s_lshr_b32 s10, s10, s13
	s_delay_alu instid0(SALU_CYCLE_1)
	s_cmp_eq_u32 s12, s10
	s_mul_i32 s10, s10, s14
	s_cselect_b32 s11, -1, 0
	s_cmp_lg_u32 s10, s24
	s_cselect_b32 s10, -1, 0
	s_or_b32 s3, s3, s7
	s_and_b32 s10, s11, s10
	s_delay_alu instid0(SALU_CYCLE_1) | instskip(NEXT) | instid1(SALU_CYCLE_1)
	s_or_b32 s3, s3, s10
	s_and_b32 vcc_lo, exec_lo, s3
	s_cbranch_vccnz .LBB3_24
; %bb.7:
	s_load_b256 s[24:31], s[0:1], 0x20
	s_bfe_u32 s7, ttmp6, 0x40014
	s_bfe_u32 s33, ttmp6, 0x40010
	s_lshr_b32 s3, ttmp7, 16
	s_add_co_i32 s7, s7, 1
	s_and_b32 s21, ttmp7, 0xffff
	s_add_co_i32 s33, s33, 1
	s_bfe_u32 s10, ttmp6, 0x40008
	s_mul_i32 s7, s3, s7
	s_bfe_u32 s34, ttmp6, 0x40004
	s_mul_i32 s33, s21, s33
	s_mov_b32 s11, s23
	s_add_co_i32 s35, s10, s7
	s_add_co_i32 s34, s34, s33
	s_cmp_eq_u32 s15, 0
	s_cselect_b32 s7, s21, s34
	s_cselect_b32 s3, s3, s35
	s_wait_kmcnt 0x0
	s_mov_b32 s10, s24
	s_delay_alu instid0(SALU_CYCLE_1) | instskip(NEXT) | instid1(SALU_CYCLE_1)
	s_mul_u64 s[8:9], s[8:9], s[10:11]
	s_add_co_i32 s8, s9, s20
	s_delay_alu instid0(SALU_CYCLE_1) | instskip(SKIP_2) | instid1(SALU_CYCLE_1)
	s_lshr_b32 s15, s8, s25
	s_load_b32 s8, s[0:1], 0x40
	s_mul_i32 s9, s15, s26
	s_sub_co_i32 s9, s20, s9
	s_delay_alu instid0(SALU_CYCLE_1) | instskip(NEXT) | instid1(SALU_CYCLE_1)
	s_mul_hi_u32 s10, s9, s27
	s_add_co_i32 s10, s9, s10
	s_delay_alu instid0(SALU_CYCLE_1) | instskip(NEXT) | instid1(SALU_CYCLE_1)
	s_lshr_b32 s21, s10, s28
	s_mul_i32 s10, s21, s29
	s_delay_alu instid0(SALU_CYCLE_1) | instskip(NEXT) | instid1(SALU_CYCLE_1)
	s_sub_co_i32 s10, s9, s10
	s_mul_hi_u32 s9, s10, s30
	s_delay_alu instid0(SALU_CYCLE_1) | instskip(NEXT) | instid1(SALU_CYCLE_1)
	s_add_co_i32 s9, s10, s9
	s_lshr_b32 s25, s9, s31
	s_mov_b32 s9, s23
	s_wait_kmcnt 0x0
	s_mul_i32 s8, s25, s8
	s_lshl_b32 s25, s25, 3
	s_sub_co_i32 s8, s10, s8
	s_delay_alu instid0(SALU_CYCLE_1) | instskip(NEXT) | instid1(SALU_CYCLE_1)
	s_mul_u64 s[10:11], s[8:9], s[22:23]
	s_add_co_i32 s8, s8, s11
	s_delay_alu instid0(SALU_CYCLE_1) | instskip(NEXT) | instid1(SALU_CYCLE_1)
	s_lshr_b32 s24, s8, s13
	s_lshl_b32 s8, s24, 3
	s_delay_alu instid0(SALU_CYCLE_1) | instskip(NEXT) | instid1(SALU_CYCLE_1)
	s_add_co_i32 s8, s8, s7
	s_cmp_lt_i32 s8, s4
	s_cselect_b32 s8, -1, 0
	s_add_co_i32 s25, s25, s3
	s_delay_alu instid0(SALU_CYCLE_1) | instskip(SKIP_1) | instid1(SALU_CYCLE_1)
	s_cmp_lt_i32 s25, s6
	s_cselect_b32 s9, -1, 0
	s_and_b32 s8, s8, s9
	s_delay_alu instid0(SALU_CYCLE_1)
	s_and_not1_b32 vcc_lo, exec_lo, s8
	s_cbranch_vccnz .LBB3_24
; %bb.8:
	s_load_b128 s[8:11], s[0:1], 0x0
	s_wait_xcnt 0x0
	s_mul_i32 s0, s15, s4
	s_mul_i32 s21, s21, s6
	s_add_co_i32 s0, s0, s7
	s_add_co_i32 s1, s25, s21
	s_mul_i32 s0, s0, s5
	s_mul_i32 s4, s5, s24
	s_add_co_i32 s0, s1, s0
	s_mulk_i32 s4, 0x240
	s_mulk_i32 s0, 0x48
	s_lshl_b32 s15, s7, 3
	v_add3_u32 v2, s4, s0, v0
	s_add_nc_u64 s[0:1], s[16:17], 0
	s_add_co_i32 s15, s15, s3
	s_xor_b64 s[6:7], s[0:1], 0
	s_lshl_b32 s0, s2, 6
	s_cvt_f32_u32 s3, s6
	s_cvt_f32_u32 s4, s7
	s_add_co_i32 s0, s15, s0
	v_cvt_f32_u32_e32 v4, s16
	s_wait_kmcnt 0x0
	global_load_b32 v1, v2, s[8:9] scale_offset
	s_fmamk_f32 s3, s4, 0x4f800000, s3
	s_ashr_i32 s1, s0, 31
	s_lshl_b32 s24, s16, 8
	s_lshl_b64 s[0:1], s[0:1], 3
	v_s_rcp_f32 s3, s3
	s_add_nc_u64 s[0:1], s[10:11], s[0:1]
	v_rcp_iflag_f32_e32 v4, v4
	s_load_b64 s[28:29], s[0:1], 0x0
	s_mov_b32 s25, 0
	v_mad_u32 v6, 0x48, s15, v0
	v_ashrrev_i32_e32 v3, 31, v2
	s_wait_xcnt 0x0
	s_lshl_b64 s[0:1], s[24:25], 2
	s_mul_f32 s3, s3, 0x5f7ffffc
	v_mul_f32_e32 v4, 0x4f7ffffe, v4
	s_add_nc_u64 s[26:27], s[10:11], s[0:1]
	v_lshl_add_u64 v[2:3], v[2:3], 2, s[8:9]
	s_mul_f32 s4, s3, 0x2f800000
	s_mov_b64 s[8:9], 0xffffffff
	v_cvt_u32_f32_e32 v7, v4
	s_add_co_i32 s36, s2, -1
	s_trunc_f32 s4, s4
	s_sub_nc_u64 s[34:35], 0, s[6:7]
	s_delay_alu instid0(SALU_CYCLE_2)
	s_fmamk_f32 s0, s4, 0xcf800000, s3
	s_cvt_u32_f32 s31, s4
	s_wait_kmcnt 0x0
	v_mov_b32_e32 v0, s29
	s_cvt_u32_f32 s30, s0
.LBB3_9:                                ; =>This Inner Loop Header: Depth=1
	s_ashr_i32 s37, s36, 31
                                        ; implicit-def: $sgpr40_sgpr41
	s_delay_alu instid0(SALU_CYCLE_1) | instskip(NEXT) | instid1(SALU_CYCLE_1)
	s_mul_u64 s[0:1], s[36:37], s[18:19]
	s_and_b64 s[2:3], s[0:1], 0xffffffff00000000
	s_delay_alu instid0(SALU_CYCLE_1)
	s_cmp_lg_u64 s[2:3], 0
	s_mov_b32 s2, -1
	s_cbranch_scc0 .LBB3_11
; %bb.10:                               ;   in Loop: Header=BB3_9 Depth=1
	s_mul_u64 s[2:3], s[34:35], s[30:31]
	s_delay_alu instid0(SALU_CYCLE_1)
	s_mul_hi_u32 s5, s30, s3
	s_mul_i32 s4, s30, s3
	s_mul_hi_u32 s24, s30, s2
	s_mul_hi_u32 s17, s31, s2
	s_add_nc_u64 s[4:5], s[24:25], s[4:5]
	s_mul_i32 s2, s31, s2
	s_mul_hi_u32 s21, s31, s3
	s_add_co_u32 s2, s4, s2
	s_add_co_ci_u32 s24, s5, s17
	s_add_co_ci_u32 s5, s21, 0
	s_mul_i32 s4, s31, s3
	s_delay_alu instid0(SALU_CYCLE_1) | instskip(NEXT) | instid1(SALU_CYCLE_1)
	s_add_nc_u64 s[2:3], s[24:25], s[4:5]
	s_add_co_u32 s2, s30, s2
	s_cselect_b32 s4, -1, 0
	s_delay_alu instid0(SALU_CYCLE_1) | instskip(SKIP_1) | instid1(SALU_CYCLE_1)
	s_cmp_lg_u32 s4, 0
	s_add_co_ci_u32 s3, s31, s3
	s_mul_u64 s[4:5], s[34:35], s[2:3]
	s_delay_alu instid0(SALU_CYCLE_1)
	s_mul_hi_u32 s39, s2, s5
	s_mul_i32 s38, s2, s5
	s_mul_hi_u32 s24, s2, s4
	s_mul_hi_u32 s17, s3, s4
	s_mul_i32 s4, s3, s4
	s_add_nc_u64 s[38:39], s[24:25], s[38:39]
	s_mul_hi_u32 s21, s3, s5
	s_add_co_u32 s4, s38, s4
	s_add_co_ci_u32 s24, s39, s17
	s_mul_i32 s4, s3, s5
	s_add_co_ci_u32 s5, s21, 0
	s_delay_alu instid0(SALU_CYCLE_1) | instskip(NEXT) | instid1(SALU_CYCLE_1)
	s_add_nc_u64 s[4:5], s[24:25], s[4:5]
	s_add_co_u32 s17, s2, s4
	s_cselect_b32 s2, -1, 0
	s_delay_alu instid0(SALU_CYCLE_1) | instskip(SKIP_2) | instid1(SALU_CYCLE_1)
	s_cmp_lg_u32 s2, 0
	s_add_co_ci_u32 s21, s3, s5
	s_ashr_i32 s2, s1, 31
	s_mov_b32 s3, s2
	s_delay_alu instid0(SALU_CYCLE_1) | instskip(NEXT) | instid1(SALU_CYCLE_1)
	s_add_nc_u64 s[4:5], s[0:1], s[2:3]
	s_xor_b64 s[4:5], s[4:5], s[2:3]
	s_delay_alu instid0(SALU_CYCLE_1)
	s_mul_hi_u32 s39, s4, s21
	s_mul_i32 s38, s4, s21
	s_mul_hi_u32 s24, s4, s17
	s_mul_hi_u32 s29, s5, s17
	s_mul_i32 s17, s5, s17
	s_add_nc_u64 s[38:39], s[24:25], s[38:39]
	s_mul_hi_u32 s1, s5, s21
	s_add_co_u32 s17, s38, s17
	s_add_co_ci_u32 s24, s39, s29
	s_mul_i32 s40, s5, s21
	s_add_co_ci_u32 s41, s1, 0
	s_delay_alu instid0(SALU_CYCLE_1) | instskip(NEXT) | instid1(SALU_CYCLE_1)
	s_add_nc_u64 s[38:39], s[24:25], s[40:41]
	s_and_b64 s[40:41], s[38:39], 0xffffffff00000000
	s_delay_alu instid0(SALU_CYCLE_1) | instskip(NEXT) | instid1(SALU_CYCLE_1)
	s_or_b32 s40, s40, s38
	s_mul_u64 s[38:39], s[6:7], s[40:41]
	s_add_nc_u64 s[42:43], s[40:41], 1
	s_sub_co_u32 s1, s4, s38
	s_cselect_b32 s4, -1, 0
	s_sub_co_i32 s17, s5, s39
	s_cmp_lg_u32 s4, 0
	s_add_nc_u64 s[44:45], s[40:41], 2
	s_sub_co_ci_u32 s17, s17, s7
	s_sub_co_u32 s21, s1, s6
	s_cselect_b32 s24, -1, 0
	s_delay_alu instid0(SALU_CYCLE_1) | instskip(SKIP_1) | instid1(SALU_CYCLE_1)
	s_cmp_lg_u32 s24, 0
	s_sub_co_ci_u32 s17, s17, 0
	s_cmp_ge_u32 s17, s7
	s_cselect_b32 s24, -1, 0
	s_cmp_ge_u32 s21, s6
	s_cselect_b32 s21, -1, 0
	s_cmp_eq_u32 s17, s7
	s_cselect_b32 s17, s21, s24
	s_delay_alu instid0(SALU_CYCLE_1) | instskip(SKIP_4) | instid1(SALU_CYCLE_1)
	s_cmp_lg_u32 s17, 0
	s_cselect_b32 s17, s44, s42
	s_cselect_b32 s21, s45, s43
	s_cmp_lg_u32 s4, 0
	s_sub_co_ci_u32 s4, s5, s39
	s_cmp_ge_u32 s4, s7
	s_cselect_b32 s5, -1, 0
	s_cmp_ge_u32 s1, s6
	s_cselect_b32 s1, -1, 0
	s_cmp_eq_u32 s4, s7
	s_cselect_b32 s1, s1, s5
	s_delay_alu instid0(SALU_CYCLE_1) | instskip(SKIP_3) | instid1(SALU_CYCLE_1)
	s_cmp_lg_u32 s1, 0
	s_cselect_b32 s5, s21, s41
	s_cselect_b32 s4, s17, s40
	s_xor_b64 s[2:3], s[2:3], 0
	s_xor_b64 s[4:5], s[4:5], s[2:3]
	s_delay_alu instid0(SALU_CYCLE_1)
	s_sub_nc_u64 s[40:41], s[4:5], s[2:3]
	s_mov_b32 s2, 0
.LBB3_11:                               ;   in Loop: Header=BB3_9 Depth=1
	s_delay_alu instid0(SALU_CYCLE_1)
	s_and_not1_b32 vcc_lo, exec_lo, s2
	s_cbranch_vccnz .LBB3_13
; %bb.12:                               ;   in Loop: Header=BB3_9 Depth=1
	v_readfirstlane_b32 s1, v7
	s_sub_co_i32 s2, 0, s16
	s_delay_alu instid0(SALU_CYCLE_1) | instskip(NEXT) | instid1(SALU_CYCLE_1)
	s_mul_i32 s2, s2, s1
	s_mul_hi_u32 s2, s1, s2
	s_delay_alu instid0(SALU_CYCLE_1) | instskip(NEXT) | instid1(SALU_CYCLE_1)
	s_add_co_i32 s1, s1, s2
	s_mul_hi_u32 s1, s0, s1
	s_delay_alu instid0(SALU_CYCLE_1) | instskip(NEXT) | instid1(SALU_CYCLE_1)
	s_mul_i32 s2, s1, s16
	s_sub_co_i32 s0, s0, s2
	s_add_co_i32 s2, s1, 1
	s_sub_co_i32 s3, s0, s16
	s_cmp_ge_u32 s0, s16
	s_cselect_b32 s1, s2, s1
	s_cselect_b32 s0, s3, s0
	s_add_co_i32 s2, s1, 1
	s_cmp_ge_u32 s0, s16
	s_cselect_b32 s24, s2, s1
	s_delay_alu instid0(SALU_CYCLE_1)
	s_mov_b64 s[40:41], s[24:25]
.LBB3_13:                               ;   in Loop: Header=BB3_9 Depth=1
	s_delay_alu instid0(SALU_CYCLE_1)
	s_cmp_lg_u32 s20, s40
	s_mov_b32 s0, -1
                                        ; implicit-def: $vgpr4_vgpr5
                                        ; implicit-def: $sgpr24
                                        ; implicit-def: $sgpr17
                                        ; implicit-def: $sgpr21
                                        ; implicit-def: $sgpr29
	s_cbranch_scc0 .LBB3_18
; %bb.14:                               ;   in Loop: Header=BB3_9 Depth=1
	s_add_co_i32 s0, s36, s16
	v_max_num_f32_e64 v4, s28, s28
	s_lshl_b32 s0, s0, 6
	s_mov_b32 s29, s20
	s_add_co_i32 s0, s0, s15
	s_load_b64 s[38:39], s[10:11], s0 offset:0x0 scale_offset
	s_wait_xcnt 0x0
	v_readfirstlane_b32 s0, v4
	s_wait_kmcnt 0x0
	v_max_num_f32_e64 v5, s38, s38
	s_delay_alu instid0(VALU_DEP_1) | instskip(SKIP_1) | instid1(SALU_CYCLE_3)
	v_readfirstlane_b32 s1, v5
	s_max_num_f32 s17, s0, s1
	s_sub_f32 s33, s28, s17
	s_sub_f32 s37, s38, s17
	s_delay_alu instid0(SALU_CYCLE_2)
	s_cmp_nlt_f32 s33, 0xc2ce8ed0
	s_cselect_b32 s1, -1, 0
	s_cmp_ngt_f32 s33, 0x42b17218
	s_cselect_b32 s2, -1, 0
	s_cmp_ge_f32 s33, 0xc1a00000
	s_cselect_b32 s0, -1, 0
	s_cmp_nlt_f32 s37, 0xc2ce8ed0
	s_cselect_b32 s3, -1, 0
	s_cmp_ngt_f32 s37, 0x42b17218
	s_cselect_b32 s4, -1, 0
	s_cmp_ge_f32 s37, 0xc1a00000
	s_cselect_b32 s5, -1, 0
	s_and_b64 s[42:43], s[40:41], s[8:9]
	s_delay_alu instid0(SALU_CYCLE_1) | instskip(NEXT) | instid1(SALU_CYCLE_1)
	s_mul_u64 s[42:43], s[42:43], s[22:23]
	s_add_co_i32 s21, s43, s40
	s_delay_alu instid0(SALU_CYCLE_1) | instskip(NEXT) | instid1(SALU_CYCLE_1)
	s_lshr_b32 s21, s21, s13
	s_mul_i32 s24, s21, s14
	s_delay_alu instid0(SALU_CYCLE_1) | instskip(SKIP_3) | instid1(SALU_CYCLE_1)
	s_cmp_eq_u32 s24, s40
	s_cselect_b32 s24, -1, 0
	s_cmp_lt_u32 s21, s12
	s_cselect_b32 s21, -1, 0
	s_or_b32 s21, s21, s24
	s_mov_b32 s24, -1
	s_and_b32 vcc_lo, exec_lo, s21
	s_mov_b32 s21, s36
	s_cbranch_vccnz .LBB3_16
; %bb.15:                               ;   in Loop: Header=BB3_9 Depth=1
	s_add_co_i32 s21, s36, -1
	s_mov_b32 s24, 0
	s_mov_b32 s29, s40
.LBB3_16:                               ;   in Loop: Header=BB3_9 Depth=1
	v_mad_u32 v4, 0x1200, s36, v6
	s_mul_f32 s40, s33, 0x3fb8aa3b
	s_mul_f32 s38, s37, 0x3fb8aa3b
	s_delay_alu instid0(SALU_CYCLE_2)
	s_xor_b32 s42, s40, 0x80000000
	s_rndne_f32 s44, s40
	s_fmamk_f32 s42, s33, 0x3fb8aa3b, s42
	s_xor_b32 s41, s38, 0x80000000
	s_rndne_f32 s43, s38
	s_sub_f32 s40, s40, s44
	global_load_b32 v5, v4, s[26:27] scale_offset
	s_fmamk_f32 s33, s33, 0x32a5705f, s42
	s_fmamk_f32 s41, s37, 0x3fb8aa3b, s41
	s_sub_f32 s38, s38, s43
	s_delay_alu instid0(SALU_CYCLE_1) | instskip(NEXT) | instid1(SALU_CYCLE_1)
	s_add_f32 s33, s40, s33
	s_fmamk_f32 s37, s37, 0x32a5705f, s41
	s_cvt_i32_f32 s40, s44
	s_delay_alu instid0(SALU_CYCLE_1) | instskip(NEXT) | instid1(SALU_CYCLE_1)
	v_s_exp_f32 s33, s33
	s_add_f32 s37, s38, s37
	s_cvt_i32_f32 s38, s43
	s_delay_alu instid0(SALU_CYCLE_2) | instskip(NEXT) | instid1(TRANS32_DEP_2)
	v_s_exp_f32 s37, s37
	v_ldexp_f32 v8, s33, s40
	s_wait_xcnt 0x0
	s_delay_alu instid0(TRANS32_DEP_1) | instskip(NEXT) | instid1(VALU_DEP_2)
	v_ldexp_f32 v4, s37, s38
	v_cndmask_b32_e64 v8, 0, v8, s1
	s_delay_alu instid0(VALU_DEP_1) | instskip(NEXT) | instid1(VALU_DEP_1)
	v_cndmask_b32_e64 v9, 0x7f800000, v8, s2
	v_dual_cndmask_b32 v4, 0, v4, s3 :: v_dual_cndmask_b32 v10, 0, v9, s0
	s_delay_alu instid0(VALU_DEP_1) | instskip(NEXT) | instid1(VALU_DEP_1)
	v_cndmask_b32_e64 v4, 0x7f800000, v4, s4
	v_dual_cndmask_b32 v8, 0, v4, s5 :: v_dual_mov_b32 v4, s39
	s_wait_loadcnt 0x0
	s_delay_alu instid0(VALU_DEP_1) | instskip(NEXT) | instid1(VALU_DEP_1)
	v_pk_mul_f32 v[4:5], v[4:5], v[8:9] op_sel_hi:[1,0]
	v_pk_fma_f32 v[4:5], v[0:1], v[10:11], v[4:5] op_sel_hi:[1,0,1]
	s_cbranch_execz .LBB3_19
.LBB3_17:                               ;   in Loop: Header=BB3_9 Depth=1
	s_and_not1_b32 vcc_lo, exec_lo, s24
	s_cbranch_vccnz .LBB3_20
	s_branch .LBB3_23
.LBB3_18:                               ;   in Loop: Header=BB3_9 Depth=1
	s_and_not1_b32 vcc_lo, exec_lo, s0
	s_cbranch_vccnz .LBB3_17
.LBB3_19:                               ;   in Loop: Header=BB3_9 Depth=1
	s_wait_loadcnt 0x0
	v_mov_b64_e32 v[4:5], v[0:1]
	s_add_co_i32 s21, s36, -1
	s_mov_b32 s29, s20
	s_mov_b32 s17, s28
	s_cbranch_execz .LBB3_23
.LBB3_20:                               ;   in Loop: Header=BB3_9 Depth=1
	s_wait_loadcnt 0x0
	s_delay_alu instid0(VALU_DEP_1)
	v_mov_b64_e32 v[0:1], v[4:5]
	s_mov_b32 s20, s29
	s_mov_b32 s36, s21
	;; [unrolled: 1-line block ×3, first 2 shown]
	s_branch .LBB3_9
.LBB3_21:
                                        ; implicit-def: $sgpr20_sgpr21
	s_branch .LBB3_2
.LBB3_22:
                                        ; implicit-def: $sgpr24_sgpr25
	s_load_b96 s[12:14], s[0:1], 0x44
	s_branch .LBB3_5
.LBB3_23:
	s_delay_alu instid0(VALU_DEP_1) | instskip(SKIP_1) | instid1(VALU_DEP_1)
	v_div_scale_f32 v0, null, v4, v4, v5
	s_wait_loadcnt 0x0
	v_rcp_f32_e32 v1, v0
	v_nop
	s_delay_alu instid0(TRANS32_DEP_1) | instskip(NEXT) | instid1(VALU_DEP_1)
	v_fma_f32 v6, -v0, v1, 1.0
	v_fmac_f32_e32 v1, v6, v1
	v_div_scale_f32 v6, vcc_lo, v5, v4, v5
	s_delay_alu instid0(VALU_DEP_1) | instskip(NEXT) | instid1(VALU_DEP_1)
	v_mul_f32_e32 v7, v6, v1
	v_fma_f32 v8, -v0, v7, v6
	s_delay_alu instid0(VALU_DEP_1) | instskip(NEXT) | instid1(VALU_DEP_1)
	v_fmac_f32_e32 v7, v8, v1
	v_fma_f32 v0, -v0, v7, v6
	s_delay_alu instid0(VALU_DEP_1) | instskip(NEXT) | instid1(VALU_DEP_1)
	v_div_fmas_f32 v0, v0, v1, v7
	v_div_fixup_f32 v0, v0, v4, v5
	global_store_b32 v[2:3], v0, off
.LBB3_24:
	s_endpgm
	.section	.rodata,"a",@progbits
	.p2align	6, 0x0
	.amdhsa_kernel _ZL33flash_attn_stream_k_fixup_generalILi72ELi8ELi8EEvPfPK15HIP_vector_typeIfLj2EEiiiiS1_IjLj3EES5_S5_S5_
		.amdhsa_group_segment_fixed_size 0
		.amdhsa_private_segment_fixed_size 0
		.amdhsa_kernarg_size 336
		.amdhsa_user_sgpr_count 2
		.amdhsa_user_sgpr_dispatch_ptr 0
		.amdhsa_user_sgpr_queue_ptr 0
		.amdhsa_user_sgpr_kernarg_segment_ptr 1
		.amdhsa_user_sgpr_dispatch_id 0
		.amdhsa_user_sgpr_kernarg_preload_length 0
		.amdhsa_user_sgpr_kernarg_preload_offset 0
		.amdhsa_user_sgpr_private_segment_size 0
		.amdhsa_wavefront_size32 1
		.amdhsa_uses_dynamic_stack 0
		.amdhsa_enable_private_segment 0
		.amdhsa_system_sgpr_workgroup_id_x 1
		.amdhsa_system_sgpr_workgroup_id_y 1
		.amdhsa_system_sgpr_workgroup_id_z 1
		.amdhsa_system_sgpr_workgroup_info 0
		.amdhsa_system_vgpr_workitem_id 0
		.amdhsa_next_free_vgpr 12
		.amdhsa_next_free_sgpr 46
		.amdhsa_named_barrier_count 0
		.amdhsa_reserve_vcc 1
		.amdhsa_float_round_mode_32 0
		.amdhsa_float_round_mode_16_64 0
		.amdhsa_float_denorm_mode_32 3
		.amdhsa_float_denorm_mode_16_64 3
		.amdhsa_fp16_overflow 0
		.amdhsa_memory_ordered 1
		.amdhsa_forward_progress 1
		.amdhsa_inst_pref_size 27
		.amdhsa_round_robin_scheduling 0
		.amdhsa_exception_fp_ieee_invalid_op 0
		.amdhsa_exception_fp_denorm_src 0
		.amdhsa_exception_fp_ieee_div_zero 0
		.amdhsa_exception_fp_ieee_overflow 0
		.amdhsa_exception_fp_ieee_underflow 0
		.amdhsa_exception_fp_ieee_inexact 0
		.amdhsa_exception_int_div_zero 0
	.end_amdhsa_kernel
	.section	.text._ZL33flash_attn_stream_k_fixup_generalILi72ELi8ELi8EEvPfPK15HIP_vector_typeIfLj2EEiiiiS1_IjLj3EES5_S5_S5_,"axG",@progbits,_ZL33flash_attn_stream_k_fixup_generalILi72ELi8ELi8EEvPfPK15HIP_vector_typeIfLj2EEiiiiS1_IjLj3EES5_S5_S5_,comdat
.Lfunc_end3:
	.size	_ZL33flash_attn_stream_k_fixup_generalILi72ELi8ELi8EEvPfPK15HIP_vector_typeIfLj2EEiiiiS1_IjLj3EES5_S5_S5_, .Lfunc_end3-_ZL33flash_attn_stream_k_fixup_generalILi72ELi8ELi8EEvPfPK15HIP_vector_typeIfLj2EEiiiiS1_IjLj3EES5_S5_S5_
                                        ; -- End function
	.set _ZL33flash_attn_stream_k_fixup_generalILi72ELi8ELi8EEvPfPK15HIP_vector_typeIfLj2EEiiiiS1_IjLj3EES5_S5_S5_.num_vgpr, 12
	.set _ZL33flash_attn_stream_k_fixup_generalILi72ELi8ELi8EEvPfPK15HIP_vector_typeIfLj2EEiiiiS1_IjLj3EES5_S5_S5_.num_agpr, 0
	.set _ZL33flash_attn_stream_k_fixup_generalILi72ELi8ELi8EEvPfPK15HIP_vector_typeIfLj2EEiiiiS1_IjLj3EES5_S5_S5_.numbered_sgpr, 46
	.set _ZL33flash_attn_stream_k_fixup_generalILi72ELi8ELi8EEvPfPK15HIP_vector_typeIfLj2EEiiiiS1_IjLj3EES5_S5_S5_.num_named_barrier, 0
	.set _ZL33flash_attn_stream_k_fixup_generalILi72ELi8ELi8EEvPfPK15HIP_vector_typeIfLj2EEiiiiS1_IjLj3EES5_S5_S5_.private_seg_size, 0
	.set _ZL33flash_attn_stream_k_fixup_generalILi72ELi8ELi8EEvPfPK15HIP_vector_typeIfLj2EEiiiiS1_IjLj3EES5_S5_S5_.uses_vcc, 1
	.set _ZL33flash_attn_stream_k_fixup_generalILi72ELi8ELi8EEvPfPK15HIP_vector_typeIfLj2EEiiiiS1_IjLj3EES5_S5_S5_.uses_flat_scratch, 0
	.set _ZL33flash_attn_stream_k_fixup_generalILi72ELi8ELi8EEvPfPK15HIP_vector_typeIfLj2EEiiiiS1_IjLj3EES5_S5_S5_.has_dyn_sized_stack, 0
	.set _ZL33flash_attn_stream_k_fixup_generalILi72ELi8ELi8EEvPfPK15HIP_vector_typeIfLj2EEiiiiS1_IjLj3EES5_S5_S5_.has_recursion, 0
	.set _ZL33flash_attn_stream_k_fixup_generalILi72ELi8ELi8EEvPfPK15HIP_vector_typeIfLj2EEiiiiS1_IjLj3EES5_S5_S5_.has_indirect_call, 0
	.section	.AMDGPU.csdata,"",@progbits
; Kernel info:
; codeLenInByte = 3352
; TotalNumSgprs: 48
; NumVgprs: 12
; ScratchSize: 0
; MemoryBound: 0
; FloatMode: 240
; IeeeMode: 1
; LDSByteSize: 0 bytes/workgroup (compile time only)
; SGPRBlocks: 0
; VGPRBlocks: 0
; NumSGPRsForWavesPerEU: 48
; NumVGPRsForWavesPerEU: 12
; NamedBarCnt: 0
; Occupancy: 16
; WaveLimiterHint : 0
; COMPUTE_PGM_RSRC2:SCRATCH_EN: 0
; COMPUTE_PGM_RSRC2:USER_SGPR: 2
; COMPUTE_PGM_RSRC2:TRAP_HANDLER: 0
; COMPUTE_PGM_RSRC2:TGID_X_EN: 1
; COMPUTE_PGM_RSRC2:TGID_Y_EN: 1
; COMPUTE_PGM_RSRC2:TGID_Z_EN: 1
; COMPUTE_PGM_RSRC2:TIDIG_COMP_CNT: 0
	.section	.text._ZL26flash_attn_combine_resultsILi72EEvPKfPK15HIP_vector_typeIfLj2EEPfi,"axG",@progbits,_ZL26flash_attn_combine_resultsILi72EEvPKfPK15HIP_vector_typeIfLj2EEPfi,comdat
	.globl	_ZL26flash_attn_combine_resultsILi72EEvPKfPK15HIP_vector_typeIfLj2EEPfi ; -- Begin function _ZL26flash_attn_combine_resultsILi72EEvPKfPK15HIP_vector_typeIfLj2EEPfi
	.p2align	8
	.type	_ZL26flash_attn_combine_resultsILi72EEvPKfPK15HIP_vector_typeIfLj2EEPfi,@function
_ZL26flash_attn_combine_resultsILi72EEvPKfPK15HIP_vector_typeIfLj2EEPfi: ; @_ZL26flash_attn_combine_resultsILi72EEvPKfPK15HIP_vector_typeIfLj2EEPfi
; %bb.0:
	s_clause 0x2
	s_load_b128 s[4:7], s[0:1], 0x0
	s_load_b96 s[8:10], s[0:1], 0x10
	s_load_b64 s[2:3], s[0:1], 0x20
	s_bfe_u32 s11, ttmp6, 0x4000c
	s_wait_xcnt 0x0
	s_and_b32 s0, ttmp6, 15
	s_add_co_i32 s11, s11, 1
	s_and_b32 s12, ttmp7, 0xffff
	s_mul_i32 s1, ttmp9, s11
	s_bfe_u32 s11, ttmp6, 0x40010
	s_bfe_u32 s13, ttmp6, 0x40014
	s_add_co_i32 s11, s11, 1
	s_add_co_i32 s0, s0, s1
	s_mul_i32 s1, s12, s11
	s_bfe_u32 s11, ttmp6, 0x40004
	s_lshr_b32 s14, ttmp7, 16
	s_add_co_i32 s13, s13, 1
	s_add_co_i32 s11, s11, s1
	s_mul_i32 s1, s14, s13
	s_bfe_u32 s13, ttmp6, 0x40008
	s_getreg_b32 s15, hwreg(HW_REG_IB_STS2, 6, 4)
	s_add_co_i32 s13, s13, s1
	s_cmp_eq_u32 s15, 0
	v_mov_b32_e32 v2, v0
	s_cselect_b32 s1, s14, s13
	s_cselect_b32 s0, ttmp9, s0
	s_wait_kmcnt 0x0
	s_mul_i32 s1, s2, s1
	s_cselect_b32 s2, s12, s11
	s_add_co_i32 s0, s1, s0
	s_lshl_b32 s12, s10, 1
	s_mul_i32 s11, s0, s3
	s_mov_b32 s13, exec_lo
	s_add_co_i32 s11, s11, s2
	s_delay_alu instid0(SALU_CYCLE_1)
	s_mul_i32 s2, s11, s10
	v_cmpx_gt_i32_e64 s12, v0
	s_cbranch_execz .LBB4_13
; %bb.1:
	v_xad_u32 v1, v0, -1, s12
	s_ashr_i32 s3, s2, 31
	s_mov_b32 s0, -1
	s_mov_b32 s14, exec_lo
	s_delay_alu instid0(VALU_DEP_1)
	v_cmpx_lt_u32_e32 0x47, v1
	s_cbranch_execz .LBB4_10
; %bb.2:
	v_mul_hi_u32 v1, 0x38e38e39, v1
	s_lshl_b64 s[0:1], s[2:3], 3
	v_mov_b32_e32 v4, 0
	s_add_nc_u64 s[0:1], s[6:7], s[0:1]
	s_delay_alu instid0(VALU_DEP_2) | instskip(SKIP_1) | instid1(VALU_DEP_2)
	v_lshrrev_b32_e32 v6, 4, v1
	v_add_nc_u32_e32 v1, 0x48, v0
	v_add_nc_u32_e32 v2, -1, v6
	s_delay_alu instid0(VALU_DEP_1) | instskip(SKIP_1) | instid1(VALU_DEP_2)
	v_lshrrev_b32_e32 v3, 1, v2
	v_cmp_lt_u32_e32 vcc_lo, 13, v2
	v_add_nc_u32_e32 v7, 1, v3
	v_mov_b64_e32 v[2:3], v[0:1]
	s_and_saveexec_b32 s15, vcc_lo
	s_cbranch_execz .LBB4_6
; %bb.3:
	v_mov_b64_e32 v[2:3], v[0:1]
	v_dual_mov_b32 v5, 0 :: v_dual_bitop2_b32 v8, -8, v7 bitop3:0x40
	v_lshl_add_u32 v9, v0, 2, 0
	s_mov_b32 s16, 0
	s_mov_b32 s17, 0
.LBB4_4:                                ; =>This Inner Loop Header: Depth=1
	s_delay_alu instid0(VALU_DEP_2) | instskip(NEXT) | instid1(VALU_DEP_4)
	v_dual_mov_b32 v4, v2 :: v_dual_mov_b32 v11, v5
	v_dual_mov_b32 v13, v5 :: v_dual_add_nc_u32 v10, 0x90, v3
	v_dual_mov_b32 v15, v5 :: v_dual_add_nc_u32 v12, 0x120, v3
	s_delay_alu instid0(VALU_DEP_3) | instskip(SKIP_1) | instid1(VALU_DEP_4)
	v_lshl_add_u64 v[24:25], v[4:5], 2, s[0:1]
	v_mov_b32_e32 v4, v3
	v_lshl_add_u64 v[10:11], v[10:11], 2, s[0:1]
	s_delay_alu instid0(VALU_DEP_4) | instskip(SKIP_1) | instid1(VALU_DEP_4)
	v_lshl_add_u64 v[12:13], v[12:13], 2, s[0:1]
	v_dual_mov_b32 v17, v5 :: v_dual_add_nc_u32 v14, 0x1b0, v3
	v_lshl_add_u64 v[26:27], v[4:5], 2, s[0:1]
	v_add_nc_u32_e32 v4, 0x90, v2
	global_load_b32 v1, v[24:25], off
	v_dual_mov_b32 v19, v5 :: v_dual_add_nc_u32 v16, 0x240, v3
	global_load_b32 v28, v[26:27], off
	s_wait_xcnt 0x1
	v_lshl_add_u64 v[24:25], v[4:5], 2, s[0:1]
	v_add_nc_u32_e32 v4, 0x120, v2
	s_clause 0x1
	global_load_b32 v29, v[24:25], off
	global_load_b32 v30, v[10:11], off
	s_wait_xcnt 0x2
	v_lshl_add_u64 v[26:27], v[4:5], 2, s[0:1]
	v_add_nc_u32_e32 v4, 0x1b0, v2
	v_lshl_add_u64 v[14:15], v[14:15], 2, s[0:1]
	v_dual_mov_b32 v21, v5 :: v_dual_add_nc_u32 v18, 0x2d0, v3
	global_load_b32 v26, v[26:27], off
	s_wait_xcnt 0x1
	v_lshl_add_u64 v[10:11], v[4:5], 2, s[0:1]
	v_add_nc_u32_e32 v4, 0x240, v2
	global_load_b32 v27, v[12:13], off
	v_dual_mov_b32 v23, v5 :: v_dual_add_nc_u32 v20, 0x360, v3
	s_clause 0x1
	global_load_b32 v31, v[10:11], off
	global_load_b32 v32, v[14:15], off
	v_lshl_add_u64 v[24:25], v[4:5], 2, s[0:1]
	v_add_nc_u32_e32 v4, 0x2d0, v2
	v_add_nc_u32_e32 v22, 0x3f0, v3
	v_lshl_add_u64 v[16:17], v[16:17], 2, s[0:1]
	v_lshl_add_u64 v[18:19], v[18:19], 2, s[0:1]
	;; [unrolled: 1-line block ×3, first 2 shown]
	s_wait_xcnt 0x2
	v_lshl_add_u64 v[12:13], v[4:5], 2, s[0:1]
	v_add_nc_u32_e32 v4, 0x360, v2
	s_clause 0x2
	global_load_b32 v14, v[24:25], off
	global_load_b32 v15, v[16:17], off
	;; [unrolled: 1-line block ×3, first 2 shown]
	v_lshl_add_u64 v[22:23], v[22:23], 2, s[0:1]
	s_add_co_i32 s17, s17, 16
	v_lshl_add_u64 v[10:11], v[4:5], 2, s[0:1]
	v_add_nc_u32_e32 v4, 0x3f0, v2
	v_add_nc_u32_e32 v8, -8, v8
	v_add_nc_u32_e32 v3, 0x480, v3
	v_add_nc_u32_e32 v2, 0x480, v2
	s_wait_xcnt 0x0
	v_lshl_add_u64 v[12:13], v[4:5], 2, s[0:1]
	s_clause 0x4
	global_load_b32 v16, v[18:19], off
	global_load_b32 v17, v[10:11], off
	;; [unrolled: 1-line block ×5, first 2 shown]
	v_mov_b32_e32 v4, s17
	v_cmp_eq_u32_e32 vcc_lo, 0, v8
	s_wait_xcnt 0x3
	v_add_nc_u32_e32 v10, 0x400, v9
	v_add_nc_u32_e32 v11, 0x800, v9
	s_wait_xcnt 0x1
	v_add_nc_u32_e32 v12, 0xa00, v9
	v_add_nc_u32_e32 v13, 0xc00, v9
	;; [unrolled: 1-line block ×3, first 2 shown]
	s_or_b32 s16, vcc_lo, s16
	s_wait_loadcnt 0xe
	ds_store_2addr_b32 v9, v1, v28 offset1:72
	s_wait_loadcnt 0xc
	ds_store_2addr_b32 v9, v29, v30 offset0:144 offset1:216
	v_add_nc_u32_e32 v9, 0x1200, v9
	s_wait_loadcnt 0xa
	ds_store_2addr_b32 v10, v26, v27 offset0:32 offset1:104
	s_wait_loadcnt 0x8
	ds_store_2addr_b32 v10, v31, v32 offset0:176 offset1:248
	;; [unrolled: 2-line block ×6, first 2 shown]
	s_wait_xcnt 0x0
	s_and_not1_b32 exec_lo, exec_lo, s16
	s_cbranch_execnz .LBB4_4
; %bb.5:
	s_or_b32 exec_lo, exec_lo, s16
.LBB4_6:
	s_delay_alu instid0(SALU_CYCLE_1) | instskip(SKIP_3) | instid1(VALU_DEP_1)
	s_or_b32 exec_lo, exec_lo, s15
	v_and_b32_e32 v1, 7, v7
	s_mov_b32 s16, 0
	s_mov_b32 s15, exec_lo
	v_cmpx_ne_u32_e32 0, v1
	s_cbranch_execz .LBB4_9
; %bb.7:
	v_mul_lo_u32 v4, 0x120, v4
	v_lshlrev_b32_e32 v5, 2, v0
	s_delay_alu instid0(VALU_DEP_1)
	v_add3_u32 v7, v4, v5, 0
	v_mov_b32_e32 v5, 0
.LBB4_8:                                ; =>This Inner Loop Header: Depth=1
	v_dual_mov_b32 v4, v2 :: v_dual_add_nc_u32 v1, -1, v1
	v_add_nc_u32_e32 v2, 0x90, v2
	s_delay_alu instid0(VALU_DEP_2) | instskip(SKIP_1) | instid1(VALU_DEP_4)
	v_lshl_add_u64 v[8:9], v[4:5], 2, s[0:1]
	v_dual_mov_b32 v4, v3 :: v_dual_add_nc_u32 v3, 0x90, v3
	v_cmp_eq_u32_e32 vcc_lo, 0, v1
	s_delay_alu instid0(VALU_DEP_2)
	v_lshl_add_u64 v[10:11], v[4:5], 2, s[0:1]
	s_clause 0x1
	global_load_b32 v4, v[8:9], off
	global_load_b32 v12, v[10:11], off
	s_or_b32 s16, vcc_lo, s16
	s_wait_loadcnt 0x0
	ds_store_2addr_b32 v7, v4, v12 offset1:72
	v_add_nc_u32_e32 v7, 0x240, v7
	s_and_not1_b32 exec_lo, exec_lo, s16
	s_cbranch_execnz .LBB4_8
.LBB4_9:
	s_or_b32 exec_lo, exec_lo, s15
	v_add_nc_u32_e32 v1, 1, v6
	s_delay_alu instid0(VALU_DEP_1) | instskip(NEXT) | instid1(VALU_DEP_1)
	v_and_b32_e32 v3, 0x7fffffe, v1
	v_mad_u32 v2, 0x48, v3, v0
	v_cmp_ne_u32_e32 vcc_lo, v1, v3
	s_or_not1_b32 s0, vcc_lo, exec_lo
.LBB4_10:
	s_or_b32 exec_lo, exec_lo, s14
	s_delay_alu instid0(SALU_CYCLE_1)
	s_and_b32 exec_lo, exec_lo, s0
	s_cbranch_execz .LBB4_13
; %bb.11:
	v_mov_b32_e32 v3, 0
	s_lshl_b64 s[0:1], s[2:3], 3
	s_delay_alu instid0(VALU_DEP_3)
	v_lshl_add_u32 v1, v2, 2, 0
	s_add_nc_u64 s[0:1], s[6:7], s[0:1]
	s_delay_alu instid0(VALU_DEP_2) | instid1(SALU_CYCLE_1)
	v_lshl_add_u64 v[4:5], v[2:3], 2, s[0:1]
	s_mov_b32 s0, 0
.LBB4_12:                               ; =>This Inner Loop Header: Depth=1
	global_load_b32 v3, v[4:5], off
	v_add_nc_u32_e32 v2, 0x48, v2
	s_wait_xcnt 0x0
	v_add_nc_u64_e32 v[4:5], 0x120, v[4:5]
	s_delay_alu instid0(VALU_DEP_2)
	v_cmp_le_i32_e32 vcc_lo, s12, v2
	s_or_b32 s0, vcc_lo, s0
	s_wait_loadcnt 0x0
	ds_store_b32 v1, v3
	v_add_nc_u32_e32 v1, 0x120, v1
	s_and_not1_b32 exec_lo, exec_lo, s0
	s_cbranch_execnz .LBB4_12
.LBB4_13:
	s_or_b32 exec_lo, exec_lo, s13
	v_mov_b32_e32 v1, 0
	s_wait_dscnt 0x0
	s_barrier_signal -1
	s_barrier_wait -1
	ds_load_b32 v1, v1
	s_cmp_lt_i32 s10, 2
	s_wait_dscnt 0x0
	v_readfirstlane_b32 s6, v1
	s_cbranch_scc1 .LBB4_21
; %bb.14:
	s_cmp_eq_u32 s10, 2
	s_cbranch_scc1 .LBB4_18
; %bb.15:
	v_dual_mov_b32 v3, s6 :: v_dual_mov_b32 v4, s6
	s_add_co_i32 s1, s10, -1
	s_add_co_i32 s7, 0, 8
	s_and_b32 s3, s1, -2
	s_mov_b32 s6, 2
.LBB4_16:                               ; =>This Inner Loop Header: Depth=1
	v_dual_mov_b32 v1, s7 :: v_dual_mov_b32 v2, v3
	s_cmp_lg_u32 s3, s6
	s_cselect_b32 s12, -1, 0
	ds_load_2addr_b32 v[6:7], v1 offset1:2
	v_dual_mov_b32 v1, v4 :: v_dual_max_num_f32 v5, v2, v2
	s_delay_alu instid0(VALU_DEP_1)
	v_max_num_f32_e32 v3, v1, v1
	s_wait_dscnt 0x0
	v_cmp_u_f32_e32 vcc_lo, v7, v7
	v_max_num_f32_e32 v7, v7, v7
	v_cndmask_b32_e64 v4, 0, 1, vcc_lo
	v_cmp_u_f32_e32 vcc_lo, v6, v6
	v_max_num_f32_e32 v6, v6, v6
	s_delay_alu instid0(VALU_DEP_3) | instskip(SKIP_1) | instid1(VALU_DEP_3)
	v_readfirstlane_b32 s0, v4
	v_cndmask_b32_e64 v8, 0, 1, vcc_lo
	v_dual_max_num_f32 v4, v3, v7 :: v_dual_max_num_f32 v3, v5, v6
	s_lshl_b32 s0, s0, 1
	s_delay_alu instid0(VALU_DEP_2) | instskip(SKIP_1) | instid1(SALU_CYCLE_1)
	v_readfirstlane_b32 s13, v8
	s_or_b32 s0, s13, s0
	s_and_b32 s13, s0, 3
	s_delay_alu instid0(SALU_CYCLE_1)
	s_cmp_lg_u32 s13, 0
	s_cselect_b32 s0, -1, 0
	s_cmp_eq_u32 s13, 0
	s_cselect_b32 s13, -1, 0
	s_add_co_i32 s6, s6, 2
	s_and_b32 s12, s13, s12
	s_add_co_i32 s7, s7, 16
	s_and_b32 vcc_lo, exec_lo, s12
	s_cbranch_vccnz .LBB4_16
; %bb.17:
	v_dual_cndmask_b32 v2, v3, v2, s0 :: v_dual_cndmask_b32 v1, v4, v1, s0
	s_add_co_i32 s6, s6, -4
	s_and_b32 s7, s0, exec_lo
	s_cselect_b32 s6, s6, s1
	s_delay_alu instid0(VALU_DEP_1) | instskip(SKIP_3) | instid1(VALU_DEP_1)
	v_dual_max_num_f32 v2, v2, v2 :: v_dual_max_num_f32 v1, v1, v1
	s_or_b32 s7, s6, 1
	s_cmp_lg_u32 s1, s3
	s_cselect_b32 s1, -1, 0
	v_readfirstlane_b32 s12, v2
	v_readfirstlane_b32 s13, v1
	s_or_b32 s0, s1, s0
	s_max_num_f32 s6, s12, s13
	s_and_b32 vcc_lo, exec_lo, s0
	s_cbranch_vccnz .LBB4_19
	s_branch .LBB4_21
.LBB4_18:
	s_mov_b32 s7, 1
	s_cbranch_execz .LBB4_21
.LBB4_19:
	s_lshl_b32 s1, s7, 3
	s_sub_co_i32 s0, s10, s7
	s_add_co_i32 s1, s1, 0
.LBB4_20:                               ; =>This Inner Loop Header: Depth=1
	s_delay_alu instid0(SALU_CYCLE_1) | instskip(NEXT) | instid1(SALU_CYCLE_1)
	v_mov_b32_e32 v1, s1
	v_max_num_f32_e64 v2, s6, s6
	s_add_co_i32 s0, s0, -1
	s_add_co_i32 s1, s1, 8
	s_cmp_eq_u32 s0, 0
	ds_load_b32 v1, v1
	v_readfirstlane_b32 s3, v2
	s_wait_dscnt 0x0
	v_max_num_f32_e32 v1, v1, v1
	s_delay_alu instid0(VALU_DEP_1)
	v_readfirstlane_b32 s6, v1
	s_max_num_f32 s6, s3, s6
	s_cbranch_scc0 .LBB4_20
.LBB4_21:
	s_cmp_lt_i32 s10, 1
	s_cbranch_scc1 .LBB4_26
; %bb.22:
	s_mul_i32 s0, s2, 0x48
	s_delay_alu instid0(SALU_CYCLE_1)
	s_ashr_i32 s1, s0, 31
	s_cmp_lt_u32 s10, 8
	s_cbranch_scc1 .LBB4_27
; %bb.23:
	v_dual_mov_b32 v3, 0 :: v_dual_lshlrev_b32 v2, 2, v0
	s_lshl_b64 s[2:3], s[0:1], 2
	v_add_nc_u32_e32 v1, 0x120, v0
	s_add_nc_u64 s[2:3], s[4:5], s[2:3]
	s_and_b32 s7, s10, 0x7ffffff8
	v_add_nc_u64_e32 v[4:5], s[2:3], v[2:3]
	v_mov_b32_e32 v2, v3
	s_mov_b32 s12, 0
	s_mov_b32 s13, 0
.LBB4_24:                               ; =>This Inner Loop Header: Depth=1
	s_clause 0x1
	global_load_b32 v23, v[4:5], off
	global_load_b32 v25, v[4:5], off offset:288
	v_add_nc_u32_e32 v6, 0xffffff70, v1
	v_dual_mov_b32 v18, s13 :: v_dual_add_nc_u32 v7, 0xffffffb8, v1
	s_wait_xcnt 0x0
	v_add_nc_u64_e32 v[4:5], 0x900, v[4:5]
	s_clause 0x2
	global_load_b32 v27, v6, s[2:3] scale_offset
	global_load_b32 v29, v7, s[2:3] scale_offset
	;; [unrolled: 1-line block ×3, first 2 shown]
	s_wait_xcnt 0x2
	v_add_nc_u32_e32 v6, 0x48, v1
	s_wait_xcnt 0x1
	v_add_nc_u32_e32 v7, 0x90, v1
	global_load_b32 v33, v6, s[2:3] scale_offset
	s_wait_xcnt 0x0
	v_add_nc_u32_e32 v6, 0xd8, v1
	s_clause 0x1
	global_load_b32 v35, v7, s[2:3] scale_offset
	global_load_b32 v37, v6, s[2:3] scale_offset
	s_wait_xcnt 0x0
	ds_load_2addr_b64 v[6:9], v18 offset1:1
	ds_load_2addr_b64 v[10:13], v18 offset0:2 offset1:3
	ds_load_2addr_b64 v[14:17], v18 offset0:4 offset1:5
	;; [unrolled: 1-line block ×3, first 2 shown]
	v_add_nc_u32_e32 v1, 0x240, v1
	s_wait_dscnt 0x3
	v_readfirstlane_b32 s14, v6
	v_readfirstlane_b32 s15, v8
	s_wait_dscnt 0x2
	v_readfirstlane_b32 s16, v10
	v_dual_mov_b32 v22, v7 :: v_dual_mov_b32 v26, v11
	s_sub_f32 s14, s14, s6
	s_sub_f32 s15, s15, s6
	;; [unrolled: 1-line block ×3, first 2 shown]
	v_readfirstlane_b32 s17, v12
	s_mul_f32 s22, s14, 0x3fb8aa3b
	s_mul_f32 s23, s15, 0x3fb8aa3b
	;; [unrolled: 1-line block ×3, first 2 shown]
	s_wait_dscnt 0x1
	v_readfirstlane_b32 s18, v14
	s_xor_b32 s30, s22, 0x80000000
	s_rndne_f32 s31, s22
	s_fmamk_f32 s30, s14, 0x3fb8aa3b, s30
	s_cmp_nlt_f32 s14, 0xc2ce8ed0
	s_rndne_f32 s33, s23
	s_sub_f32 s22, s22, s31
	s_fmamk_f32 s30, s14, 0x32a5705f, s30
	s_cvt_i32_f32 s31, s31
	s_cselect_b32 vcc_lo, -1, 0
	s_cmp_ngt_f32 s14, 0x42b17218
	s_add_f32 s22, s22, s30
	s_sub_f32 s40, s23, s33
	s_cvt_i32_f32 s33, s33
	s_rndne_f32 s34, s24
	v_s_exp_f32 s22, s22
	s_sub_f32 s17, s17, s6
	s_sub_f32 s18, s18, s6
	s_sub_f32 s41, s24, s34
	s_cvt_i32_f32 s34, s34
	s_mul_f32 s25, s17, 0x3fb8aa3b
	s_mul_f32 s26, s18, 0x3fb8aa3b
	v_readfirstlane_b32 s19, v16
	v_ldexp_f32 v6, s22, s31
	s_rndne_f32 s35, s25
	s_rndne_f32 s36, s26
	s_wait_dscnt 0x0
	v_readfirstlane_b32 s20, v18
	s_sub_f32 s19, s19, s6
	v_cndmask_b32_e32 v6, 0, v6, vcc_lo
	s_cselect_b32 vcc_lo, -1, 0
	s_xor_b32 s14, s23, 0x80000000
	s_cmp_nlt_f32 s15, 0xc2ce8ed0
	s_fmamk_f32 s14, s15, 0x3fb8aa3b, s14
	v_cndmask_b32_e32 v6, 0x7f800000, v6, vcc_lo
	s_sub_f32 s42, s25, s35
	s_cselect_b32 vcc_lo, -1, 0
	s_fmamk_f32 s14, s15, 0x32a5705f, s14
	s_cmp_ngt_f32 s15, 0x42b17218
	s_cvt_i32_f32 s35, s35
	s_sub_f32 s43, s26, s36
	s_add_f32 s14, s40, s14
	s_cvt_i32_f32 s36, s36
	s_mul_f32 s27, s19, 0x3fb8aa3b
	s_sub_f32 s20, s20, s6
	v_s_exp_f32 s14, s14
	v_readfirstlane_b32 s21, v20
	s_rndne_f32 s37, s27
	s_mul_f32 s28, s20, 0x3fb8aa3b
	v_dual_mov_b32 v24, v9 :: v_dual_mov_b32 v28, v13
	v_mov_b32_e32 v30, v15
	s_sub_f32 s44, s27, s37
	s_delay_alu instid0(TRANS32_DEP_1)
	v_ldexp_f32 v7, s14, s33
	s_cvt_i32_f32 s37, s37
	s_rndne_f32 s38, s28
	s_sub_f32 s21, s21, s6
	v_dual_mov_b32 v32, v17 :: v_dual_mov_b32 v34, v19
	v_cndmask_b32_e32 v7, 0, v7, vcc_lo
	s_cselect_b32 vcc_lo, -1, 0
	s_xor_b32 s14, s24, 0x80000000
	s_cmp_nlt_f32 s16, 0xc2ce8ed0
	s_fmamk_f32 s14, s16, 0x3fb8aa3b, s14
	v_cndmask_b32_e32 v8, 0x7f800000, v7, vcc_lo
	s_sub_f32 s45, s28, s38
	s_cselect_b32 vcc_lo, -1, 0
	s_fmamk_f32 s14, s16, 0x32a5705f, s14
	s_cmp_ngt_f32 s16, 0x42b17218
	s_cvt_i32_f32 s38, s38
	s_mul_f32 s29, s21, 0x3fb8aa3b
	s_add_f32 s14, s41, s14
	v_mov_b32_e32 v36, v21
	s_delay_alu instid0(SALU_CYCLE_1) | instskip(NEXT) | instid1(SALU_CYCLE_1)
	s_rndne_f32 s39, s29
	v_s_exp_f32 s14, s14
	s_delay_alu instid0(SALU_CYCLE_2) | instskip(SKIP_2) | instid1(TRANS32_DEP_1)
	s_sub_f32 s46, s29, s39
	s_cvt_i32_f32 s39, s39
	v_nop
	v_ldexp_f32 v7, s14, s34
	s_delay_alu instid0(VALU_DEP_1)
	v_cndmask_b32_e32 v7, 0, v7, vcc_lo
	s_cselect_b32 vcc_lo, -1, 0
	s_xor_b32 s14, s25, 0x80000000
	s_cmp_nlt_f32 s17, 0xc2ce8ed0
	s_fmamk_f32 s14, s17, 0x3fb8aa3b, s14
	v_cndmask_b32_e32 v10, 0x7f800000, v7, vcc_lo
	s_cselect_b32 vcc_lo, -1, 0
	s_delay_alu instid0(SALU_CYCLE_1) | instskip(SKIP_1) | instid1(SALU_CYCLE_2)
	s_fmamk_f32 s14, s17, 0x32a5705f, s14
	s_cmp_ngt_f32 s17, 0x42b17218
	s_add_f32 s14, s42, s14
	s_delay_alu instid0(SALU_CYCLE_3) | instskip(SKIP_1) | instid1(TRANS32_DEP_1)
	v_s_exp_f32 s14, s14
	v_nop
	v_ldexp_f32 v7, s14, s35
	s_delay_alu instid0(VALU_DEP_1)
	v_cndmask_b32_e32 v7, 0, v7, vcc_lo
	s_cselect_b32 vcc_lo, -1, 0
	s_xor_b32 s14, s26, 0x80000000
	s_cmp_nlt_f32 s18, 0xc2ce8ed0
	s_fmamk_f32 s14, s18, 0x3fb8aa3b, s14
	v_cndmask_b32_e32 v12, 0x7f800000, v7, vcc_lo
	s_cselect_b32 vcc_lo, -1, 0
	s_delay_alu instid0(SALU_CYCLE_1) | instskip(SKIP_1) | instid1(SALU_CYCLE_2)
	s_fmamk_f32 s14, s18, 0x32a5705f, s14
	s_cmp_ngt_f32 s18, 0x42b17218
	s_add_f32 s14, s43, s14
	s_delay_alu instid0(SALU_CYCLE_3) | instskip(SKIP_1) | instid1(TRANS32_DEP_1)
	v_s_exp_f32 s14, s14
	;; [unrolled: 16-line block ×4, first 2 shown]
	v_nop
	v_ldexp_f32 v7, s14, s38
	s_delay_alu instid0(VALU_DEP_1) | instskip(SKIP_4) | instid1(SALU_CYCLE_3)
	v_cndmask_b32_e32 v7, 0, v7, vcc_lo
	s_cselect_b32 vcc_lo, -1, 0
	s_xor_b32 s14, s29, 0x80000000
	s_cmp_nlt_f32 s21, 0xc2ce8ed0
	s_fmamk_f32 s14, s21, 0x3fb8aa3b, s14
	s_fmamk_f32 s14, s21, 0x32a5705f, s14
	s_delay_alu instid0(SALU_CYCLE_3) | instskip(NEXT) | instid1(SALU_CYCLE_3)
	s_add_f32 s14, s46, s14
	v_s_exp_f32 s14, s14
	s_wait_loadcnt 0x7
	v_pk_fma_f32 v[2:3], v[6:7], v[22:23], v[2:3] op_sel_hi:[0,1,1]
	v_cndmask_b32_e32 v6, 0x7f800000, v7, vcc_lo
	s_delay_alu instid0(TRANS32_DEP_1)
	v_ldexp_f32 v7, s14, s39
	s_cselect_b32 vcc_lo, -1, 0
	s_cmp_ngt_f32 s21, 0x42b17218
	s_wait_loadcnt 0x6
	v_pk_fma_f32 v[2:3], v[8:9], v[24:25], v[2:3] op_sel_hi:[0,1,1]
	v_cndmask_b32_e32 v7, 0, v7, vcc_lo
	s_cselect_b32 vcc_lo, -1, 0
	s_add_co_i32 s12, s12, 8
	s_wait_loadcnt 0x5
	v_pk_fma_f32 v[2:3], v[10:11], v[26:27], v[2:3] op_sel_hi:[0,1,1]
	s_add_co_i32 s13, s13, 64
	v_cndmask_b32_e32 v8, 0x7f800000, v7, vcc_lo
	s_cmp_eq_u32 s7, s12
	s_wait_loadcnt 0x4
	v_pk_fma_f32 v[2:3], v[12:13], v[28:29], v[2:3] op_sel_hi:[0,1,1]
	s_wait_loadcnt 0x3
	s_delay_alu instid0(VALU_DEP_1) | instskip(SKIP_1) | instid1(VALU_DEP_1)
	v_pk_fma_f32 v[2:3], v[14:15], v[30:31], v[2:3] op_sel_hi:[0,1,1]
	s_wait_loadcnt 0x2
	v_pk_fma_f32 v[2:3], v[16:17], v[32:33], v[2:3] op_sel_hi:[0,1,1]
	s_wait_loadcnt 0x1
	s_delay_alu instid0(VALU_DEP_1) | instskip(SKIP_1) | instid1(VALU_DEP_1)
	v_pk_fma_f32 v[2:3], v[6:7], v[34:35], v[2:3] op_sel_hi:[0,1,1]
	s_wait_loadcnt 0x0
	v_pk_fma_f32 v[2:3], v[8:9], v[36:37], v[2:3] op_sel_hi:[0,1,1]
	s_cbranch_scc0 .LBB4_24
; %bb.25:
	s_and_b32 s2, s10, 7
	s_delay_alu instid0(SALU_CYCLE_1)
	s_cmp_eq_u32 s2, 0
	s_cbranch_scc0 .LBB4_28
	s_branch .LBB4_30
.LBB4_26:
	v_mov_b32_e32 v1, 0x7fc00000
	s_branch .LBB4_31
.LBB4_27:
	v_mov_b64_e32 v[2:3], 0
	s_mov_b32 s7, 0
	s_and_b32 s2, s10, 7
	s_delay_alu instid0(SALU_CYCLE_1)
	s_cmp_eq_u32 s2, 0
	s_cbranch_scc1 .LBB4_30
.LBB4_28:
	v_mad_u32 v4, 0x48, s7, v0
	v_mov_b32_e32 v5, 0
	s_lshl_b64 s[0:1], s[0:1], 2
	s_delay_alu instid0(SALU_CYCLE_1)
	s_add_nc_u64 s[0:1], s[4:5], s[0:1]
	s_delay_alu instid0(VALU_DEP_1) | instid1(SALU_CYCLE_1)
	v_lshl_add_u64 v[4:5], v[4:5], 2, s[0:1]
	s_lshl_b32 s0, s7, 3
	s_delay_alu instid0(SALU_CYCLE_1)
	s_add_co_i32 s0, s0, 0
.LBB4_29:                               ; =>This Inner Loop Header: Depth=1
	global_load_b32 v7, v[4:5], off
	v_mov_b32_e32 v1, s0
	s_wait_xcnt 0x0
	v_add_nc_u64_e32 v[4:5], 0x120, v[4:5]
	ds_load_b64 v[8:9], v1
	s_wait_dscnt 0x0
	v_readfirstlane_b32 s1, v8
	v_mov_b32_e32 v6, v9
	s_sub_f32 s1, s1, s6
	s_delay_alu instid0(SALU_CYCLE_3) | instskip(NEXT) | instid1(SALU_CYCLE_3)
	s_mul_f32 s3, s1, 0x3fb8aa3b
	s_xor_b32 s4, s3, 0x80000000
	s_rndne_f32 s5, s3
	s_fmamk_f32 s4, s1, 0x3fb8aa3b, s4
	s_cmp_nlt_f32 s1, 0xc2ce8ed0
	s_delay_alu instid0(SALU_CYCLE_1) | instskip(NEXT) | instid1(SALU_CYCLE_1)
	s_sub_f32 s3, s3, s5
	s_fmamk_f32 s4, s1, 0x32a5705f, s4
	s_cselect_b32 vcc_lo, -1, 0
	s_cmp_ngt_f32 s1, 0x42b17218
	s_delay_alu instid0(SALU_CYCLE_1) | instskip(SKIP_1) | instid1(SALU_CYCLE_2)
	s_add_f32 s3, s3, s4
	s_cvt_i32_f32 s4, s5
	v_s_exp_f32 s3, s3
	v_nop
	s_delay_alu instid0(TRANS32_DEP_1) | instid1(SALU_CYCLE_1)
	v_ldexp_f32 v1, s3, s4
	s_delay_alu instid0(VALU_DEP_1)
	v_cndmask_b32_e32 v1, 0, v1, vcc_lo
	s_cselect_b32 vcc_lo, -1, 0
	s_add_co_i32 s2, s2, -1
	s_add_co_i32 s0, s0, 8
	s_cmp_lg_u32 s2, 0
	v_cndmask_b32_e32 v8, 0x7f800000, v1, vcc_lo
	s_wait_loadcnt 0x0
	s_delay_alu instid0(VALU_DEP_1)
	v_pk_fma_f32 v[2:3], v[8:9], v[6:7], v[2:3] op_sel_hi:[0,1,1]
	s_cbranch_scc1 .LBB4_29
.LBB4_30:
	s_delay_alu instid0(VALU_DEP_1) | instskip(NEXT) | instid1(VALU_DEP_1)
	v_div_scale_f32 v1, null, v2, v2, v3
	v_rcp_f32_e32 v4, v1
	v_nop
	s_delay_alu instid0(TRANS32_DEP_1) | instskip(NEXT) | instid1(VALU_DEP_1)
	v_fma_f32 v5, -v1, v4, 1.0
	v_fmac_f32_e32 v4, v5, v4
	v_div_scale_f32 v5, vcc_lo, v3, v2, v3
	s_delay_alu instid0(VALU_DEP_1) | instskip(NEXT) | instid1(VALU_DEP_1)
	v_mul_f32_e32 v6, v5, v4
	v_fma_f32 v7, -v1, v6, v5
	s_delay_alu instid0(VALU_DEP_1) | instskip(NEXT) | instid1(VALU_DEP_1)
	v_fmac_f32_e32 v6, v7, v4
	v_fma_f32 v1, -v1, v6, v5
	s_delay_alu instid0(VALU_DEP_1) | instskip(NEXT) | instid1(VALU_DEP_1)
	v_div_fmas_f32 v1, v1, v4, v6
	v_div_fixup_f32 v1, v1, v2, v3
.LBB4_31:
	s_mul_i32 s0, s11, 0x48
	s_delay_alu instid0(SALU_CYCLE_1) | instskip(NEXT) | instid1(SALU_CYCLE_1)
	s_ashr_i32 s1, s0, 31
	s_lshl_b64 s[0:1], s[0:1], 2
	s_delay_alu instid0(SALU_CYCLE_1)
	s_add_nc_u64 s[0:1], s[8:9], s[0:1]
	global_store_b32 v0, v1, s[0:1] scale_offset
	s_endpgm
	.section	.rodata,"a",@progbits
	.p2align	6, 0x0
	.amdhsa_kernel _ZL26flash_attn_combine_resultsILi72EEvPKfPK15HIP_vector_typeIfLj2EEPfi
		.amdhsa_group_segment_fixed_size 0
		.amdhsa_private_segment_fixed_size 0
		.amdhsa_kernarg_size 288
		.amdhsa_user_sgpr_count 2
		.amdhsa_user_sgpr_dispatch_ptr 0
		.amdhsa_user_sgpr_queue_ptr 0
		.amdhsa_user_sgpr_kernarg_segment_ptr 1
		.amdhsa_user_sgpr_dispatch_id 0
		.amdhsa_user_sgpr_kernarg_preload_length 0
		.amdhsa_user_sgpr_kernarg_preload_offset 0
		.amdhsa_user_sgpr_private_segment_size 0
		.amdhsa_wavefront_size32 1
		.amdhsa_uses_dynamic_stack 0
		.amdhsa_enable_private_segment 0
		.amdhsa_system_sgpr_workgroup_id_x 1
		.amdhsa_system_sgpr_workgroup_id_y 1
		.amdhsa_system_sgpr_workgroup_id_z 1
		.amdhsa_system_sgpr_workgroup_info 0
		.amdhsa_system_vgpr_workitem_id 0
		.amdhsa_next_free_vgpr 38
		.amdhsa_next_free_sgpr 47
		.amdhsa_named_barrier_count 0
		.amdhsa_reserve_vcc 1
		.amdhsa_float_round_mode_32 0
		.amdhsa_float_round_mode_16_64 0
		.amdhsa_float_denorm_mode_32 3
		.amdhsa_float_denorm_mode_16_64 3
		.amdhsa_fp16_overflow 0
		.amdhsa_memory_ordered 1
		.amdhsa_forward_progress 1
		.amdhsa_inst_pref_size 29
		.amdhsa_round_robin_scheduling 0
		.amdhsa_exception_fp_ieee_invalid_op 0
		.amdhsa_exception_fp_denorm_src 0
		.amdhsa_exception_fp_ieee_div_zero 0
		.amdhsa_exception_fp_ieee_overflow 0
		.amdhsa_exception_fp_ieee_underflow 0
		.amdhsa_exception_fp_ieee_inexact 0
		.amdhsa_exception_int_div_zero 0
	.end_amdhsa_kernel
	.section	.text._ZL26flash_attn_combine_resultsILi72EEvPKfPK15HIP_vector_typeIfLj2EEPfi,"axG",@progbits,_ZL26flash_attn_combine_resultsILi72EEvPKfPK15HIP_vector_typeIfLj2EEPfi,comdat
.Lfunc_end4:
	.size	_ZL26flash_attn_combine_resultsILi72EEvPKfPK15HIP_vector_typeIfLj2EEPfi, .Lfunc_end4-_ZL26flash_attn_combine_resultsILi72EEvPKfPK15HIP_vector_typeIfLj2EEPfi
                                        ; -- End function
	.set _ZL26flash_attn_combine_resultsILi72EEvPKfPK15HIP_vector_typeIfLj2EEPfi.num_vgpr, 38
	.set _ZL26flash_attn_combine_resultsILi72EEvPKfPK15HIP_vector_typeIfLj2EEPfi.num_agpr, 0
	.set _ZL26flash_attn_combine_resultsILi72EEvPKfPK15HIP_vector_typeIfLj2EEPfi.numbered_sgpr, 47
	.set _ZL26flash_attn_combine_resultsILi72EEvPKfPK15HIP_vector_typeIfLj2EEPfi.num_named_barrier, 0
	.set _ZL26flash_attn_combine_resultsILi72EEvPKfPK15HIP_vector_typeIfLj2EEPfi.private_seg_size, 0
	.set _ZL26flash_attn_combine_resultsILi72EEvPKfPK15HIP_vector_typeIfLj2EEPfi.uses_vcc, 1
	.set _ZL26flash_attn_combine_resultsILi72EEvPKfPK15HIP_vector_typeIfLj2EEPfi.uses_flat_scratch, 0
	.set _ZL26flash_attn_combine_resultsILi72EEvPKfPK15HIP_vector_typeIfLj2EEPfi.has_dyn_sized_stack, 0
	.set _ZL26flash_attn_combine_resultsILi72EEvPKfPK15HIP_vector_typeIfLj2EEPfi.has_recursion, 0
	.set _ZL26flash_attn_combine_resultsILi72EEvPKfPK15HIP_vector_typeIfLj2EEPfi.has_indirect_call, 0
	.section	.AMDGPU.csdata,"",@progbits
; Kernel info:
; codeLenInByte = 3684
; TotalNumSgprs: 49
; NumVgprs: 38
; ScratchSize: 0
; MemoryBound: 0
; FloatMode: 240
; IeeeMode: 1
; LDSByteSize: 0 bytes/workgroup (compile time only)
; SGPRBlocks: 0
; VGPRBlocks: 2
; NumSGPRsForWavesPerEU: 49
; NumVGPRsForWavesPerEU: 38
; NamedBarCnt: 0
; Occupancy: 16
; WaveLimiterHint : 1
; COMPUTE_PGM_RSRC2:SCRATCH_EN: 0
; COMPUTE_PGM_RSRC2:USER_SGPR: 2
; COMPUTE_PGM_RSRC2:TRAP_HANDLER: 0
; COMPUTE_PGM_RSRC2:TGID_X_EN: 1
; COMPUTE_PGM_RSRC2:TGID_Y_EN: 1
; COMPUTE_PGM_RSRC2:TGID_Z_EN: 1
; COMPUTE_PGM_RSRC2:TIDIG_COMP_CNT: 0
	.section	.text._ZL15flash_attn_tileILi72ELi72ELi4ELi8ELb0EEvPKcS1_S1_S1_S1_PKiPfP15HIP_vector_typeIfLj2EEffffjfiS5_IjLj3EEiiiiiiiiiiiliiliiiiil,"axG",@progbits,_ZL15flash_attn_tileILi72ELi72ELi4ELi8ELb0EEvPKcS1_S1_S1_S1_PKiPfP15HIP_vector_typeIfLj2EEffffjfiS5_IjLj3EEiiiiiiiiiiiliiliiiiil,comdat
	.globl	_ZL15flash_attn_tileILi72ELi72ELi4ELi8ELb0EEvPKcS1_S1_S1_S1_PKiPfP15HIP_vector_typeIfLj2EEffffjfiS5_IjLj3EEiiiiiiiiiiiliiliiiiil ; -- Begin function _ZL15flash_attn_tileILi72ELi72ELi4ELi8ELb0EEvPKcS1_S1_S1_S1_PKiPfP15HIP_vector_typeIfLj2EEffffjfiS5_IjLj3EEiiiiiiiiiiiliiliiiiil
	.p2align	8
	.type	_ZL15flash_attn_tileILi72ELi72ELi4ELi8ELb0EEvPKcS1_S1_S1_S1_PKiPfP15HIP_vector_typeIfLj2EEffffjfiS5_IjLj3EEiiiiiiiiiiiliiliiiiil,@function
_ZL15flash_attn_tileILi72ELi72ELi4ELi8ELb0EEvPKcS1_S1_S1_S1_PKiPfP15HIP_vector_typeIfLj2EEffffjfiS5_IjLj3EEiiiiiiiiiiiliiliiiiil: ; @_ZL15flash_attn_tileILi72ELi72ELi4ELi8ELb0EEvPKcS1_S1_S1_S1_PKiPfP15HIP_vector_typeIfLj2EEffffjfiS5_IjLj3EEiiiiiiiiiiiliiliiiiil
; %bb.0:
	s_clause 0x1
	s_load_b128 s[20:23], s[0:1], 0x5c
	s_load_b64 s[30:31], s[0:1], 0x80
	s_bfe_u32 s5, ttmp6, 0x40014
	s_lshr_b32 s4, ttmp7, 16
	s_add_co_i32 s5, s5, 1
	s_bfe_u32 s6, ttmp6, 0x40008
	s_mul_i32 s5, s4, s5
	s_getreg_b32 s27, hwreg(HW_REG_IB_STS2, 6, 4)
	s_add_co_i32 s6, s6, s5
	s_mov_b32 s37, 0
	s_mov_b64 s[34:35], 0
	s_wait_kmcnt 0x0
	s_ashr_i32 s2, s23, 31
	s_delay_alu instid0(SALU_CYCLE_1) | instskip(NEXT) | instid1(SALU_CYCLE_1)
	s_lshr_b32 s2, s2, 29
	s_add_co_i32 s2, s23, s2
	s_delay_alu instid0(SALU_CYCLE_1) | instskip(NEXT) | instid1(SALU_CYCLE_1)
	s_ashr_i32 s2, s2, 3
	s_cvt_f32_u32 s3, s2
	s_sub_co_i32 s7, 0, s2
	s_delay_alu instid0(SALU_CYCLE_2) | instskip(SKIP_1) | instid1(TRANS32_DEP_1)
	v_rcp_iflag_f32_e32 v1, s3
	v_nop
	v_readfirstlane_b32 s3, v1
	s_mul_f32 s3, s3, 0x4f7ffffe
	s_delay_alu instid0(SALU_CYCLE_3) | instskip(NEXT) | instid1(SALU_CYCLE_3)
	s_cvt_u32_f32 s3, s3
	s_mul_i32 s7, s7, s3
	s_delay_alu instid0(SALU_CYCLE_1) | instskip(NEXT) | instid1(SALU_CYCLE_1)
	s_mul_hi_u32 s7, s3, s7
	s_add_co_i32 s3, s3, s7
	s_cmp_eq_u32 s27, 0
	s_cselect_b32 s4, s4, s6
	s_delay_alu instid0(SALU_CYCLE_1) | instskip(NEXT) | instid1(SALU_CYCLE_1)
	s_mul_hi_u32 s3, s4, s3
	s_mul_i32 s5, s3, s2
	s_add_co_i32 s6, s3, 1
	s_sub_co_i32 s5, s4, s5
	s_delay_alu instid0(SALU_CYCLE_1)
	s_sub_co_i32 s7, s5, s2
	s_cmp_ge_u32 s5, s2
	s_cselect_b32 s3, s6, s3
	s_cselect_b32 s5, s7, s5
	s_add_co_i32 s6, s3, 1
	s_cmp_ge_u32 s5, s2
	s_cselect_b32 s28, s6, s3
	s_abs_i32 s2, s31
	s_abs_i32 s6, s23
	s_cvt_f32_u32 s3, s2
	s_sub_co_i32 s5, 0, s2
	s_lshl_b32 s24, s4, 3
	s_xor_b32 s4, s23, s31
	v_rcp_iflag_f32_e32 v1, s3
	s_ashr_i32 s25, s4, 31
	v_nop
	s_delay_alu instid0(TRANS32_DEP_1) | instskip(SKIP_1) | instid1(SALU_CYCLE_3)
	v_readfirstlane_b32 s3, v1
	s_mul_f32 s3, s3, 0x4f7ffffe
	s_cvt_u32_f32 s3, s3
	s_delay_alu instid0(SALU_CYCLE_3) | instskip(NEXT) | instid1(SALU_CYCLE_1)
	s_mul_i32 s5, s5, s3
	s_mul_hi_u32 s5, s3, s5
	s_delay_alu instid0(SALU_CYCLE_1) | instskip(NEXT) | instid1(SALU_CYCLE_1)
	s_add_co_i32 s3, s3, s5
	s_mul_hi_u32 s3, s6, s3
	s_delay_alu instid0(SALU_CYCLE_1) | instskip(NEXT) | instid1(SALU_CYCLE_1)
	s_mul_i32 s5, s3, s2
	s_sub_co_i32 s4, s6, s5
	s_add_co_i32 s5, s3, 1
	s_sub_co_i32 s6, s4, s2
	s_cmp_ge_u32 s4, s2
	s_cselect_b32 s3, s5, s3
	s_cselect_b32 s4, s6, s4
	s_add_co_i32 s5, s3, 1
	s_cmp_ge_u32 s4, s2
	s_cselect_b32 s2, s5, s3
	s_load_b512 s[4:19], s[0:1], 0x0
	s_xor_b32 s26, s2, s25
	s_load_b64 s[2:3], s[0:1], 0xb8
	s_sub_co_i32 s29, s26, s25
	s_delay_alu instid0(SALU_CYCLE_1) | instskip(NEXT) | instid1(SALU_CYCLE_1)
	s_abs_i32 s38, s29
	s_cvt_f32_u32 s25, s38
	s_delay_alu instid0(SALU_CYCLE_3) | instskip(SKIP_2) | instid1(TRANS32_DEP_1)
	v_rcp_iflag_f32_e32 v1, s25
	s_mul_i32 s25, s28, s23
	v_nop
	v_readfirstlane_b32 s36, v1
	s_wait_kmcnt 0x0
	s_cmp_eq_u64 s[10:11], 0
	s_cbranch_scc1 .LBB5_2
; %bb.1:
	s_abs_i32 s2, s2
	s_abs_i32 s33, s28
	s_cvt_f32_u32 s26, s2
	s_sub_co_i32 s31, 0, s2
	s_load_b64 s[34:35], s[0:1], 0xc8
	s_delay_alu instid0(SALU_CYCLE_1) | instskip(SKIP_1) | instid1(TRANS32_DEP_1)
	v_rcp_iflag_f32_e32 v1, s26
	v_nop
	v_readfirstlane_b32 s26, v1
	s_mul_f32 s26, s26, 0x4f7ffffe
	s_delay_alu instid0(SALU_CYCLE_3) | instskip(NEXT) | instid1(SALU_CYCLE_3)
	s_cvt_u32_f32 s26, s26
	s_mul_i32 s31, s31, s26
	s_delay_alu instid0(SALU_CYCLE_1) | instskip(NEXT) | instid1(SALU_CYCLE_1)
	s_mul_hi_u32 s31, s26, s31
	s_add_co_i32 s26, s26, s31
	s_ashr_i32 s31, s28, 31
	s_mul_hi_u32 s26, s33, s26
	s_delay_alu instid0(SALU_CYCLE_1) | instskip(NEXT) | instid1(SALU_CYCLE_1)
	s_mul_i32 s26, s26, s2
	s_sub_co_i32 s26, s33, s26
	s_delay_alu instid0(SALU_CYCLE_1) | instskip(SKIP_2) | instid1(SALU_CYCLE_1)
	s_sub_co_i32 s33, s26, s2
	s_cmp_ge_u32 s26, s2
	s_cselect_b32 s26, s33, s26
	s_sub_co_i32 s33, s26, s2
	s_cmp_ge_u32 s26, s2
	s_cselect_b32 s2, s33, s26
	s_delay_alu instid0(SALU_CYCLE_1) | instskip(NEXT) | instid1(SALU_CYCLE_1)
	s_xor_b32 s2, s2, s31
	s_sub_co_i32 s40, s2, s31
	s_delay_alu instid0(SALU_CYCLE_1) | instskip(SKIP_2) | instid1(SALU_CYCLE_1)
	s_ashr_i32 s41, s40, 31
	s_wait_kmcnt 0x0
	s_mul_u64 s[34:35], s[34:35], s[40:41]
	s_add_nc_u64 s[34:35], s[10:11], s[34:35]
.LBB5_2:
	s_bfe_u32 s2, ttmp6, 0x4000c
	v_bfe_u32 v2, v0, 10, 10
	v_lshrrev_b32_e32 v1, 10, v0
	s_add_co_i32 s2, s2, 1
	s_and_b32 s10, ttmp6, 15
	s_mul_i32 s2, ttmp9, s2
	s_sub_co_i32 s31, s24, s25
	s_add_co_i32 s10, s10, s2
	v_lshlrev_b32_e32 v3, 2, v2
	v_bfe_u32 v1, v1, 1, 9
	s_cmp_eq_u32 s27, 0
	v_and_b32_e32 v37, 0x3ff, v0
	s_cselect_b32 s10, ttmp9, s10
	v_and_b32_e32 v20, 4, v3
	v_lshl_add_u32 v38, s10, 2, v1
	s_delay_alu instid0(VALU_DEP_3) | instskip(SKIP_1) | instid1(VALU_DEP_3)
	v_cmp_gt_u32_e64 s2, 18, v37
	v_dual_lshlrev_b32 v36, 2, v37 :: v_dual_lshlrev_b32 v39, 3, v37
	v_mul_hi_u32 v1, s20, v38
	s_delay_alu instid0(VALU_DEP_1) | instskip(NEXT) | instid1(VALU_DEP_1)
	v_add_nc_u32_e32 v1, v38, v1
	v_lshrrev_b32_e32 v1, s21, v1
	s_delay_alu instid0(VALU_DEP_1) | instskip(NEXT) | instid1(VALU_DEP_1)
	v_mul_lo_u32 v1, v1, s22
	v_sub_nc_u32_e32 v0, v38, v1
	s_and_saveexec_b32 s11, s2
	s_cbranch_execz .LBB5_4
; %bb.3:
	s_load_b96 s[24:26], s[0:1], 0x70
	v_dual_mov_b32 v1, 0 :: v_dual_lshlrev_b32 v14, 2, v36
	v_bitop3_b32 v6, v3, 5, 1 bitop3:0xc8
	v_bitop3_b32 v10, v3, 6, 2 bitop3:0xc8
	;; [unrolled: 1-line block ×3, first 2 shown]
	s_delay_alu instid0(VALU_DEP_4)
	v_dual_mov_b32 v21, v1 :: v_dual_mov_b32 v7, v1
	v_dual_mov_b32 v11, v1 :: v_dual_mov_b32 v13, v1
	v_mov_b32_e32 v15, v1
	s_wait_kmcnt 0x0
	s_ashr_i32 s21, s24, 31
	s_mov_b32 s20, s24
	s_mul_i32 s24, s28, s26
	s_lshr_b64 s[20:21], s[20:21], 2
	s_delay_alu instid0(SALU_CYCLE_1) | instskip(SKIP_4) | instid1(SALU_CYCLE_1)
	v_mul_u64_e32 v[4:5], s[20:21], v[0:1]
	s_ashr_i32 s21, s25, 31
	s_mov_b32 s20, s25
	v_add_nc_u32_e32 v1, 0x14e0, v39
	s_lshr_b64 s[20:21], s[20:21], 2
	v_mul_u64_e32 v[8:9], s[20:21], v[20:21]
	v_mul_u64_e32 v[6:7], s[20:21], v[6:7]
	;; [unrolled: 1-line block ×4, first 2 shown]
	s_mul_i32 s20, s31, s25
	s_ashr_i32 s25, s24, 31
	s_ashr_i32 s21, s20, 31
	s_add_nc_u64 s[4:5], s[4:5], s[24:25]
	v_or_b32_e32 v21, 1, v3
	s_add_nc_u64 s[4:5], s[4:5], s[20:21]
	s_delay_alu instid0(SALU_CYCLE_1) | instskip(SKIP_1) | instid1(VALU_DEP_1)
	v_lshl_add_u64 v[4:5], v[4:5], 2, s[4:5]
	s_load_b32 s4, s[0:1], 0x40
	v_add_nc_u64_e32 v[14:15], v[4:5], v[14:15]
	s_delay_alu instid0(VALU_DEP_1)
	v_lshl_add_u64 v[4:5], v[8:9], 2, v[14:15]
	v_lshl_add_u64 v[8:9], v[6:7], 2, v[14:15]
	;; [unrolled: 1-line block ×4, first 2 shown]
	s_clause 0x3
	global_load_b128 v[4:7], v[4:5], off
	global_load_b128 v[8:11], v[8:9], off
	;; [unrolled: 1-line block ×4, first 2 shown]
	s_wait_xcnt 0x1
	v_mad_u32_u24 v22, 0x240, v2, v1
	v_mad_u32_u24 v1, 0x90, v21, v1
	s_wait_loadcnt 0x3
	s_wait_kmcnt 0x0
	v_fma_mixlo_f16 v4, s4, v4, 0
	v_fma_mixlo_f16 v5, s4, v5, 0
	v_fma_mixlo_f16 v6, s4, v6, 0
	v_fma_mixlo_f16 v7, s4, v7, 0
	s_wait_loadcnt 0x2
	v_fma_mixlo_f16 v8, s4, v8, 0
	v_fma_mixlo_f16 v9, s4, v9, 0
	s_wait_loadcnt 0x1
	v_fma_mixlo_f16 v12, s4, v12, 0
	v_fma_mixlo_f16 v13, s4, v13, 0
	;; [unrolled: 1-line block ×4, first 2 shown]
	s_wait_loadcnt 0x0
	v_fma_mixlo_f16 v16, s4, v16, 0
	v_fma_mixlo_f16 v17, s4, v17, 0
	v_dual_lshlrev_b32 v5, 16, v5 :: v_dual_lshlrev_b32 v7, 16, v7
	v_and_b32_e32 v4, 0xffff, v4
	v_fma_mixlo_f16 v14, s4, v14, 0
	v_fma_mixlo_f16 v15, s4, v15, 0
	v_and_b32_e32 v6, 0xffff, v6
	v_dual_lshlrev_b32 v9, 16, v9 :: v_dual_lshlrev_b32 v11, 16, v11
	v_and_b32_e32 v8, 0xffff, v8
	s_delay_alu instid0(VALU_DEP_4)
	v_dual_lshlrev_b32 v13, 16, v13 :: v_dual_lshlrev_b32 v15, 16, v15
	v_and_b32_e32 v12, 0xffff, v12
	v_fma_mixlo_f16 v18, s4, v18, 0
	v_fma_mixlo_f16 v19, s4, v19, 0
	v_and_b32_e32 v10, 0xffff, v10
	v_lshlrev_b32_e32 v17, 16, v17
	v_and_b32_e32 v16, 0xffff, v16
	v_or_b32_e32 v4, v5, v4
	v_and_b32_e32 v14, 0xffff, v14
	v_or3_b32 v5, v7, v6, 0
	v_or_b32_e32 v6, v9, v8
	v_dual_lshlrev_b32 v19, 16, v19 :: v_dual_bitop2_b32 v8, v13, v12 bitop3:0x54
	v_and_b32_e32 v18, 0xffff, v18
	v_or3_b32 v7, v11, v10, 0
	v_or_b32_e32 v10, v17, v16
	v_or3_b32 v4, 0, 0, v4
	v_or3_b32 v9, v15, v14, 0
	;; [unrolled: 1-line block ×6, first 2 shown]
	ds_store_b64 v22, v[4:5]
	ds_store_2addr_b64 v1, v[6:7], v[8:9] offset1:18
	ds_store_b64 v1, v[10:11] offset:288
.LBB5_4:
	s_or_b32 exec_lo, exec_lo, s11
	s_cmp_eq_u64 s[14:15], 0
	s_wait_dscnt 0x0
	s_barrier_signal -1
	s_barrier_wait -1
	s_cbranch_scc1 .LBB5_6
; %bb.5:
	s_load_b32 s4, s[0:1], 0xd0
	s_wait_kmcnt 0x0
	s_mul_i32 s4, s4, s28
	s_delay_alu instid0(SALU_CYCLE_1)
	s_add_co_i32 s4, s4, s10
	s_load_b32 s30, s[14:15], s4 offset:0x0 scale_offset
.LBB5_6:
	s_wait_xcnt 0x0
	s_bfe_u32 s4, ttmp6, 0x40010
	s_and_b32 s5, ttmp7, 0xffff
	s_add_co_i32 s4, s4, 1
	s_bfe_u32 s10, ttmp6, 0x40004
	s_mul_i32 s4, s5, s4
	v_mbcnt_lo_u32_b32 v21, -1, 0
	s_add_co_i32 s10, s10, s4
	s_cmp_eq_u32 s27, 0
	s_cselect_b32 s33, s5, s10
	s_mov_b32 s5, 0
	s_lshl_b32 s4, s33, 5
	s_wait_kmcnt 0x0
	s_cmp_lt_i32 s4, s30
	s_cbranch_scc1 .LBB5_9
; %bb.7:
	v_mbcnt_lo_u32_b32 v4, -1, 0
	s_delay_alu instid0(VALU_DEP_1)
	v_dual_mov_b32 v40, 32 :: v_dual_bitop2_b32 v45, 16, v4 bitop3:0x14
	v_xor_b32_e32 v44, 8, v4
	v_xor_b32_e32 v43, 4, v4
	;; [unrolled: 1-line block ×4, first 2 shown]
	s_and_not1_b32 vcc_lo, exec_lo, s5
	s_cbranch_vccz .LBB5_10
; %bb.8:
	v_dual_mov_b32 v57, 0 :: v_dual_mov_b32 v23, 0
	v_dual_mov_b32 v3, 0xfeffffff :: v_dual_mov_b32 v2, 0xfeffffff
	;; [unrolled: 1-line block ×3, first 2 shown]
	s_delay_alu instid0(VALU_DEP_3)
	v_dual_mov_b32 v22, v23 :: v_dual_mov_b32 v25, v23
	v_dual_mov_b32 v24, v23 :: v_dual_mov_b32 v13, 0
	;; [unrolled: 1-line block ×5, first 2 shown]
	s_branch .LBB5_18
.LBB5_9:
                                        ; implicit-def: $vgpr4
                                        ; implicit-def: $vgpr40
                                        ; implicit-def: $vgpr45
                                        ; implicit-def: $vgpr44
                                        ; implicit-def: $vgpr43
                                        ; implicit-def: $vgpr42
                                        ; implicit-def: $vgpr41
.LBB5_10:
	s_clause 0x1
	s_load_b64 s[14:15], s[0:1], 0x8c
	s_load_b128 s[24:27], s[0:1], 0x98
	s_mul_f32 s5, s36, 0x4f7ffffe
	s_sub_co_i32 s10, 0, s38
	s_abs_i32 s36, s31
	s_mov_b32 s11, s37
	s_cvt_u32_f32 s5, s5
	s_load_b64 s[20:21], s[0:1], 0xa8
	v_dual_lshrrev_b32 v1, 3, v37 :: v_dual_bitop2_b32 v4, 28, v36 bitop3:0x40
	s_delay_alu instid0(SALU_CYCLE_1)
	s_mul_i32 s10, s10, s5
	s_ashr_i32 s39, s31, 31
	s_mul_hi_u32 s10, s5, s10
	s_ashr_i32 s40, s29, 31
	s_add_co_i32 s10, s5, s10
	s_ashr_i32 s3, s3, 1
	s_mul_u64 s[10:11], s[36:37], s[10:11]
	s_ashr_i32 s29, s28, 31
	s_mul_i32 s5, s11, s38
	s_xor_b32 s37, s39, s40
	s_sub_co_i32 s5, s36, s5
	s_wait_kmcnt 0x0
	s_ashr_i32 s10, s26, 2
	s_ashr_i32 s14, s14, 2
	s_add_co_i32 s26, s11, 1
	s_sub_co_i32 s36, s5, s38
	v_dual_add_nc_u32 v1, v1, v3 :: v_dual_lshlrev_b32 v5, 2, v4
	v_lshl_add_u32 v3, v2, 5, v37
	s_cmp_ge_u32 s5, s38
	v_mad_u32 v50, v0, s3, v37
	s_cselect_b32 s11, s26, s11
	s_cselect_b32 s5, s36, s5
	s_add_co_i32 s26, s11, 1
	v_mul_lo_u32 v26, s14, v1
	v_mul_lo_u32 v28, s14, v3
	;; [unrolled: 1-line block ×4, first 2 shown]
	s_cmp_ge_u32 s5, s38
	v_mov_b32_e32 v31, 0
	s_cselect_b32 s5, s26, s11
	v_lshl_add_u32 v51, v2, 8, 0x26e0
	s_xor_b32 s5, s5, s37
	s_mul_u64 s[24:25], s[24:25], s[28:29]
	s_sub_co_i32 s5, s5, s37
	s_add_nc_u64 s[6:7], s[6:7], s[24:25]
	s_mul_i32 s36, s5, s15
	s_mul_i32 s24, s5, s27
	s_movk_i32 s5, 0x80
	s_movk_i32 s11, 0x240
	;; [unrolled: 1-line block ×3, first 2 shown]
	s_mul_u64 s[20:21], s[20:21], s[28:29]
	v_mad_u32_u24 v46, 0xa0, v1, v5
	v_ashrrev_i32_e32 v27, 31, v26
	v_mul_u32_u24_e32 v47, 0xa0, v37
	v_dual_ashrrev_i32 v29, 31, v28 :: v_dual_ashrrev_i32 v35, 31, v34
	v_mad_u32_u24 v48, 0xa0, v3, s5
	v_mad_u32_u24 v49, v2, s11, 0x14e0
	v_dual_mov_b32 v8, 0xfeffffff :: v_dual_ashrrev_i32 v33, 31, v32
	v_mad_u32_u24 v52, v3, s3, 0x80
	v_mad_u32_u24 v53, 0x90, v1, v5
	v_dual_lshlrev_b32 v30, 2, v4 :: v_dual_mov_b32 v40, 32
	v_dual_add_nc_u32 v54, v51, v39 :: v_dual_bitop2_b32 v45, 16, v21 bitop3:0x14
	v_dual_mov_b32 v10, v31 :: v_dual_bitop2_b32 v44, 8, v21 bitop3:0x14
	v_dual_mov_b32 v9, v31 :: v_dual_bitop2_b32 v43, 4, v21 bitop3:0x14
	;; [unrolled: 1-line block ×4, first 2 shown]
	v_dual_mov_b32 v12, v31 :: v_dual_mov_b32 v56, v31
	v_dual_mov_b32 v13, v31 :: v_dual_mov_b32 v57, v31
	;; [unrolled: 1-line block ×5, first 2 shown]
	v_mov_b32_e32 v23, v31
	s_ashr_i32 s37, s36, 31
	s_add_nc_u64 s[8:9], s[8:9], s[20:21]
	s_ashr_i32 s25, s24, 31
	s_add_nc_u64 s[6:7], s[6:7], s[36:37]
	s_add_nc_u64 s[8:9], s[8:9], s[24:25]
	s_ashr_i32 s15, s14, 31
	s_ashr_i32 s11, s10, 31
	s_add_nc_u64 s[20:21], s[0:1], 0xd0
	v_cmp_gt_u32_e32 vcc_lo, 32, v3
.LBB5_11:                               ; =>This Inner Loop Header: Depth=1
	s_ashr_i32 s5, s4, 31
	s_delay_alu instid0(SALU_CYCLE_1) | instskip(NEXT) | instid1(SALU_CYCLE_1)
	s_mul_u64 s[24:25], s[4:5], s[14:15]
	s_lshl_b64 s[24:25], s[24:25], 2
	s_delay_alu instid0(SALU_CYCLE_1)
	s_add_nc_u64 s[24:25], s[6:7], s[24:25]
	s_and_saveexec_b32 s3, vcc_lo
	s_cbranch_execz .LBB5_13
; %bb.12:                               ;   in Loop: Header=BB5_11 Depth=1
	v_lshl_add_u64 v[0:1], v[28:29], 2, s[24:25]
	global_load_b128 v[0:3], v[0:1], off offset:128
	s_wait_loadcnt 0x0
	ds_store_b128 v48, v[0:3]
.LBB5_13:                               ;   in Loop: Header=BB5_11 Depth=1
	s_or_b32 exec_lo, exec_lo, s3
	v_lshl_add_u64 v[0:1], v[26:27], 2, s[24:25]
	v_cmp_gt_i32_e64 s3, 32, v45
	v_add_nc_u32_e32 v17, s4, v50
	s_mul_u64 s[24:25], s[4:5], s[10:11]
	s_delay_alu instid0(SALU_CYCLE_1)
	s_lshl_b64 s[24:25], s[24:25], 2
	v_add_nc_u64_e32 v[0:1], v[0:1], v[30:31]
	s_add_nc_u64 s[24:25], s[8:9], s[24:25]
	global_load_b128 v[0:3], v[0:1], off
	s_wait_loadcnt 0x0
	ds_store_b128 v46, v[0:3]
	s_wait_dscnt 0x0
	s_barrier_signal -1
	s_barrier_wait -1
	ds_load_b128 v[4:7], v47
	ds_load_b128 v[58:61], v49
	ds_load_b128 v[62:65], v49 offset:144
	ds_load_b128 v[66:69], v49 offset:288
	ds_load_b128 v[70:73], v49 offset:432
	v_dual_mov_b32 v1, 0 :: v_dual_mov_b32 v0, 0
	v_dual_mov_b32 v2, 0 :: v_dual_mov_b32 v3, 0
	s_wait_dscnt 0x3
	;;#ASMSTART
	v_dot2_f32_f16 v1, v4, v58, v1
	;;#ASMEND
	;;#ASMSTART
	v_dot2_f32_f16 v1, v5, v59, v1
	;;#ASMEND
	;;#ASMSTART
	v_dot2_f32_f16 v1, v6, v60, v1
	;;#ASMEND
	;;#ASMSTART
	v_dot2_f32_f16 v1, v7, v61, v1
	;;#ASMEND
	s_wait_dscnt 0x2
	;;#ASMSTART
	v_dot2_f32_f16 v0, v4, v62, v0
	;;#ASMEND
	;;#ASMSTART
	v_dot2_f32_f16 v0, v5, v63, v0
	;;#ASMEND
	;;#ASMSTART
	v_dot2_f32_f16 v0, v6, v64, v0
	;;#ASMEND
	;;#ASMSTART
	v_dot2_f32_f16 v0, v7, v65, v0
	;;#ASMEND
	s_wait_dscnt 0x1
	;;#ASMSTART
	v_dot2_f32_f16 v2, v4, v66, v2
	;;#ASMEND
	;;#ASMSTART
	v_dot2_f32_f16 v2, v5, v67, v2
	;;#ASMEND
	;;#ASMSTART
	v_dot2_f32_f16 v2, v6, v68, v2
	;;#ASMEND
	;;#ASMSTART
	v_dot2_f32_f16 v2, v7, v69, v2
	;;#ASMEND
	s_wait_dscnt 0x0
	;;#ASMSTART
	v_dot2_f32_f16 v3, v4, v70, v3
	;;#ASMEND
	;;#ASMSTART
	v_dot2_f32_f16 v3, v5, v71, v3
	;;#ASMEND
	;;#ASMSTART
	v_dot2_f32_f16 v3, v6, v72, v3
	;;#ASMEND
	;;#ASMSTART
	v_dot2_f32_f16 v3, v7, v73, v3
	;;#ASMEND
	ds_load_b128 v[4:7], v47 offset:16
	ds_load_b128 v[58:61], v49 offset:16
	ds_load_b128 v[62:65], v49 offset:160
	ds_load_b128 v[66:69], v49 offset:304
	ds_load_b128 v[70:73], v49 offset:448
	s_wait_dscnt 0x3
	;;#ASMSTART
	v_dot2_f32_f16 v1, v4, v58, v1
	;;#ASMEND
	;;#ASMSTART
	v_dot2_f32_f16 v1, v5, v59, v1
	;;#ASMEND
	;;#ASMSTART
	v_dot2_f32_f16 v1, v6, v60, v1
	;;#ASMEND
	;;#ASMSTART
	v_dot2_f32_f16 v1, v7, v61, v1
	;;#ASMEND
	s_wait_dscnt 0x2
	;;#ASMSTART
	v_dot2_f32_f16 v0, v4, v62, v0
	;;#ASMEND
	;;#ASMSTART
	v_dot2_f32_f16 v0, v5, v63, v0
	;;#ASMEND
	;;#ASMSTART
	v_dot2_f32_f16 v0, v6, v64, v0
	;;#ASMEND
	;;#ASMSTART
	v_dot2_f32_f16 v0, v7, v65, v0
	;;#ASMEND
	s_wait_dscnt 0x1
	;;#ASMSTART
	v_dot2_f32_f16 v2, v4, v66, v2
	;;#ASMEND
	;;#ASMSTART
	v_dot2_f32_f16 v2, v5, v67, v2
	;;#ASMEND
	;;#ASMSTART
	v_dot2_f32_f16 v2, v6, v68, v2
	;;#ASMEND
	;;#ASMSTART
	v_dot2_f32_f16 v2, v7, v69, v2
	;;#ASMEND
	s_wait_dscnt 0x0
	;;#ASMSTART
	v_dot2_f32_f16 v3, v4, v70, v3
	;;#ASMEND
	;;#ASMSTART
	v_dot2_f32_f16 v3, v5, v71, v3
	;;#ASMEND
	;;#ASMSTART
	v_dot2_f32_f16 v3, v6, v72, v3
	;;#ASMEND
	;;#ASMSTART
	v_dot2_f32_f16 v3, v7, v73, v3
	;;#ASMEND
	ds_load_b128 v[4:7], v47 offset:32
	ds_load_b128 v[58:61], v49 offset:32
	ds_load_b128 v[62:65], v49 offset:176
	ds_load_b128 v[66:69], v49 offset:320
	ds_load_b128 v[70:73], v49 offset:464
	;; [unrolled: 57-line block ×8, first 2 shown]
	s_wait_dscnt 0x3
	;;#ASMSTART
	v_dot2_f32_f16 v1, v4, v58, v1
	;;#ASMEND
	;;#ASMSTART
	v_dot2_f32_f16 v1, v5, v59, v1
	;;#ASMEND
	;;#ASMSTART
	v_dot2_f32_f16 v1, v6, v60, v1
	;;#ASMEND
	;;#ASMSTART
	v_dot2_f32_f16 v1, v7, v61, v1
	;;#ASMEND
	s_wait_dscnt 0x2
	;;#ASMSTART
	v_dot2_f32_f16 v0, v4, v62, v0
	;;#ASMEND
	;;#ASMSTART
	v_dot2_f32_f16 v0, v5, v63, v0
	;;#ASMEND
	;;#ASMSTART
	v_dot2_f32_f16 v0, v6, v64, v0
	;;#ASMEND
	;;#ASMSTART
	v_dot2_f32_f16 v0, v7, v65, v0
	;;#ASMEND
	s_wait_dscnt 0x1
	;;#ASMSTART
	v_dot2_f32_f16 v2, v4, v66, v2
	;;#ASMEND
	;;#ASMSTART
	v_dot2_f32_f16 v2, v5, v67, v2
	;;#ASMEND
	;;#ASMSTART
	v_dot2_f32_f16 v2, v6, v68, v2
	;;#ASMEND
	;;#ASMSTART
	v_dot2_f32_f16 v2, v7, v69, v2
	;;#ASMEND
	s_wait_dscnt 0x0
	;;#ASMSTART
	v_dot2_f32_f16 v3, v4, v70, v3
	;;#ASMEND
	;;#ASMSTART
	v_dot2_f32_f16 v3, v5, v71, v3
	;;#ASMEND
	;;#ASMSTART
	v_dot2_f32_f16 v3, v6, v72, v3
	;;#ASMEND
	;;#ASMSTART
	v_dot2_f32_f16 v3, v7, v73, v3
	;;#ASMEND
	v_cndmask_b32_e64 v5, v21, v45, s3
	global_load_u16 v4, v17, s[34:35] scale_offset
	v_dual_max_num_f32 v6, v8, v8 :: v_dual_max_num_f32 v7, v14, v14
	v_cmp_gt_i32_e64 s3, 32, v44
	s_wait_loadcnt 0x0
	s_barrier_signal -1
	s_barrier_wait -1
	v_cvt_f32_f16_e32 v4, v4
	s_wait_xcnt 0x0
	s_delay_alu instid0(VALU_DEP_1) | instskip(SKIP_3) | instid1(VALU_DEP_2)
	v_dual_max_num_f32 v17, v15, v15 :: v_dual_add_f32 v18, v1, v4
	v_max_num_f32_e32 v1, v16, v16
	v_dual_add_f32 v19, v0, v4 :: v_dual_add_f32 v58, v2, v4
	v_dual_add_f32 v4, v3, v4 :: v_dual_lshlrev_b32 v2, 2, v5
	v_dual_add_f32 v0, 0x40051340, v18 :: v_dual_add_f32 v3, 0x40051340, v19
	s_delay_alu instid0(VALU_DEP_1) | instskip(NEXT) | instid1(VALU_DEP_1)
	v_dual_add_f32 v5, 0x40051340, v58 :: v_dual_max_num_f32 v0, v6, v0
	v_dual_max_num_f32 v3, v7, v3 :: v_dual_max_num_f32 v5, v17, v5
	ds_bpermute_b32 v6, v2, v0
	ds_bpermute_b32 v7, v2, v3
	v_add_f32_e32 v59, 0x40051340, v4
	ds_bpermute_b32 v17, v2, v5
	s_wait_dscnt 0x2
	v_dual_max_num_f32 v6, v6, v6 :: v_dual_max_num_f32 v1, v1, v59
	s_wait_dscnt 0x1
	v_dual_cndmask_b32 v59, v21, v44, s3 :: v_dual_max_num_f32 v7, v7, v7
	v_cmp_gt_i32_e64 s3, 32, v43
	s_delay_alu instid0(VALU_DEP_2)
	v_dual_max_num_f32 v0, v0, v6 :: v_dual_lshlrev_b32 v59, 2, v59
	ds_bpermute_b32 v2, v2, v1
	s_wait_dscnt 0x1
	v_dual_max_num_f32 v17, v17, v17 :: v_dual_max_num_f32 v3, v3, v7
	ds_bpermute_b32 v6, v59, v3
	s_wait_dscnt 0x1
	v_max_num_f32_e32 v2, v2, v2
	s_delay_alu instid0(VALU_DEP_1)
	v_max_num_f32_e32 v1, v1, v2
	ds_bpermute_b32 v2, v59, v0
	s_wait_dscnt 0x1
	v_dual_max_num_f32 v5, v5, v17 :: v_dual_max_num_f32 v6, v6, v6
	ds_bpermute_b32 v17, v59, v1
	s_wait_dscnt 0x1
	v_max_num_f32_e32 v2, v2, v2
	ds_bpermute_b32 v7, v59, v5
	v_cndmask_b32_e64 v59, v21, v43, s3
	v_cmp_gt_i32_e64 s3, 32, v42
	s_wait_dscnt 0x1
	s_delay_alu instid0(VALU_DEP_2) | instskip(NEXT) | instid1(VALU_DEP_1)
	v_dual_max_num_f32 v17, v17, v17 :: v_dual_lshlrev_b32 v59, 2, v59
	v_max_num_f32_e32 v1, v1, v17
	ds_bpermute_b32 v17, v59, v1
	s_wait_dscnt 0x1
	v_dual_max_num_f32 v7, v7, v7 :: v_dual_max_num_f32 v0, v0, v2
	s_delay_alu instid0(VALU_DEP_1)
	v_dual_max_num_f32 v2, v3, v6 :: v_dual_max_num_f32 v3, v5, v7
	ds_bpermute_b32 v5, v59, v0
	ds_bpermute_b32 v6, v59, v2
	;; [unrolled: 1-line block ×3, first 2 shown]
	v_cndmask_b32_e64 v59, v21, v42, s3
	v_cmp_gt_i32_e64 s3, 32, v41
	s_wait_dscnt 0x3
	v_max_num_f32_e32 v17, v17, v17
	s_wait_dscnt 0x1
	s_delay_alu instid0(VALU_DEP_1) | instskip(SKIP_2) | instid1(VALU_DEP_2)
	v_dual_max_num_f32 v1, v1, v17 :: v_dual_max_num_f32 v6, v6, v6
	s_wait_dscnt 0x0
	v_dual_max_num_f32 v7, v7, v7 :: v_dual_max_num_f32 v5, v5, v5
	v_dual_max_num_f32 v2, v2, v6 :: v_dual_lshlrev_b32 v59, 2, v59
	s_delay_alu instid0(VALU_DEP_2)
	v_dual_max_num_f32 v3, v3, v7 :: v_dual_max_num_f32 v0, v0, v5
	ds_bpermute_b32 v17, v59, v1
	ds_bpermute_b32 v6, v59, v2
	ds_bpermute_b32 v7, v59, v3
	ds_bpermute_b32 v5, v59, v0
	v_cndmask_b32_e64 v59, v21, v41, s3
	s_wait_dscnt 0x2
	v_dual_max_num_f32 v17, v17, v17 :: v_dual_max_num_f32 v6, v6, v6
	s_delay_alu instid0(VALU_DEP_2) | instskip(SKIP_2) | instid1(VALU_DEP_1)
	v_lshlrev_b32_e32 v59, 2, v59
	s_wait_dscnt 0x0
	v_dual_max_num_f32 v7, v7, v7 :: v_dual_max_num_f32 v5, v5, v5
	v_dual_max_num_f32 v2, v2, v6 :: v_dual_max_num_f32 v3, v3, v7
	s_delay_alu instid0(VALU_DEP_2)
	v_max_num_f32_e32 v0, v0, v5
	v_max_num_f32_e32 v5, v1, v17
	ds_bpermute_b32 v6, v59, v2
	ds_bpermute_b32 v7, v59, v3
	;; [unrolled: 1-line block ×4, first 2 shown]
	s_wait_dscnt 0x2
	v_dual_max_num_f32 v6, v6, v6 :: v_dual_max_num_f32 v7, v7, v7
	s_wait_dscnt 0x1
	v_max_num_f32_e32 v1, v1, v1
	s_wait_dscnt 0x0
	v_max_num_f32_e32 v17, v17, v17
	s_delay_alu instid0(VALU_DEP_2) | instskip(NEXT) | instid1(VALU_DEP_2)
	v_dual_max_num_f32 v0, v0, v1 :: v_dual_max_num_f32 v1, v2, v6
	v_dual_max_num_f32 v2, v3, v7 :: v_dual_max_num_f32 v3, v5, v17
	s_delay_alu instid0(VALU_DEP_2) | instskip(NEXT) | instid1(VALU_DEP_2)
	v_dual_sub_f32 v5, v18, v0 :: v_dual_sub_f32 v17, v19, v1
	v_dual_sub_f32 v6, v58, v2 :: v_dual_sub_f32 v7, v4, v3
	s_delay_alu instid0(VALU_DEP_2) | instskip(NEXT) | instid1(VALU_DEP_2)
	v_mul_f32_e32 v4, 0x3fb8aa3b, v5
	v_dual_mul_f32 v18, 0x3fb8aa3b, v17 :: v_dual_mul_f32 v19, 0x3fb8aa3b, v6
	v_cmp_ngt_f32_e64 s3, 0xc2ce8ed0, v5
	s_delay_alu instid0(VALU_DEP_3) | instskip(SKIP_1) | instid1(VALU_DEP_4)
	v_fma_f32 v59, 0x3fb8aa3b, v5, -v4
	v_rndne_f32_e32 v60, v4
	v_fma_f32 v61, 0x3fb8aa3b, v17, -v18
	v_rndne_f32_e32 v62, v18
	v_fma_f32 v63, 0x3fb8aa3b, v6, -v19
	s_delay_alu instid0(VALU_DEP_4) | instskip(SKIP_3) | instid1(VALU_DEP_4)
	v_dual_fmac_f32 v59, 0x32a5705f, v5 :: v_dual_sub_f32 v4, v4, v60
	v_rndne_f32_e32 v64, v19
	v_mul_f32_e32 v58, 0x3fb8aa3b, v7
	v_dual_fmac_f32 v61, 0x32a5705f, v17 :: v_dual_sub_f32 v18, v18, v62
	v_dual_fmac_f32 v63, 0x32a5705f, v6 :: v_dual_add_f32 v4, v4, v59
	s_delay_alu instid0(VALU_DEP_4) | instskip(NEXT) | instid1(VALU_DEP_4)
	v_sub_f32_e32 v19, v19, v64
	v_fma_f32 v65, 0x3fb8aa3b, v7, -v58
	v_rndne_f32_e32 v66, v58
	v_add_f32_e32 v18, v18, v61
	v_exp_f32_e32 v4, v4
	v_cvt_i32_f32_e32 v60, v60
	s_delay_alu instid0(VALU_DEP_3) | instskip(SKIP_3) | instid1(TRANS32_DEP_2)
	v_dual_fmac_f32 v65, 0x32a5705f, v7 :: v_dual_sub_f32 v58, v58, v66
	v_add_f32_e32 v19, v19, v63
	v_exp_f32_e32 v18, v18
	v_cvt_i32_f32_e32 v59, v62
	v_ldexp_f32 v4, v4, v60
	v_add_f32_e32 v58, v58, v65
	v_exp_f32_e32 v19, v19
	v_cvt_i32_f32_e32 v61, v64
	v_cvt_i32_f32_e32 v62, v66
	v_ldexp_f32 v18, v18, v59
	v_cndmask_b32_e64 v4, 0, v4, s3
	v_cmp_ngt_f32_e64 s3, 0xc2ce8ed0, v17
	v_exp_f32_e32 v58, v58
	v_ldexp_f32 v19, v19, v61
	s_delay_alu instid0(VALU_DEP_2) | instskip(SKIP_1) | instid1(TRANS32_DEP_1)
	v_cndmask_b32_e64 v18, 0, v18, s3
	v_cmp_ngt_f32_e64 s3, 0xc2ce8ed0, v6
	v_ldexp_f32 v58, v58, v62
	s_delay_alu instid0(VALU_DEP_2) | instskip(SKIP_1) | instid1(VALU_DEP_1)
	v_cndmask_b32_e64 v19, 0, v19, s3
	v_cmp_ngt_f32_e64 s3, 0xc2ce8ed0, v7
	v_cndmask_b32_e64 v58, 0, v58, s3
	v_cmp_nlt_f32_e64 s3, 0x42b17218, v5
	s_delay_alu instid0(VALU_DEP_1) | instskip(SKIP_1) | instid1(VALU_DEP_1)
	v_cndmask_b32_e64 v4, 0x7f800000, v4, s3
	v_cmp_nlt_f32_e64 s3, 0x42b17218, v6
	v_cndmask_b32_e64 v6, 0x7f800000, v19, s3
	v_cmp_nlt_f32_e64 s3, 0x42b17218, v7
	s_delay_alu instid0(VALU_DEP_1) | instskip(SKIP_1) | instid1(VALU_DEP_2)
	v_cndmask_b32_e64 v7, 0x7f800000, v58, s3
	v_cmp_nlt_f32_e64 s3, 0x42b17218, v17
	v_cvt_pk_f16_f32 v19, v6, v7
	s_delay_alu instid0(VALU_DEP_2) | instskip(NEXT) | instid1(VALU_DEP_1)
	v_cndmask_b32_e64 v5, 0x7f800000, v18, s3
	v_cvt_pk_f16_f32 v18, v4, v5
	ds_store_b64 v54, v[18:19]
	s_and_saveexec_b32 s3, vcc_lo
	s_cbranch_execz .LBB5_15
; %bb.14:                               ;   in Loop: Header=BB5_11 Depth=1
	v_lshl_add_u64 v[18:19], v[32:33], 2, s[24:25]
	global_load_b128 v[58:61], v[18:19], off offset:128
	s_wait_loadcnt 0x0
	ds_store_b128 v52, v[58:61]
.LBB5_15:                               ;   in Loop: Header=BB5_11 Depth=1
	s_or_b32 exec_lo, exec_lo, s3
	v_lshl_add_u64 v[18:19], v[34:35], 2, s[24:25]
	v_dual_sub_f32 v8, v8, v0 :: v_dual_sub_f32 v17, v14, v1
	v_add_nc_u32_e32 v92, 0x400, v39
	s_delay_alu instid0(VALU_DEP_3) | instskip(NEXT) | instid1(VALU_DEP_3)
	v_add_nc_u64_e32 v[18:19], v[18:19], v[30:31]
	v_mul_f32_e32 v14, 0x3fb8aa3b, v8
	v_cmp_ngt_f32_e64 s3, 0xc2ce8ed0, v8
	global_load_b128 v[60:63], v[18:19], off
	s_wait_xcnt 0x0
	v_dual_sub_f32 v18, v15, v2 :: v_dual_sub_f32 v19, v16, v3
	v_mul_f32_e32 v15, 0x3fb8aa3b, v17
	v_rndne_f32_e32 v64, v14
	v_fma_f32 v59, 0x3fb8aa3b, v8, -v14
	s_delay_alu instid0(VALU_DEP_3)
	v_fma_f32 v65, 0x3fb8aa3b, v17, -v15
	v_rndne_f32_e32 v66, v15
	v_mul_f32_e32 v58, 0x3fb8aa3b, v19
	v_sub_f32_e32 v14, v14, v64
	v_cvt_i32_f32_e32 v64, v64
	v_fmac_f32_e32 v65, 0x32a5705f, v17
	v_sub_f32_e32 v15, v15, v66
	v_mul_f32_e32 v16, 0x3fb8aa3b, v18
	v_fma_f32 v69, 0x3fb8aa3b, v19, -v58
	v_rndne_f32_e32 v70, v58
	v_fmac_f32_e32 v59, 0x32a5705f, v8
	v_add_f32_e32 v15, v15, v65
	v_fma_f32 v67, 0x3fb8aa3b, v18, -v16
	v_rndne_f32_e32 v68, v16
	v_sub_f32_e32 v58, v58, v70
	s_delay_alu instid0(VALU_DEP_4) | instskip(NEXT) | instid1(VALU_DEP_2)
	v_exp_f32_e32 v15, v15
	v_dual_fmac_f32 v67, 0x32a5705f, v18 :: v_dual_sub_f32 v16, v16, v68
	v_cvt_i32_f32_e32 v65, v68
	s_wait_loadcnt 0x0
	ds_store_b128 v53, v[60:63]
	s_wait_dscnt 0x0
	s_barrier_signal -1
	s_barrier_wait -1
	ds_load_b128 v[60:63], v51
	v_fmac_f32_e32 v69, 0x32a5705f, v19
	s_delay_alu instid0(VALU_DEP_1) | instskip(NEXT) | instid1(VALU_DEP_1)
	v_dual_add_f32 v16, v16, v67 :: v_dual_add_f32 v58, v58, v69
	v_exp_f32_e32 v16, v16
	s_delay_alu instid0(VALU_DEP_1) | instskip(NEXT) | instid1(TRANS32_DEP_2)
	v_exp_f32_e32 v58, v58
	v_ldexp_f32 v16, v16, v65
	v_add_f32_e32 v14, v14, v59
	v_cvt_i32_f32_e32 v59, v66
	v_cvt_i32_f32_e32 v66, v70
	s_delay_alu instid0(VALU_DEP_3) | instskip(NEXT) | instid1(VALU_DEP_2)
	v_exp_f32_e32 v14, v14
	v_ldexp_f32 v15, v15, v59
	s_delay_alu instid0(VALU_DEP_2) | instskip(NEXT) | instid1(TRANS32_DEP_1)
	v_ldexp_f32 v58, v58, v66
	v_ldexp_f32 v14, v14, v64
	ds_load_b128 v[64:67], v51 offset:16
	s_wait_dscnt 0x1
	v_lshrrev_b32_e32 v100, 16, v60
	v_and_b32_e32 v102, 0xffff, v60
	v_and_b32_e32 v103, 0xffff, v61
	v_cndmask_b32_e64 v14, 0, v14, s3
	v_cmp_ngt_f32_e64 s3, 0xc2ce8ed0, v17
	v_dual_lshrrev_b32 v104, 16, v62 :: v_dual_lshrrev_b32 v105, 16, v63
	v_and_b32_e32 v106, 0xffff, v62
	v_and_b32_e32 v107, 0xffff, v63
	s_delay_alu instid0(VALU_DEP_4) | instskip(SKIP_1) | instid1(VALU_DEP_1)
	v_cndmask_b32_e64 v15, 0, v15, s3
	v_cmp_ngt_f32_e64 s3, 0xc2ce8ed0, v18
	v_dual_lshrrev_b32 v101, 16, v61 :: v_dual_cndmask_b32 v16, 0, v16, s3
	v_cmp_ngt_f32_e64 s3, 0xc2ce8ed0, v19
	s_wait_dscnt 0x0
	v_dual_lshrrev_b32 v108, 16, v64 :: v_dual_lshrrev_b32 v109, 16, v65
	s_delay_alu instid0(VALU_DEP_2) | instskip(SKIP_4) | instid1(VALU_DEP_4)
	v_cndmask_b32_e64 v58, 0, v58, s3
	v_cmp_nlt_f32_e64 s3, 0x42b17218, v8
	v_and_b32_e32 v110, 0xffff, v64
	v_and_b32_e32 v111, 0xffff, v65
	v_dual_lshrrev_b32 v112, 16, v66 :: v_dual_lshrrev_b32 v113, 16, v67
	v_cndmask_b32_e64 v14, 0x7f800000, v14, s3
	v_cmp_nlt_f32_e64 s3, 0x42b17218, v17
	v_and_b32_e32 v114, 0xffff, v66
	v_and_b32_e32 v115, 0xffff, v67
	s_delay_alu instid0(VALU_DEP_4) | instskip(NEXT) | instid1(VALU_DEP_4)
	v_cvt_f16_f32_e32 v8, v14
	v_cndmask_b32_e64 v15, 0x7f800000, v15, s3
	v_cmp_nlt_f32_e64 s3, 0x42b17218, v18
	s_delay_alu instid0(VALU_DEP_3) | instskip(NEXT) | instid1(VALU_DEP_3)
	v_and_b32_e32 v8, 0xffff, v8
	v_cvt_f16_f32_e32 v18, v15
	s_delay_alu instid0(VALU_DEP_3) | instskip(SKIP_2) | instid1(VALU_DEP_4)
	v_cndmask_b32_e64 v16, 0x7f800000, v16, s3
	v_cmp_nlt_f32_e64 s3, 0x42b17218, v19
	v_pk_fma_f32 v[24:25], v[24:25], v[14:15], v[4:5]
	v_and_b32_e32 v18, 0xffff, v18
	s_delay_alu instid0(VALU_DEP_4) | instskip(NEXT) | instid1(VALU_DEP_4)
	v_cvt_f16_f32_e32 v19, v16
	v_cndmask_b32_e64 v17, 0x7f800000, v58, s3
	v_add_nc_u32_e32 v58, 0x800, v39
	s_delay_alu instid0(VALU_DEP_4) | instskip(NEXT) | instid1(VALU_DEP_3)
	v_mul_u32_u24_e32 v93, 0x10001, v18
	v_cvt_f16_f32_e32 v59, v17
	v_pk_fma_f32 v[22:23], v[22:23], v[16:17], v[6:7]
	v_and_b32_e32 v6, 0xffff, v19
	s_delay_alu instid0(VALU_DEP_4) | instskip(NEXT) | instid1(VALU_DEP_4)
	v_pk_mul_f16 v96, v12, v93
	v_and_b32_e32 v7, 0xffff, v59
	v_mul_u32_u24_e32 v59, 0x10001, v8
	s_delay_alu instid0(VALU_DEP_4) | instskip(NEXT) | instid1(VALU_DEP_3)
	v_mul_u32_u24_e32 v94, 0x10001, v6
	v_mul_u32_u24_e32 v6, 0x10001, v7
	s_delay_alu instid0(VALU_DEP_3) | instskip(NEXT) | instid1(VALU_DEP_3)
	v_pk_mul_f16 v95, v13, v59
	v_pk_mul_f16 v97, v11, v94
	s_delay_alu instid0(VALU_DEP_3)
	v_pk_mul_f16 v98, v9, v6
	v_pk_mul_f16 v99, v10, v6
	ds_load_2addr_b64 v[4:7], v39 offset1:18
	ds_load_b128 v[68:71], v51 offset:32
	ds_load_b128 v[72:75], v51 offset:48
	;; [unrolled: 1-line block ×4, first 2 shown]
	ds_load_2addr_b64 v[16:19], v39 offset0:36 offset1:54
	ds_load_b128 v[84:87], v51 offset:96
	ds_load_b128 v[12:15], v51 offset:112
	ds_load_2addr_b64 v[8:11], v39 offset0:72 offset1:90
	ds_load_2addr_b64 v[88:91], v39 offset0:108 offset1:126
	ds_load_b128 v[60:63], v51 offset:128
	ds_load_b128 v[64:67], v51 offset:144
	s_wait_dscnt 0xa
	v_dual_lshrrev_b32 v116, 16, v68 :: v_dual_lshrrev_b32 v117, 16, v69
	v_and_b32_e32 v118, 0xffff, v68
	v_and_b32_e32 v119, 0xffff, v69
	v_dual_lshrrev_b32 v120, 16, v70 :: v_dual_lshrrev_b32 v121, 16, v71
	v_and_b32_e32 v122, 0xffff, v70
	s_wait_dscnt 0x9
	v_dual_lshrrev_b32 v124, 16, v72 :: v_dual_lshrrev_b32 v125, 16, v73
	v_and_b32_e32 v126, 0xffff, v72
	v_mul_u32_u24_e32 v68, 0x10001, v102
	v_mul_u32_u24_e32 v69, 0x10001, v100
	;; [unrolled: 1-line block ×4, first 2 shown]
	v_dual_lshrrev_b32 v128, 16, v74 :: v_dual_lshrrev_b32 v129, 16, v75
	v_and_b32_e32 v130, 0xffff, v74
	s_wait_dscnt 0x8
	v_dual_lshrrev_b32 v132, 16, v76 :: v_dual_lshrrev_b32 v133, 16, v77
	v_and_b32_e32 v134, 0xffff, v76
	v_and_b32_e32 v135, 0xffff, v77
	v_pk_fma_f16 v76, v5, v68, v95
	v_pk_mul_f16 v68, v4, v68
	v_pk_fma_f16 v77, v5, v69, v96
	v_pk_mul_f16 v69, v4, v69
	;; [unrolled: 2-line block ×3, first 2 shown]
	v_and_b32_e32 v127, 0xffff, v73
	v_and_b32_e32 v131, 0xffff, v75
	v_dual_lshrrev_b32 v136, 16, v78 :: v_dual_lshrrev_b32 v137, 16, v79
	v_and_b32_e32 v139, 0xffff, v79
	s_wait_dscnt 0x7
	v_dual_lshrrev_b32 v140, 16, v80 :: v_dual_lshrrev_b32 v141, 16, v81
	v_and_b32_e32 v142, 0xffff, v80
	v_mul_u32_u24_e32 v73, 0x10001, v105
	v_pk_fma_f16 v75, v5, v70, v99
	v_pk_fma_f16 v57, v57, v59, v68
	v_pk_fma_f16 v56, v56, v93, v69
	v_mul_u32_u24_e32 v59, 0x10001, v106
	v_pk_fma_f16 v5, v5, v72, v97
	v_pk_fma_f16 v4, v55, v94, v4
	v_mul_u32_u24_e32 v79, 0x10001, v104
	v_mul_u32_u24_e32 v80, 0x10001, v107
	v_and_b32_e32 v138, 0xffff, v78
	v_and_b32_e32 v143, 0xffff, v81
	v_dual_lshrrev_b32 v144, 16, v82 :: v_dual_lshrrev_b32 v145, 16, v83
	v_and_b32_e32 v146, 0xffff, v82
	v_and_b32_e32 v147, 0xffff, v83
	v_pk_fma_f16 v55, v6, v73, v74
	v_pk_fma_f16 v78, v7, v73, v75
	v_pk_fma_f16 v76, v7, v59, v76
	v_pk_fma_f16 v57, v6, v59, v57
	v_pk_fma_f16 v77, v7, v79, v77
	v_pk_fma_f16 v56, v6, v79, v56
	v_pk_fma_f16 v79, v7, v80, v5
	v_pk_fma_f16 v80, v6, v80, v4
	v_mul_u32_u24_e32 v4, 0x10001, v109
	v_mul_u32_u24_e32 v81, 0x10001, v110
	;; [unrolled: 1-line block ×5, first 2 shown]
	s_wait_dscnt 0x6
	v_pk_fma_f16 v55, v16, v4, v55
	v_pk_fma_f16 v96, v17, v4, v78
	;; [unrolled: 1-line block ×8, first 2 shown]
	v_mul_u32_u24_e32 v80, 0x10001, v114
	v_mul_u32_u24_e32 v82, 0x10001, v112
	v_mul_u32_u24_e32 v83, 0x10001, v115
	v_and_b32_e32 v123, 0xffff, v71
	v_pk_fma_f16 v55, v18, v97, v55
	v_pk_fma_f16 v81, v19, v97, v96
	;; [unrolled: 1-line block ×8, first 2 shown]
	v_mul_u32_u24_e32 v18, 0x10001, v117
	v_mul_u32_u24_e32 v19, 0x10001, v118
	;; [unrolled: 1-line block ×5, first 2 shown]
	s_wait_dscnt 0x3
	v_pk_fma_f16 v55, v8, v18, v55
	v_pk_fma_f16 v81, v9, v18, v81
	;; [unrolled: 1-line block ×8, first 2 shown]
	v_mul_u32_u24_e32 v82, 0x10001, v122
	v_mul_u32_u24_e32 v83, 0x10001, v120
	;; [unrolled: 1-line block ×3, first 2 shown]
	ds_load_2addr_b64 v[68:71], v39 offset0:144 offset1:162
	v_pk_fma_f16 v55, v10, v104, v55
	v_pk_fma_f16 v81, v11, v104, v81
	;; [unrolled: 1-line block ×5, first 2 shown]
	v_mul_u32_u24_e32 v10, 0x10001, v125
	s_wait_dscnt 0x2
	v_dual_lshrrev_b32 v104, 16, v60 :: v_dual_lshrrev_b32 v106, 16, v61
	v_pk_fma_f16 v96, v11, v82, v96
	v_pk_fma_f16 v80, v11, v83, v80
	v_and_b32_e32 v107, 0xffff, v60
	v_pk_fma_f16 v9, v11, v105, v9
	v_and_b32_e32 v105, 0xffff, v61
	v_mul_u32_u24_e32 v11, 0x10001, v126
	v_mul_u32_u24_e32 v60, 0x10001, v124
	;; [unrolled: 1-line block ×4, first 2 shown]
	v_pk_fma_f16 v55, v88, v10, v55
	v_pk_fma_f16 v81, v89, v10, v81
	ds_load_2addr_b64 v[72:75], v39 offset0:180 offset1:198
	v_pk_fma_f16 v83, v89, v11, v96
	v_pk_fma_f16 v80, v89, v60, v80
	;; [unrolled: 1-line block ×6, first 2 shown]
	v_mul_u32_u24_e32 v89, 0x10001, v130
	v_pk_fma_f16 v55, v90, v82, v55
	v_pk_fma_f16 v81, v91, v82, v81
	v_mul_u32_u24_e32 v82, 0x10001, v128
	v_mul_u32_u24_e32 v113, 0x10001, v131
	v_pk_fma_f16 v83, v91, v89, v83
	v_pk_fma_f16 v57, v90, v89, v57
	v_mul_u32_u24_e32 v116, 0x10001, v133
	v_pk_fma_f16 v80, v91, v82, v80
	v_pk_fma_f16 v56, v90, v82, v56
	;; [unrolled: 1-line block ×4, first 2 shown]
	v_mul_u32_u24_e32 v117, 0x10001, v134
	v_mul_u32_u24_e32 v118, 0x10001, v132
	;; [unrolled: 1-line block ×3, first 2 shown]
	ds_load_2addr_b64 v[4:7], v39 offset0:216 offset1:234
	v_mul_u32_u24_e32 v120, 0x10001, v137
	s_wait_dscnt 0x2
	v_pk_fma_f16 v55, v68, v116, v55
	v_pk_fma_f16 v121, v69, v117, v83
	;; [unrolled: 1-line block ×8, first 2 shown]
	v_mul_u32_u24_e32 v88, 0x10001, v138
	v_mul_u32_u24_e32 v117, 0x10001, v136
	;; [unrolled: 1-line block ×3, first 2 shown]
	v_pk_fma_f16 v55, v70, v120, v55
	v_pk_fma_f16 v69, v71, v120, v69
	;; [unrolled: 1-line block ×8, first 2 shown]
	v_mul_u32_u24_e32 v122, 0x10001, v141
	v_mul_u32_u24_e32 v125, 0x10001, v142
	;; [unrolled: 1-line block ×4, first 2 shown]
	v_dual_lshrrev_b32 v59, 16, v84 :: v_dual_lshrrev_b32 v93, 16, v85
	v_and_b32_e32 v84, 0xffff, v84
	v_and_b32_e32 v85, 0xffff, v85
	ds_load_2addr_b64 v[76:79], v92 offset0:124 offset1:142
	s_wait_dscnt 0x2
	v_pk_fma_f16 v55, v72, v122, v55
	v_pk_fma_f16 v69, v73, v122, v69
	;; [unrolled: 1-line block ×8, first 2 shown]
	v_mul_u32_u24_e32 v72, 0x10001, v145
	v_mul_u32_u24_e32 v73, 0x10001, v146
	v_mul_u32_u24_e32 v126, 0x10001, v144
	v_mul_u32_u24_e32 v127, 0x10001, v147
	v_dual_lshrrev_b32 v94, 16, v86 :: v_dual_lshrrev_b32 v95, 16, v87
	v_and_b32_e32 v86, 0xffff, v86
	v_and_b32_e32 v87, 0xffff, v87
	v_mul_u32_u24_e32 v93, 0x10001, v93
	v_mul_u32_u24_e32 v84, 0x10001, v84
	;; [unrolled: 1-line block ×4, first 2 shown]
	v_pk_fma_f16 v55, v74, v72, v55
	v_pk_fma_f16 v69, v75, v72, v69
	;; [unrolled: 1-line block ×8, first 2 shown]
	v_dual_lshrrev_b32 v92, 16, v12 :: v_dual_lshrrev_b32 v97, 16, v13
	v_and_b32_e32 v98, 0xffff, v12
	v_and_b32_e32 v99, 0xffff, v13
	v_dual_lshrrev_b32 v100, 16, v14 :: v_dual_lshrrev_b32 v101, 16, v15
	v_and_b32_e32 v102, 0xffff, v14
	v_and_b32_e32 v103, 0xffff, v15
	ds_load_2addr_b64 v[12:15], v58 offset0:32 offset1:50
	v_mul_u32_u24_e32 v95, 0x10001, v95
	v_mul_u32_u24_e32 v86, 0x10001, v86
	;; [unrolled: 1-line block ×4, first 2 shown]
	s_wait_dscnt 0x2
	v_pk_fma_f16 v55, v4, v93, v55
	v_pk_fma_f16 v72, v5, v84, v72
	;; [unrolled: 1-line block ×8, first 2 shown]
	v_mul_u32_u24_e32 v97, 0x10001, v97
	v_mul_u32_u24_e32 v98, 0x10001, v98
	;; [unrolled: 1-line block ×3, first 2 shown]
	v_pk_fma_f16 v55, v6, v95, v55
	v_pk_fma_f16 v59, v7, v95, v69
	;; [unrolled: 1-line block ×7, first 2 shown]
	ds_load_2addr_b64 v[16:19], v58 offset0:68 offset1:86
	v_mul_u32_u24_e32 v101, 0x10001, v101
	v_mul_u32_u24_e32 v102, 0x10001, v102
	;; [unrolled: 1-line block ×3, first 2 shown]
	v_pk_fma_f16 v56, v6, v94, v56
	s_wait_dscnt 0x2
	v_pk_fma_f16 v6, v76, v97, v55
	v_pk_fma_f16 v7, v76, v98, v7
	v_pk_fma_f16 v4, v76, v99, v4
	v_dual_lshrrev_b32 v108, 16, v62 :: v_dual_lshrrev_b32 v109, 16, v63
	v_and_b32_e32 v110, 0xffff, v62
	v_and_b32_e32 v111, 0xffff, v63
	ds_load_b128 v[8:11], v51 offset:160
	ds_load_b128 v[60:63], v51 offset:176
	v_mul_u32_u24_e32 v92, 0x10001, v92
	v_mul_u32_u24_e32 v107, 0x10001, v107
	;; [unrolled: 1-line block ×4, first 2 shown]
	v_pk_fma_f16 v5, v77, v99, v5
	v_pk_fma_f16 v6, v78, v101, v6
	;; [unrolled: 1-line block ×4, first 2 shown]
	v_dual_lshrrev_b32 v112, 16, v64 :: v_dual_lshrrev_b32 v89, 16, v65
	v_and_b32_e32 v114, 0xffff, v64
	v_and_b32_e32 v90, 0xffff, v65
	v_dual_lshrrev_b32 v91, 16, v66 :: v_dual_lshrrev_b32 v96, 16, v67
	v_and_b32_e32 v113, 0xffff, v66
	v_and_b32_e32 v115, 0xffff, v67
	ds_load_2addr_b64 v[64:67], v58 offset0:104 offset1:122
	v_mul_u32_u24_e32 v100, 0x10001, v100
	v_mul_u32_u24_e32 v110, 0x10001, v110
	;; [unrolled: 1-line block ×4, first 2 shown]
	v_pk_fma_f16 v55, v77, v97, v59
	v_pk_fma_f16 v57, v77, v98, v68
	;; [unrolled: 1-line block ×5, first 2 shown]
	s_wait_dscnt 0x4
	v_pk_fma_f16 v6, v12, v106, v6
	v_pk_fma_f16 v7, v12, v107, v7
	;; [unrolled: 1-line block ×3, first 2 shown]
	v_mul_u32_u24_e32 v104, 0x10001, v104
	v_mul_u32_u24_e32 v114, 0x10001, v114
	;; [unrolled: 1-line block ×4, first 2 shown]
	v_pk_fma_f16 v55, v79, v101, v55
	v_pk_fma_f16 v57, v79, v102, v57
	;; [unrolled: 1-line block ×8, first 2 shown]
	ds_load_2addr_b64 v[80:83], v58 offset0:140 offset1:158
	s_wait_dscnt 0x3
	v_dual_lshrrev_b32 v116, 16, v8 :: v_dual_lshrrev_b32 v88, 16, v9
	v_and_b32_e32 v117, 0xffff, v8
	v_and_b32_e32 v70, 0xffff, v9
	v_mul_u32_u24_e32 v108, 0x10001, v108
	v_mul_u32_u24_e32 v113, 0x10001, v113
	;; [unrolled: 1-line block ×4, first 2 shown]
	v_pk_fma_f16 v57, v13, v107, v57
	v_pk_fma_f16 v59, v13, v104, v59
	;; [unrolled: 1-line block ×8, first 2 shown]
	v_dual_lshrrev_b32 v118, 16, v10 :: v_dual_lshrrev_b32 v121, 16, v11
	v_and_b32_e32 v123, 0xffff, v10
	v_and_b32_e32 v124, 0xffff, v11
	v_mul_u32_u24_e32 v112, 0x10001, v112
	v_mul_u32_u24_e32 v117, 0x10001, v117
	;; [unrolled: 1-line block ×4, first 2 shown]
	v_pk_fma_f16 v12, v15, v110, v57
	v_pk_fma_f16 v56, v15, v108, v59
	;; [unrolled: 1-line block ×8, first 2 shown]
	s_wait_dscnt 0x2
	v_dual_lshrrev_b32 v122, 16, v60 :: v_dual_lshrrev_b32 v125, 16, v61
	v_and_b32_e32 v60, 0xffff, v60
	v_and_b32_e32 v61, 0xffff, v61
	v_mul_u32_u24_e32 v91, 0x10001, v91
	v_mul_u32_u24_e32 v123, 0x10001, v123
	;; [unrolled: 1-line block ×4, first 2 shown]
	v_pk_fma_f16 v12, v17, v114, v12
	v_pk_fma_f16 v14, v17, v112, v56
	;; [unrolled: 1-line block ×4, first 2 shown]
	s_wait_dscnt 0x1
	v_pk_fma_f16 v6, v64, v88, v6
	v_pk_fma_f16 v7, v64, v117, v7
	;; [unrolled: 1-line block ×3, first 2 shown]
	ds_load_b128 v[8:11], v51 offset:192
	v_mul_u32_u24_e32 v116, 0x10001, v116
	v_mul_u32_u24_e32 v60, 0x10001, v60
	;; [unrolled: 1-line block ×4, first 2 shown]
	v_pk_fma_f16 v13, v17, v89, v13
	v_pk_fma_f16 v12, v19, v113, v12
	;; [unrolled: 1-line block ×8, first 2 shown]
	v_mul_u32_u24_e32 v118, 0x10001, v118
	v_pk_fma_f16 v13, v19, v96, v13
	v_pk_fma_f16 v12, v65, v117, v12
	;; [unrolled: 1-line block ×5, first 2 shown]
	s_wait_dscnt 0x1
	v_pk_fma_f16 v16, v80, v125, v6
	v_pk_fma_f16 v17, v80, v60, v7
	;; [unrolled: 1-line block ×3, first 2 shown]
	v_and_b32_e32 v4, 0xffff, v62
	v_dual_lshrrev_b32 v6, 16, v62 :: v_dual_lshrrev_b32 v55, 16, v63
	v_and_b32_e32 v7, 0xffff, v63
	v_mul_u32_u24_e32 v122, 0x10001, v122
	v_pk_fma_f16 v13, v65, v88, v13
	v_pk_fma_f16 v12, v67, v123, v12
	;; [unrolled: 1-line block ×5, first 2 shown]
	v_mul_u32_u24_e32 v56, 0x10001, v4
	v_mul_u32_u24_e32 v57, 0x10001, v6
	v_mul_u32_u24_e32 v59, 0x10001, v7
	ds_load_2addr_b64 v[4:7], v58 offset0:176 offset1:194
	v_pk_fma_f16 v13, v67, v121, v13
	v_pk_fma_f16 v12, v81, v60, v12
	;; [unrolled: 1-line block ×4, first 2 shown]
	v_mul_u32_u24_e32 v55, 0x10001, v55
	v_pk_fma_f16 v60, v81, v125, v13
	v_pk_fma_f16 v17, v82, v56, v17
	;; [unrolled: 1-line block ×5, first 2 shown]
	ds_load_b128 v[12:15], v51 offset:208
	s_wait_dscnt 0x2
	v_and_b32_e32 v62, 0xffff, v8
	v_lshrrev_b32_e32 v8, 16, v8
	v_and_b32_e32 v63, 0xffff, v9
	v_lshrrev_b32_e32 v9, 16, v9
	v_pk_fma_f16 v18, v82, v59, v18
	v_pk_fma_f16 v16, v82, v55, v16
	;; [unrolled: 1-line block ×3, first 2 shown]
	v_mul_u32_u24_e32 v59, 0x10001, v62
	v_mul_u32_u24_e32 v8, 0x10001, v8
	;; [unrolled: 1-line block ×4, first 2 shown]
	v_pk_fma_f16 v55, v83, v55, v60
	s_wait_dscnt 0x1
	v_pk_fma_f16 v17, v4, v59, v17
	v_pk_fma_f16 v60, v4, v8, v61
	;; [unrolled: 1-line block ×6, first 2 shown]
	v_and_b32_e32 v8, 0xffff, v10
	v_dual_lshrrev_b32 v9, 16, v10 :: v_dual_lshrrev_b32 v59, 16, v11
	v_pk_fma_f16 v19, v5, v62, v19
	v_and_b32_e32 v57, 0xffff, v11
	s_delay_alu instid0(VALU_DEP_4) | instskip(NEXT) | instid1(VALU_DEP_4)
	v_mul_u32_u24_e32 v61, 0x10001, v8
	v_mul_u32_u24_e32 v62, 0x10001, v9
	ds_load_2addr_b64 v[8:11], v58 offset0:212 offset1:230
	v_mul_u32_u24_e32 v58, 0x10001, v59
	v_mul_u32_u24_e32 v57, 0x10001, v57
	v_pk_fma_f16 v5, v5, v63, v55
	v_pk_fma_f16 v17, v6, v61, v17
	;; [unrolled: 1-line block ×7, first 2 shown]
	s_wait_dscnt 0x1
	v_and_b32_e32 v56, 0xffff, v12
	v_lshrrev_b32_e32 v12, 16, v12
	v_and_b32_e32 v59, 0xffff, v13
	v_lshrrev_b32_e32 v13, 16, v13
	v_pk_fma_f16 v19, v7, v57, v19
	v_mul_u32_u24_e32 v56, 0x10001, v56
	v_mul_u32_u24_e32 v12, 0x10001, v12
	;; [unrolled: 1-line block ×4, first 2 shown]
	v_pk_fma_f16 v58, v7, v58, v5
	s_wait_dscnt 0x0
	v_pk_fma_f16 v17, v8, v56, v17
	v_pk_fma_f16 v55, v8, v12, v55
	;; [unrolled: 1-line block ×5, first 2 shown]
	ds_load_b128 v[4:7], v51 offset:224
	v_pk_fma_f16 v16, v9, v12, v16
	v_pk_fma_f16 v57, v9, v57, v19
	v_and_b32_e32 v12, 0xffff, v14
	v_dual_lshrrev_b32 v13, 16, v14 :: v_dual_lshrrev_b32 v60, 16, v15
	v_and_b32_e32 v14, 0xffff, v15
	v_add_nc_u32_e32 v19, 0xc00, v39
	s_delay_alu instid0(VALU_DEP_4) | instskip(NEXT) | instid1(VALU_DEP_4)
	v_mul_u32_u24_e32 v61, 0x10001, v12
	v_mul_u32_u24_e32 v62, 0x10001, v13
	;; [unrolled: 1-line block ×4, first 2 shown]
	ds_load_2addr_b64 v[12:15], v19 offset0:120 offset1:138
	v_pk_fma_f16 v9, v9, v59, v58
	v_pk_fma_f16 v58, v10, v61, v17
	;; [unrolled: 1-line block ×7, first 2 shown]
	ds_load_b128 v[16:19], v51 offset:240
	s_wait_dscnt 0x2
	v_and_b32_e32 v61, 0xffff, v4
	v_lshrrev_b32_e32 v4, 16, v4
	v_and_b32_e32 v62, 0xffff, v5
	v_lshrrev_b32_e32 v5, 16, v5
	v_pk_fma_f16 v57, v11, v63, v57
	v_mul_u32_u24_e32 v61, 0x10001, v61
	v_mul_u32_u24_e32 v4, 0x10001, v4
	;; [unrolled: 1-line block ×4, first 2 shown]
	v_pk_fma_f16 v9, v11, v60, v9
	v_lshrrev_b32_e32 v5, 16, v6
	s_wait_dscnt 0x1
	v_pk_fma_f16 v11, v12, v61, v58
	v_pk_fma_f16 v55, v12, v4, v55
	;; [unrolled: 1-line block ×5, first 2 shown]
	v_and_b32_e32 v4, 0xffff, v6
	v_add_nc_u32_e32 v6, 0x1000, v39
	v_pk_fma_f16 v10, v13, v61, v10
	v_pk_fma_f16 v56, v13, v62, v57
	v_and_b32_e32 v57, 0xffff, v7
	v_lshrrev_b32_e32 v59, 16, v7
	v_mul_u32_u24_e32 v60, 0x10001, v4
	v_mul_u32_u24_e32 v61, 0x10001, v5
	ds_load_2addr_b64 v[4:7], v6 offset0:28 offset1:46
	v_mul_u32_u24_e32 v57, 0x10001, v57
	v_mul_u32_u24_e32 v59, 0x10001, v59
	s_wait_dscnt 0x0
	s_barrier_signal -1
	s_barrier_wait -1
	s_load_b32 s3, s[20:21], 0x4
	v_pk_fma_f16 v9, v13, v63, v9
	v_pk_fma_f16 v11, v14, v60, v11
	;; [unrolled: 1-line block ×5, first 2 shown]
	v_and_b32_e32 v14, 0xffff, v16
	v_lshrrev_b32_e32 v16, 16, v16
	v_and_b32_e32 v58, 0xffff, v17
	v_lshrrev_b32_e32 v17, 16, v17
	v_pk_fma_f16 v10, v15, v60, v10
	v_pk_fma_f16 v12, v15, v61, v12
	;; [unrolled: 1-line block ×3, first 2 shown]
	v_mul_u32_u24_e32 v14, 0x10001, v14
	v_mul_u32_u24_e32 v16, 0x10001, v16
	;; [unrolled: 1-line block ×4, first 2 shown]
	v_pk_fma_f16 v9, v15, v59, v9
	v_pk_fma_f16 v11, v4, v14, v11
	;; [unrolled: 1-line block ×7, first 2 shown]
	v_and_b32_e32 v12, 0xffff, v18
	v_dual_lshrrev_b32 v14, 16, v18 :: v_dual_lshrrev_b32 v18, 16, v19
	v_and_b32_e32 v16, 0xffff, v19
	v_pk_fma_f16 v19, v5, v57, v56
	s_delay_alu instid0(VALU_DEP_4) | instskip(NEXT) | instid1(VALU_DEP_4)
	v_mul_u32_u24_e32 v12, 0x10001, v12
	v_mul_u32_u24_e32 v14, 0x10001, v14
	;; [unrolled: 1-line block ×4, first 2 shown]
	v_pk_fma_f16 v5, v5, v17, v9
	s_wait_kmcnt 0x0
	s_lshl_b32 s3, s3, 5
	v_pk_fma_f16 v57, v6, v12, v11
	v_pk_fma_f16 v56, v6, v14, v13
	;; [unrolled: 1-line block ×8, first 2 shown]
	s_add_co_i32 s4, s3, s4
	s_delay_alu instid0(SALU_CYCLE_1)
	s_cmp_ge_i32 s4, s30
	s_cbranch_scc1 .LBB5_17
; %bb.16:                               ;   in Loop: Header=BB5_11 Depth=1
	v_dual_mov_b32 v8, v0 :: v_dual_mov_b32 v14, v1
	v_dual_mov_b32 v15, v2 :: v_dual_mov_b32 v16, v3
	s_branch .LBB5_11
.LBB5_17:
	v_mov_b32_e32 v4, v21
.LBB5_18:
	v_cmp_lt_i32_e32 vcc_lo, v45, v40
	s_cmp_lg_u64 s[12:13], 0
	s_cselect_b32 s3, -1, 0
	s_cmp_eq_u32 s33, 0
	v_cndmask_b32_e32 v5, v4, v45, vcc_lo
	v_cmp_lt_i32_e32 vcc_lo, v44, v40
	s_cselect_b32 s4, -1, 0
	s_delay_alu instid0(SALU_CYCLE_1) | instskip(NEXT) | instid1(VALU_DEP_2)
	s_and_b32 s3, s4, s3
	v_lshlrev_b32_e32 v5, 2, v5
	ds_bpermute_b32 v6, v5, v24
	ds_bpermute_b32 v7, v5, v25
	;; [unrolled: 1-line block ×4, first 2 shown]
	v_cndmask_b32_e32 v5, v4, v44, vcc_lo
	v_cmp_lt_i32_e32 vcc_lo, v43, v40
	s_delay_alu instid0(VALU_DEP_2)
	v_lshlrev_b32_e32 v5, 2, v5
	s_wait_dscnt 0x2
	v_pk_add_f32 v[6:7], v[24:25], v[6:7]
	s_wait_dscnt 0x0
	v_pk_add_f32 v[14:15], v[22:23], v[14:15]
	ds_bpermute_b32 v16, v5, v6
	ds_bpermute_b32 v17, v5, v7
	;; [unrolled: 1-line block ×4, first 2 shown]
	v_cndmask_b32_e32 v5, v4, v43, vcc_lo
	v_cmp_lt_i32_e32 vcc_lo, v42, v40
	s_delay_alu instid0(VALU_DEP_2)
	v_lshlrev_b32_e32 v5, 2, v5
	s_wait_dscnt 0x2
	v_pk_add_f32 v[6:7], v[6:7], v[16:17]
	s_wait_dscnt 0x0
	v_pk_add_f32 v[14:15], v[14:15], v[18:19]
	ds_bpermute_b32 v16, v5, v6
	ds_bpermute_b32 v17, v5, v7
	;; [unrolled: 1-line block ×4, first 2 shown]
	v_cndmask_b32_e32 v5, v4, v42, vcc_lo
	v_cmp_lt_i32_e32 vcc_lo, v41, v40
	s_delay_alu instid0(VALU_DEP_2) | instskip(SKIP_2) | instid1(VALU_DEP_1)
	v_lshlrev_b32_e32 v5, 2, v5
	v_cndmask_b32_e32 v4, v4, v41, vcc_lo
	s_and_b32 vcc_lo, exec_lo, s3
	v_lshlrev_b32_e32 v8, 2, v4
	s_wait_dscnt 0x2
	v_pk_add_f32 v[6:7], v[6:7], v[16:17]
	s_wait_dscnt 0x0
	v_pk_add_f32 v[14:15], v[14:15], v[18:19]
	ds_bpermute_b32 v16, v5, v6
	ds_bpermute_b32 v17, v5, v7
	ds_bpermute_b32 v18, v5, v14
	ds_bpermute_b32 v19, v5, v15
	s_wait_dscnt 0x2
	v_pk_add_f32 v[4:5], v[6:7], v[16:17]
	s_wait_dscnt 0x0
	v_pk_add_f32 v[14:15], v[14:15], v[18:19]
	ds_bpermute_b32 v6, v8, v4
	ds_bpermute_b32 v7, v8, v5
	;; [unrolled: 1-line block ×4, first 2 shown]
	s_wait_dscnt 0x2
	v_pk_add_f32 v[6:7], v[4:5], v[6:7]
	s_wait_dscnt 0x0
	v_pk_add_f32 v[4:5], v[14:15], v[16:17]
	s_cbranch_vccz .LBB5_20
; %bb.19:
	v_dual_add_nc_u32 v14, s31, v20 :: v_dual_max_num_f32 v18, v1, v1
	v_dual_max_num_f32 v19, v2, v2 :: v_dual_max_num_f32 v25, v3, v3
	s_delay_alu instid0(VALU_DEP_2) | instskip(NEXT) | instid1(VALU_DEP_1)
	v_dual_max_num_f32 v8, v0, v0 :: v_dual_ashrrev_i32 v15, 31, v14
	v_lshl_add_u64 v[14:15], v[14:15], 2, s[12:13]
	global_load_b128 v[14:17], v[14:15], off
	s_wait_loadcnt 0x0
	v_dual_max_num_f32 v21, v14, v14 :: v_dual_max_num_f32 v23, v15, v15
	v_dual_max_num_f32 v24, v16, v16 :: v_dual_max_num_f32 v26, v17, v17
	s_delay_alu instid0(VALU_DEP_2) | instskip(NEXT) | instid1(VALU_DEP_2)
	v_dual_max_num_f32 v22, v8, v21 :: v_dual_max_num_f32 v23, v18, v23
	v_dual_max_num_f32 v24, v19, v24 :: v_dual_max_num_f32 v25, v25, v26
	s_delay_alu instid0(VALU_DEP_2) | instskip(NEXT) | instid1(VALU_DEP_3)
	v_dual_sub_f32 v0, v0, v22 :: v_dual_sub_f32 v8, v14, v22
	v_dual_sub_f32 v1, v1, v23 :: v_dual_sub_f32 v14, v15, v23
	s_delay_alu instid0(VALU_DEP_3) | instskip(NEXT) | instid1(VALU_DEP_2)
	v_dual_sub_f32 v15, v2, v24 :: v_dual_sub_f32 v16, v16, v24
	v_dual_mul_f32 v2, 0x3fb8aa3b, v0 :: v_dual_mul_f32 v19, 0x3fb8aa3b, v1
	v_dual_sub_f32 v18, v3, v25 :: v_dual_sub_f32 v17, v17, v25
	s_delay_alu instid0(VALU_DEP_3) | instskip(NEXT) | instid1(VALU_DEP_3)
	v_dual_mul_f32 v3, 0x3fb8aa3b, v8 :: v_dual_mul_f32 v26, 0x3fb8aa3b, v15
	v_fma_f32 v30, 0x3fb8aa3b, v0, -v2
	v_rndne_f32_e32 v31, v2
	v_mul_f32_e32 v21, 0x3fb8aa3b, v14
	v_dual_mul_f32 v27, 0x3fb8aa3b, v16 :: v_dual_mul_f32 v28, 0x3fb8aa3b, v18
	v_fma_f32 v32, 0x3fb8aa3b, v8, -v3
	v_rndne_f32_e32 v33, v3
	v_fma_f32 v41, 0x3fb8aa3b, v15, -v26
	v_fmac_f32_e32 v30, 0x32a5705f, v0
	v_sub_f32_e32 v2, v2, v31
	v_fma_f32 v34, 0x3fb8aa3b, v1, -v19
	v_rndne_f32_e32 v35, v19
	v_rndne_f32_e32 v40, v21
	;; [unrolled: 1-line block ×3, first 2 shown]
	v_mul_f32_e32 v29, 0x3fb8aa3b, v17
	v_rndne_f32_e32 v46, v28
	v_dual_fmac_f32 v32, 0x32a5705f, v8 :: v_dual_sub_f32 v19, v19, v35
	v_sub_f32_e32 v3, v3, v33
	v_dual_fmac_f32 v41, 0x32a5705f, v15 :: v_dual_add_f32 v2, v2, v30
	v_fma_f32 v39, 0x3fb8aa3b, v14, -v21
	v_fma_f32 v45, 0x3fb8aa3b, v18, -v28
	v_dual_fmac_f32 v34, 0x32a5705f, v1 :: v_dual_sub_f32 v21, v21, v40
	v_sub_f32_e32 v28, v28, v46
	v_sub_f32_e32 v26, v26, v42
	v_rndne_f32_e32 v48, v29
	v_add_f32_e32 v3, v3, v32
	v_exp_f32_e32 v2, v2
	v_cvt_i32_f32_e32 v31, v31
	v_rndne_f32_e32 v44, v27
	v_fma_f32 v47, 0x3fb8aa3b, v17, -v29
	v_fmac_f32_e32 v39, 0x32a5705f, v14
	v_dual_sub_f32 v29, v29, v48 :: v_dual_add_f32 v19, v19, v34
	v_exp_f32_e32 v3, v3
	v_cvt_i32_f32_e32 v33, v33
	v_ldexp_f32 v2, v2, v31
	v_cmp_ngt_f32_e32 vcc_lo, 0xc2ce8ed0, v0
	v_fma_f32 v43, 0x3fb8aa3b, v16, -v27
	v_dual_sub_f32 v27, v27, v44 :: v_dual_add_f32 v21, v21, v39
	v_exp_f32_e32 v19, v19
	v_cvt_i32_f32_e32 v35, v35
	v_dual_fmac_f32 v47, 0x32a5705f, v17 :: v_dual_cndmask_b32 v2, 0, v2
	v_ldexp_f32 v3, v3, v33
	v_cmp_ngt_f32_e32 vcc_lo, 0xc2ce8ed0, v8
	v_exp_f32_e32 v21, v21
	v_cvt_i32_f32_e32 v40, v40
	v_dual_fmac_f32 v43, 0x32a5705f, v16 :: v_dual_add_f32 v26, v26, v41
	v_ldexp_f32 v19, v19, v35
	v_cndmask_b32_e32 v3, 0, v3, vcc_lo
	v_cmp_ngt_f32_e32 vcc_lo, 0xc2ce8ed0, v1
	s_delay_alu instid0(TRANS32_DEP_1)
	v_ldexp_f32 v21, v21, v40
	v_exp_f32_e32 v26, v26
	v_cvt_i32_f32_e32 v42, v42
	v_cvt_i32_f32_e32 v44, v44
	v_cndmask_b32_e32 v19, 0, v19, vcc_lo
	v_cmp_ngt_f32_e32 vcc_lo, 0xc2ce8ed0, v14
	v_add_f32_e32 v27, v27, v43
	v_cvt_i32_f32_e32 v46, v46
	v_ldexp_f32 v26, v26, v42
	v_cvt_i32_f32_e32 v48, v48
	v_cndmask_b32_e32 v21, 0, v21, vcc_lo
	v_exp_f32_e32 v27, v27
	v_cmp_ngt_f32_e32 vcc_lo, 0xc2ce8ed0, v15
	v_dual_add_f32 v29, v29, v47 :: v_dual_cndmask_b32 v26, 0, v26
	s_delay_alu instid0(TRANS32_DEP_1) | instskip(SKIP_1) | instid1(VALU_DEP_3)
	v_ldexp_f32 v27, v27, v44
	v_cmp_ngt_f32_e32 vcc_lo, 0xc2ce8ed0, v16
	v_exp_f32_e32 v29, v29
	s_delay_alu instid0(VALU_DEP_2) | instskip(SKIP_2) | instid1(TRANS32_DEP_1)
	v_cndmask_b32_e32 v27, 0, v27, vcc_lo
	v_cmp_ngt_f32_e32 vcc_lo, 0xc2ce8ed0, v18
	v_fmac_f32_e32 v45, 0x32a5705f, v18
	v_ldexp_f32 v29, v29, v48
	s_delay_alu instid0(VALU_DEP_2) | instskip(NEXT) | instid1(VALU_DEP_1)
	v_add_f32_e32 v28, v28, v45
	v_exp_f32_e32 v28, v28
	v_nop
	s_delay_alu instid0(TRANS32_DEP_1) | instskip(NEXT) | instid1(VALU_DEP_1)
	v_ldexp_f32 v28, v28, v46
	v_cndmask_b32_e32 v28, 0, v28, vcc_lo
	v_cmp_ngt_f32_e32 vcc_lo, 0xc2ce8ed0, v17
	v_cndmask_b32_e32 v29, 0, v29, vcc_lo
	v_cmp_nlt_f32_e32 vcc_lo, 0x42b17218, v0
	v_cndmask_b32_e32 v0, 0x7f800000, v2, vcc_lo
	v_cmp_nlt_f32_e32 vcc_lo, 0x42b17218, v8
	s_delay_alu instid0(VALU_DEP_2) | instskip(SKIP_2) | instid1(VALU_DEP_3)
	v_cvt_f16_f32_e32 v8, v0
	v_cndmask_b32_e32 v2, 0x7f800000, v3, vcc_lo
	v_cmp_nlt_f32_e32 vcc_lo, 0x42b17218, v1
	v_and_b32_e32 v8, 0xffff, v8
	v_cndmask_b32_e32 v1, 0x7f800000, v19, vcc_lo
	v_cmp_nlt_f32_e32 vcc_lo, 0x42b17218, v14
	v_cndmask_b32_e32 v3, 0x7f800000, v21, vcc_lo
	v_cmp_nlt_f32_e32 vcc_lo, 0x42b17218, v15
	s_delay_alu instid0(VALU_DEP_2) | instskip(SKIP_3) | instid1(VALU_DEP_3)
	v_pk_fma_f32 v[6:7], v[6:7], v[0:1], v[2:3]
	v_cndmask_b32_e32 v14, 0x7f800000, v26, vcc_lo
	v_cmp_nlt_f32_e32 vcc_lo, 0x42b17218, v16
	v_mul_u32_u24_e32 v3, 0x10001, v8
	v_cvt_f16_f32_e32 v19, v14
	v_cndmask_b32_e32 v16, 0x7f800000, v27, vcc_lo
	v_cmp_nlt_f32_e32 vcc_lo, 0x42b17218, v18
	v_cvt_f16_f32_e32 v18, v1
	v_pk_mul_f16 v57, v57, v3
	v_and_b32_e32 v1, 0xffff, v19
	v_pk_mul_f16 v13, v13, v3
	v_cndmask_b32_e32 v15, 0x7f800000, v28, vcc_lo
	v_and_b32_e32 v0, 0xffff, v18
	v_cmp_nlt_f32_e32 vcc_lo, 0x42b17218, v17
	v_mul_u32_u24_e32 v1, 0x10001, v1
	s_delay_alu instid0(VALU_DEP_4) | instskip(NEXT) | instid1(VALU_DEP_4)
	v_cvt_f16_f32_e32 v21, v15
	v_mul_u32_u24_e32 v0, 0x10001, v0
	v_cndmask_b32_e32 v17, 0x7f800000, v29, vcc_lo
	s_delay_alu instid0(VALU_DEP_4)
	v_pk_mul_f16 v55, v55, v1
	v_pk_mul_f16 v11, v11, v1
	v_and_b32_e32 v2, 0xffff, v21
	v_pk_mul_f16 v56, v56, v0
	v_pk_mul_f16 v12, v12, v0
	v_pk_fma_f32 v[4:5], v[4:5], v[14:15], v[16:17]
	s_delay_alu instid0(VALU_DEP_4) | instskip(NEXT) | instid1(VALU_DEP_1)
	v_mul_u32_u24_e32 v2, 0x10001, v2
	v_pk_mul_f16 v9, v9, v2
	v_pk_mul_f16 v10, v10, v2
	v_mov_b64_e32 v[0:1], v[22:23]
	v_mov_b64_e32 v[2:3], v[24:25]
.LBB5_20:
	s_mov_b32 s3, exec_lo
	v_cmpx_gt_i32_e64 s22, v38
	s_cbranch_execz .LBB5_39
; %bb.21:
	s_load_b32 s0, s[0:1], 0xd4
	v_mov_b32_e32 v8, 1.0
	s_wait_kmcnt 0x0
	s_cmp_lg_u32 s0, 1
	s_cselect_b32 s1, -1, 0
	s_cmp_eq_u32 s0, 1
	s_cselect_b32 s3, -1, 0
	s_and_b32 vcc_lo, exec_lo, s1
	s_cbranch_vccnz .LBB5_23
; %bb.22:
	v_div_scale_f32 v8, null, v6, v6, 1.0
	s_delay_alu instid0(VALU_DEP_1) | instskip(SKIP_1) | instid1(TRANS32_DEP_1)
	v_rcp_f32_e32 v14, v8
	v_nop
	v_fma_f32 v15, -v8, v14, 1.0
	s_delay_alu instid0(VALU_DEP_1) | instskip(SKIP_1) | instid1(VALU_DEP_1)
	v_fmac_f32_e32 v14, v15, v14
	v_div_scale_f32 v15, vcc_lo, 1.0, v6, 1.0
	v_mul_f32_e32 v16, v15, v14
	s_delay_alu instid0(VALU_DEP_1) | instskip(NEXT) | instid1(VALU_DEP_1)
	v_fma_f32 v17, -v8, v16, v15
	v_fmac_f32_e32 v16, v17, v14
	s_delay_alu instid0(VALU_DEP_1) | instskip(NEXT) | instid1(VALU_DEP_1)
	v_fma_f32 v8, -v8, v16, v15
	v_div_fmas_f32 v8, v8, v14, v16
	s_delay_alu instid0(VALU_DEP_1)
	v_div_fixup_f32 v8, v8, v6, 1.0
.LBB5_23:
	v_mad_u32 v14, s28, s22, v38
	v_add_nc_u32_e32 v15, s31, v20
	s_delay_alu instid0(VALU_DEP_1) | instskip(NEXT) | instid1(VALU_DEP_1)
	v_mad_u32 v14, v14, s23, v15
	v_mul_lo_u32 v14, s0, v14
	s_delay_alu instid0(VALU_DEP_1)
	v_add_nc_u32_e32 v15, s33, v14
	s_and_saveexec_b32 s4, s2
	s_cbranch_execz .LBB5_25
; %bb.24:
	s_delay_alu instid0(VALU_DEP_1) | instskip(SKIP_4) | instid1(VALU_DEP_4)
	v_mad_u32 v18, 0x48, v15, v36
	v_dual_lshrrev_b32 v17, 16, v57 :: v_dual_mov_b32 v19, 0
	v_lshrrev_b32_e32 v21, 16, v13
	v_cvt_f32_f16_e32 v16, v57
	v_cvt_f32_f16_e32 v20, v13
	;; [unrolled: 1-line block ×3, first 2 shown]
	s_delay_alu instid0(VALU_DEP_4) | instskip(NEXT) | instid1(VALU_DEP_2)
	v_cvt_f32_f16_e32 v21, v21
	v_pk_mul_f32 v[16:17], v[8:9], v[16:17] op_sel_hi:[0,1]
	v_lshl_add_u64 v[22:23], v[18:19], 2, s[16:17]
	s_delay_alu instid0(VALU_DEP_3)
	v_pk_mul_f32 v[18:19], v[8:9], v[20:21] op_sel_hi:[0,1]
	global_store_b128 v[22:23], v[16:19], off
.LBB5_25:
	s_wait_xcnt 0x0
	s_or_b32 exec_lo, exec_lo, s4
	v_cmp_eq_u32_e32 vcc_lo, 0, v37
	s_and_b32 s1, vcc_lo, s1
	s_delay_alu instid0(SALU_CYCLE_1)
	s_and_saveexec_b32 s4, s1
	s_cbranch_execz .LBB5_27
; %bb.26:
	v_dual_mov_b32 v16, v0 :: v_dual_mov_b32 v17, v6
	global_store_b64 v15, v[16:17], s[18:19] scale_offset
.LBB5_27:
	s_wait_xcnt 0x0
	s_or_b32 exec_lo, exec_lo, s4
	v_cndmask_b32_e64 v8, 0, 1, s3
	v_mov_b32_e32 v0, 1.0
	s_and_not1_b32 vcc_lo, exec_lo, s3
	s_cbranch_vccz .LBB5_40
; %bb.28:
	v_add_nc_u32_e32 v13, s0, v14
	s_delay_alu instid0(VALU_DEP_1)
	v_add_nc_u32_e32 v14, s33, v13
	s_and_saveexec_b32 s3, s2
	s_cbranch_execnz .LBB5_41
.LBB5_29:
	s_or_b32 exec_lo, exec_lo, s3
	s_and_saveexec_b32 s3, s1
	s_cbranch_execz .LBB5_31
.LBB5_30:
	v_mov_b32_e32 v6, v1
	global_store_b64 v14, v[6:7], s[18:19] scale_offset
.LBB5_31:
	s_wait_xcnt 0x0
	s_or_b32 exec_lo, exec_lo, s3
	v_cmp_ne_u32_e32 vcc_lo, 1, v8
	v_mov_b32_e32 v0, 1.0
	s_cbranch_vccz .LBB5_42
; %bb.32:
	v_add_nc_u32_e32 v1, s0, v13
	s_delay_alu instid0(VALU_DEP_1)
	v_add_nc_u32_e32 v6, s33, v1
	s_and_saveexec_b32 s3, s2
	s_cbranch_execnz .LBB5_43
.LBB5_33:
	s_or_b32 exec_lo, exec_lo, s3
	s_and_saveexec_b32 s3, s1
	s_cbranch_execz .LBB5_35
.LBB5_34:
	v_dual_mov_b32 v12, v2 :: v_dual_mov_b32 v13, v4
	global_store_b64 v6, v[12:13], s[18:19] scale_offset
.LBB5_35:
	s_wait_xcnt 0x0
	s_or_b32 exec_lo, exec_lo, s3
	v_cmp_ne_u32_e32 vcc_lo, 1, v8
	v_mov_b32_e32 v0, 1.0
	s_cbranch_vccz .LBB5_44
; %bb.36:
	v_add3_u32 v1, s33, s0, v1
	s_and_saveexec_b32 s0, s2
	s_cbranch_execnz .LBB5_45
.LBB5_37:
	s_or_b32 exec_lo, exec_lo, s0
	s_delay_alu instid0(SALU_CYCLE_1)
	s_and_b32 exec_lo, exec_lo, s1
	s_cbranch_execz .LBB5_39
.LBB5_38:
	v_mov_b32_e32 v4, v3
	global_store_b64 v1, v[4:5], s[18:19] scale_offset
.LBB5_39:
	s_sendmsg sendmsg(MSG_DEALLOC_VGPRS)
	s_endpgm
.LBB5_40:
	v_div_scale_f32 v0, null, v7, v7, 1.0
	s_delay_alu instid0(VALU_DEP_1) | instskip(SKIP_1) | instid1(TRANS32_DEP_1)
	v_rcp_f32_e32 v6, v0
	v_nop
	v_fma_f32 v13, -v0, v6, 1.0
	s_delay_alu instid0(VALU_DEP_1) | instskip(SKIP_1) | instid1(VALU_DEP_1)
	v_fmac_f32_e32 v6, v13, v6
	v_div_scale_f32 v13, vcc_lo, 1.0, v7, 1.0
	v_mul_f32_e32 v15, v13, v6
	s_delay_alu instid0(VALU_DEP_1) | instskip(NEXT) | instid1(VALU_DEP_1)
	v_fma_f32 v16, -v0, v15, v13
	v_fmac_f32_e32 v15, v16, v6
	s_delay_alu instid0(VALU_DEP_1) | instskip(NEXT) | instid1(VALU_DEP_1)
	v_fma_f32 v0, -v0, v15, v13
	v_div_fmas_f32 v0, v0, v6, v15
	s_delay_alu instid0(VALU_DEP_1) | instskip(SKIP_1) | instid1(VALU_DEP_1)
	v_div_fixup_f32 v0, v0, v7, 1.0
	v_add_nc_u32_e32 v13, s0, v14
	v_add_nc_u32_e32 v14, s33, v13
	s_and_saveexec_b32 s3, s2
	s_cbranch_execz .LBB5_29
.LBB5_41:
	s_delay_alu instid0(VALU_DEP_1) | instskip(SKIP_4) | instid1(VALU_DEP_4)
	v_mad_u32 v18, 0x48, v14, v36
	v_dual_mov_b32 v19, 0 :: v_dual_lshrrev_b32 v6, 16, v56
	v_lshrrev_b32_e32 v15, 16, v12
	v_cvt_f32_f16_e32 v16, v56
	v_cvt_f32_f16_e32 v20, v12
	;; [unrolled: 1-line block ×3, first 2 shown]
	s_delay_alu instid0(VALU_DEP_4) | instskip(NEXT) | instid1(VALU_DEP_2)
	v_cvt_f32_f16_e32 v21, v15
	v_pk_mul_f32 v[16:17], v[0:1], v[16:17] op_sel_hi:[0,1]
	v_lshl_add_u64 v[22:23], v[18:19], 2, s[16:17]
	s_delay_alu instid0(VALU_DEP_3)
	v_pk_mul_f32 v[18:19], v[0:1], v[20:21] op_sel_hi:[0,1]
	global_store_b128 v[22:23], v[16:19], off
	s_wait_xcnt 0x0
	s_or_b32 exec_lo, exec_lo, s3
	s_and_saveexec_b32 s3, s1
	s_cbranch_execnz .LBB5_30
	s_branch .LBB5_31
.LBB5_42:
	v_div_scale_f32 v0, null, v4, v4, 1.0
	s_delay_alu instid0(VALU_DEP_1) | instskip(SKIP_1) | instid1(TRANS32_DEP_1)
	v_rcp_f32_e32 v1, v0
	v_nop
	v_fma_f32 v6, -v0, v1, 1.0
	s_delay_alu instid0(VALU_DEP_1) | instskip(SKIP_1) | instid1(VALU_DEP_1)
	v_fmac_f32_e32 v1, v6, v1
	v_div_scale_f32 v6, vcc_lo, 1.0, v4, 1.0
	v_mul_f32_e32 v7, v6, v1
	s_delay_alu instid0(VALU_DEP_1) | instskip(NEXT) | instid1(VALU_DEP_1)
	v_fma_f32 v12, -v0, v7, v6
	v_fmac_f32_e32 v7, v12, v1
	s_delay_alu instid0(VALU_DEP_1) | instskip(NEXT) | instid1(VALU_DEP_1)
	v_fma_f32 v0, -v0, v7, v6
	v_div_fmas_f32 v0, v0, v1, v7
	s_delay_alu instid0(VALU_DEP_1) | instskip(SKIP_1) | instid1(VALU_DEP_1)
	v_div_fixup_f32 v0, v0, v4, 1.0
	v_add_nc_u32_e32 v1, s0, v13
	v_add_nc_u32_e32 v6, s33, v1
	s_and_saveexec_b32 s3, s2
	s_cbranch_execz .LBB5_33
.LBB5_43:
	s_delay_alu instid0(VALU_DEP_1) | instskip(SKIP_4) | instid1(VALU_DEP_4)
	v_mad_u32 v14, 0x48, v6, v36
	v_dual_lshrrev_b32 v7, 16, v55 :: v_dual_mov_b32 v15, 0
	v_lshrrev_b32_e32 v17, 16, v11
	v_cvt_f32_f16_e32 v12, v55
	v_cvt_f32_f16_e32 v16, v11
	;; [unrolled: 1-line block ×3, first 2 shown]
	s_delay_alu instid0(VALU_DEP_4) | instskip(NEXT) | instid1(VALU_DEP_2)
	v_cvt_f32_f16_e32 v17, v17
	v_pk_mul_f32 v[12:13], v[0:1], v[12:13] op_sel_hi:[0,1]
	v_lshl_add_u64 v[18:19], v[14:15], 2, s[16:17]
	s_delay_alu instid0(VALU_DEP_3)
	v_pk_mul_f32 v[14:15], v[0:1], v[16:17] op_sel_hi:[0,1]
	global_store_b128 v[18:19], v[12:15], off
	s_wait_xcnt 0x0
	s_or_b32 exec_lo, exec_lo, s3
	s_and_saveexec_b32 s3, s1
	s_cbranch_execnz .LBB5_34
	s_branch .LBB5_35
.LBB5_44:
	v_div_scale_f32 v0, null, v5, v5, 1.0
	s_delay_alu instid0(VALU_DEP_1) | instskip(SKIP_1) | instid1(TRANS32_DEP_1)
	v_rcp_f32_e32 v2, v0
	v_nop
	v_fma_f32 v4, -v0, v2, 1.0
	s_delay_alu instid0(VALU_DEP_1) | instskip(SKIP_1) | instid1(VALU_DEP_1)
	v_fmac_f32_e32 v2, v4, v2
	v_div_scale_f32 v4, vcc_lo, 1.0, v5, 1.0
	v_mul_f32_e32 v6, v4, v2
	s_delay_alu instid0(VALU_DEP_1) | instskip(NEXT) | instid1(VALU_DEP_1)
	v_fma_f32 v7, -v0, v6, v4
	v_fmac_f32_e32 v6, v7, v2
	s_delay_alu instid0(VALU_DEP_1) | instskip(NEXT) | instid1(VALU_DEP_1)
	v_fma_f32 v0, -v0, v6, v4
	v_div_fmas_f32 v0, v0, v2, v6
	s_delay_alu instid0(VALU_DEP_1)
	v_div_fixup_f32 v0, v0, v5, 1.0
	v_add3_u32 v1, s33, s0, v1
	s_and_saveexec_b32 s0, s2
	s_cbranch_execz .LBB5_37
.LBB5_45:
	s_delay_alu instid0(VALU_DEP_1) | instskip(SKIP_4) | instid1(VALU_DEP_4)
	v_mad_u32 v12, 0x48, v1, v36
	v_dual_lshrrev_b32 v2, 16, v9 :: v_dual_lshrrev_b32 v4, 16, v10
	v_mov_b32_e32 v13, 0
	v_cvt_f32_f16_e32 v6, v9
	v_cvt_f32_f16_e32 v8, v10
	;; [unrolled: 1-line block ×4, first 2 shown]
	s_delay_alu instid0(VALU_DEP_2) | instskip(SKIP_1) | instid1(VALU_DEP_3)
	v_pk_mul_f32 v[6:7], v[0:1], v[6:7] op_sel_hi:[0,1]
	v_lshl_add_u64 v[10:11], v[12:13], 2, s[16:17]
	v_pk_mul_f32 v[8:9], v[0:1], v[8:9] op_sel_hi:[0,1]
	global_store_b128 v[10:11], v[6:9], off
	s_wait_xcnt 0x0
	s_or_b32 exec_lo, exec_lo, s0
	s_delay_alu instid0(SALU_CYCLE_1)
	s_and_b32 exec_lo, exec_lo, s1
	s_cbranch_execnz .LBB5_38
	s_branch .LBB5_39
	.section	.rodata,"a",@progbits
	.p2align	6, 0x0
	.amdhsa_kernel _ZL15flash_attn_tileILi72ELi72ELi4ELi8ELb0EEvPKcS1_S1_S1_S1_PKiPfP15HIP_vector_typeIfLj2EEffffjfiS5_IjLj3EEiiiiiiiiiiiliiliiiiil
		.amdhsa_group_segment_fixed_size 12000
		.amdhsa_private_segment_fixed_size 0
		.amdhsa_kernarg_size 464
		.amdhsa_user_sgpr_count 2
		.amdhsa_user_sgpr_dispatch_ptr 0
		.amdhsa_user_sgpr_queue_ptr 0
		.amdhsa_user_sgpr_kernarg_segment_ptr 1
		.amdhsa_user_sgpr_dispatch_id 0
		.amdhsa_user_sgpr_kernarg_preload_length 0
		.amdhsa_user_sgpr_kernarg_preload_offset 0
		.amdhsa_user_sgpr_private_segment_size 0
		.amdhsa_wavefront_size32 1
		.amdhsa_uses_dynamic_stack 0
		.amdhsa_enable_private_segment 0
		.amdhsa_system_sgpr_workgroup_id_x 1
		.amdhsa_system_sgpr_workgroup_id_y 1
		.amdhsa_system_sgpr_workgroup_id_z 1
		.amdhsa_system_sgpr_workgroup_info 0
		.amdhsa_system_vgpr_workitem_id 1
		.amdhsa_next_free_vgpr 148
		.amdhsa_next_free_sgpr 42
		.amdhsa_named_barrier_count 0
		.amdhsa_reserve_vcc 1
		.amdhsa_float_round_mode_32 0
		.amdhsa_float_round_mode_16_64 0
		.amdhsa_float_denorm_mode_32 3
		.amdhsa_float_denorm_mode_16_64 3
		.amdhsa_fp16_overflow 0
		.amdhsa_memory_ordered 1
		.amdhsa_forward_progress 1
		.amdhsa_inst_pref_size 93
		.amdhsa_round_robin_scheduling 0
		.amdhsa_exception_fp_ieee_invalid_op 0
		.amdhsa_exception_fp_denorm_src 0
		.amdhsa_exception_fp_ieee_div_zero 0
		.amdhsa_exception_fp_ieee_overflow 0
		.amdhsa_exception_fp_ieee_underflow 0
		.amdhsa_exception_fp_ieee_inexact 0
		.amdhsa_exception_int_div_zero 0
	.end_amdhsa_kernel
	.section	.text._ZL15flash_attn_tileILi72ELi72ELi4ELi8ELb0EEvPKcS1_S1_S1_S1_PKiPfP15HIP_vector_typeIfLj2EEffffjfiS5_IjLj3EEiiiiiiiiiiiliiliiiiil,"axG",@progbits,_ZL15flash_attn_tileILi72ELi72ELi4ELi8ELb0EEvPKcS1_S1_S1_S1_PKiPfP15HIP_vector_typeIfLj2EEffffjfiS5_IjLj3EEiiiiiiiiiiiliiliiiiil,comdat
.Lfunc_end5:
	.size	_ZL15flash_attn_tileILi72ELi72ELi4ELi8ELb0EEvPKcS1_S1_S1_S1_PKiPfP15HIP_vector_typeIfLj2EEffffjfiS5_IjLj3EEiiiiiiiiiiiliiliiiiil, .Lfunc_end5-_ZL15flash_attn_tileILi72ELi72ELi4ELi8ELb0EEvPKcS1_S1_S1_S1_PKiPfP15HIP_vector_typeIfLj2EEffffjfiS5_IjLj3EEiiiiiiiiiiiliiliiiiil
                                        ; -- End function
	.set _ZL15flash_attn_tileILi72ELi72ELi4ELi8ELb0EEvPKcS1_S1_S1_S1_PKiPfP15HIP_vector_typeIfLj2EEffffjfiS5_IjLj3EEiiiiiiiiiiiliiliiiiil.num_vgpr, 148
	.set _ZL15flash_attn_tileILi72ELi72ELi4ELi8ELb0EEvPKcS1_S1_S1_S1_PKiPfP15HIP_vector_typeIfLj2EEffffjfiS5_IjLj3EEiiiiiiiiiiiliiliiiiil.num_agpr, 0
	.set _ZL15flash_attn_tileILi72ELi72ELi4ELi8ELb0EEvPKcS1_S1_S1_S1_PKiPfP15HIP_vector_typeIfLj2EEffffjfiS5_IjLj3EEiiiiiiiiiiiliiliiiiil.numbered_sgpr, 42
	.set _ZL15flash_attn_tileILi72ELi72ELi4ELi8ELb0EEvPKcS1_S1_S1_S1_PKiPfP15HIP_vector_typeIfLj2EEffffjfiS5_IjLj3EEiiiiiiiiiiiliiliiiiil.num_named_barrier, 0
	.set _ZL15flash_attn_tileILi72ELi72ELi4ELi8ELb0EEvPKcS1_S1_S1_S1_PKiPfP15HIP_vector_typeIfLj2EEffffjfiS5_IjLj3EEiiiiiiiiiiiliiliiiiil.private_seg_size, 0
	.set _ZL15flash_attn_tileILi72ELi72ELi4ELi8ELb0EEvPKcS1_S1_S1_S1_PKiPfP15HIP_vector_typeIfLj2EEffffjfiS5_IjLj3EEiiiiiiiiiiiliiliiiiil.uses_vcc, 1
	.set _ZL15flash_attn_tileILi72ELi72ELi4ELi8ELb0EEvPKcS1_S1_S1_S1_PKiPfP15HIP_vector_typeIfLj2EEffffjfiS5_IjLj3EEiiiiiiiiiiiliiliiiiil.uses_flat_scratch, 0
	.set _ZL15flash_attn_tileILi72ELi72ELi4ELi8ELb0EEvPKcS1_S1_S1_S1_PKiPfP15HIP_vector_typeIfLj2EEffffjfiS5_IjLj3EEiiiiiiiiiiiliiliiiiil.has_dyn_sized_stack, 0
	.set _ZL15flash_attn_tileILi72ELi72ELi4ELi8ELb0EEvPKcS1_S1_S1_S1_PKiPfP15HIP_vector_typeIfLj2EEffffjfiS5_IjLj3EEiiiiiiiiiiiliiliiiiil.has_recursion, 0
	.set _ZL15flash_attn_tileILi72ELi72ELi4ELi8ELb0EEvPKcS1_S1_S1_S1_PKiPfP15HIP_vector_typeIfLj2EEffffjfiS5_IjLj3EEiiiiiiiiiiiliiliiiiil.has_indirect_call, 0
	.section	.AMDGPU.csdata,"",@progbits
; Kernel info:
; codeLenInByte = 11792
; TotalNumSgprs: 44
; NumVgprs: 148
; ScratchSize: 0
; MemoryBound: 0
; FloatMode: 240
; IeeeMode: 1
; LDSByteSize: 12000 bytes/workgroup (compile time only)
; SGPRBlocks: 0
; VGPRBlocks: 9
; NumSGPRsForWavesPerEU: 44
; NumVGPRsForWavesPerEU: 148
; NamedBarCnt: 0
; Occupancy: 6
; WaveLimiterHint : 1
; COMPUTE_PGM_RSRC2:SCRATCH_EN: 0
; COMPUTE_PGM_RSRC2:USER_SGPR: 2
; COMPUTE_PGM_RSRC2:TRAP_HANDLER: 0
; COMPUTE_PGM_RSRC2:TGID_X_EN: 1
; COMPUTE_PGM_RSRC2:TGID_Y_EN: 1
; COMPUTE_PGM_RSRC2:TGID_Z_EN: 1
; COMPUTE_PGM_RSRC2:TIDIG_COMP_CNT: 1
	.section	.text._ZL25flash_attn_mask_to_KV_maxILi4EEvPK7__half2Piiii,"axG",@progbits,_ZL25flash_attn_mask_to_KV_maxILi4EEvPK7__half2Piiii,comdat
	.globl	_ZL25flash_attn_mask_to_KV_maxILi4EEvPK7__half2Piiii ; -- Begin function _ZL25flash_attn_mask_to_KV_maxILi4EEvPK7__half2Piiii
	.p2align	8
	.type	_ZL25flash_attn_mask_to_KV_maxILi4EEvPK7__half2Piiii,@function
_ZL25flash_attn_mask_to_KV_maxILi4EEvPK7__half2Piiii: ; @_ZL25flash_attn_mask_to_KV_maxILi4EEvPK7__half2Piiii
; %bb.0:
	s_load_b128 s[4:7], s[0:1], 0x0
	s_mov_b32 s2, exec_lo
	v_cmpx_gt_u32_e32 32, v0
; %bb.1:
	v_dual_mov_b32 v2, 1 :: v_dual_lshlrev_b32 v1, 2, v0
	ds_store_b32 v1, v2
; %bb.2:
	s_or_b32 exec_lo, exec_lo, s2
	s_clause 0x1
	s_load_b96 s[8:10], s[0:1], 0x10
	s_load_b32 s11, s[0:1], 0x20
	s_wait_xcnt 0x0
	s_bfe_u32 s1, ttmp6, 0x4000c
	s_bfe_u32 s2, ttmp6, 0x40010
	s_add_co_i32 s1, s1, 1
	s_add_co_i32 s2, s2, 1
	s_and_b32 s0, ttmp6, 15
	s_bfe_u32 s3, ttmp6, 0x40004
	s_mul_i32 s1, ttmp9, s1
	s_mul_i32 s2, ttmp7, s2
	s_getreg_b32 s12, hwreg(HW_REG_IB_STS2, 6, 4)
	s_add_co_i32 s0, s0, s1
	s_add_co_i32 s3, s3, s2
	s_cmp_eq_u32 s12, 0
	v_dual_lshrrev_b32 v1, 3, v0 :: v_dual_bitop2_b32 v2, 31, v0 bitop3:0x40
	s_cselect_b32 s1, ttmp9, s0
	s_cselect_b32 s12, ttmp7, s3
	s_wait_dscnt 0x0
	s_barrier_signal -1
	s_wait_kmcnt 0x0
	s_mul_i32 s0, s1, s9
	s_mul_i32 s2, s10, s12
	s_lshl_b32 s0, s0, 2
	s_barrier_wait -1
	s_add_co_i32 s2, s2, s0
	v_cmp_eq_u32_e64 s0, 0, v2
	s_ashr_i32 s3, s2, 31
	v_lshlrev_b32_e32 v2, 2, v2
	s_lshl_b64 s[2:3], s[2:3], 2
	s_delay_alu instid0(SALU_CYCLE_1)
	s_add_nc_u64 s[2:3], s[4:5], s[2:3]
	s_lshl_b32 s5, s8, 8
	s_branch .LBB6_4
.LBB6_3:                                ;   in Loop: Header=BB6_4 Depth=1
	s_or_b32 exec_lo, exec_lo, s8
	s_wait_dscnt 0x0
	s_barrier_signal -1
	s_barrier_wait -1
	ds_load_b32 v3, v2
	s_wait_dscnt 0x0
	s_barrier_signal -1
	s_barrier_wait -1
	v_cmp_ne_u32_e32 vcc_lo, 0, v3
	s_cmp_lg_u32 vcc_lo, exec_lo
	s_cselect_b32 s8, -1, 0
	s_delay_alu instid0(SALU_CYCLE_1)
	s_and_b32 vcc_lo, exec_lo, s8
	s_cbranch_vccnz .LBB6_20
.LBB6_4:                                ; =>This Inner Loop Header: Depth=1
	s_mov_b32 s4, s5
	s_addk_co_i32 s5, 0xff00
	s_delay_alu instid0(SALU_CYCLE_1)
	s_cmp_lt_i32 s5, 0
	s_cbranch_scc1 .LBB6_19
; %bb.5:                                ;   in Loop: Header=BB6_4 Depth=1
	s_lshr_b32 s8, s5, 1
	s_delay_alu instid0(SALU_CYCLE_1) | instskip(SKIP_4) | instid1(VALU_DEP_2)
	v_add_nc_u32_e32 v3, s8, v0
	global_load_b32 v4, v3, s[2:3] scale_offset
	s_wait_loadcnt 0x0
	v_lshrrev_b32_e32 v5, 16, v4
	v_cmp_class_f16_e64 s8, v4, 0x204
	v_cmp_class_f16_e64 s10, v5, 0x204
	s_and_b32 s13, s8, s10
	s_mov_b32 s10, 0
	s_and_saveexec_b32 s8, s13
	s_cbranch_execz .LBB6_17
; %bb.6:                                ;   in Loop: Header=BB6_4 Depth=1
	v_add_nc_u32_e32 v3, s9, v3
	s_mov_b32 s13, 0
	global_load_b32 v4, v3, s[2:3] scale_offset
	s_wait_loadcnt 0x0
	v_cmp_class_f16_e64 s14, v4, 0x204
	s_and_saveexec_b32 s10, s14
	s_cbranch_execz .LBB6_16
; %bb.7:                                ;   in Loop: Header=BB6_4 Depth=1
	v_lshrrev_b32_e32 v4, 16, v4
	s_mov_b32 s14, 0
	s_delay_alu instid0(VALU_DEP_1)
	v_cmp_class_f16_e64 s15, v4, 0x204
	s_and_saveexec_b32 s13, s15
	s_cbranch_execz .LBB6_15
; %bb.8:                                ;   in Loop: Header=BB6_4 Depth=1
	v_add_nc_u32_e32 v3, s9, v3
	s_mov_b32 s15, 0
	global_load_b32 v4, v3, s[2:3] scale_offset
	s_wait_loadcnt 0x0
	v_cmp_class_f16_e64 s16, v4, 0x204
	s_and_saveexec_b32 s14, s16
	s_cbranch_execz .LBB6_14
; %bb.9:                                ;   in Loop: Header=BB6_4 Depth=1
	v_lshrrev_b32_e32 v4, 16, v4
	s_mov_b32 s16, 0
	s_delay_alu instid0(VALU_DEP_1)
	v_cmp_class_f16_e64 s17, v4, 0x204
	s_and_saveexec_b32 s15, s17
	s_cbranch_execz .LBB6_13
; %bb.10:                               ;   in Loop: Header=BB6_4 Depth=1
	v_add_nc_u32_e32 v3, s9, v3
	global_load_b32 v3, v3, s[2:3] scale_offset
	s_wait_loadcnt 0x0
	v_cmp_class_f16_e64 s18, v3, 0x204
	s_and_saveexec_b32 s17, s18
; %bb.11:                               ;   in Loop: Header=BB6_4 Depth=1
	v_lshrrev_b32_e32 v3, 16, v3
	s_delay_alu instid0(VALU_DEP_1)
	v_cmp_class_f16_e64 s16, v3, 0x204
	s_and_b32 s16, s16, exec_lo
; %bb.12:                               ;   in Loop: Header=BB6_4 Depth=1
	s_or_b32 exec_lo, exec_lo, s17
	s_delay_alu instid0(SALU_CYCLE_1)
	s_and_b32 s16, s16, exec_lo
.LBB6_13:                               ;   in Loop: Header=BB6_4 Depth=1
	s_or_b32 exec_lo, exec_lo, s15
	s_delay_alu instid0(SALU_CYCLE_1)
	s_and_b32 s15, s16, exec_lo
.LBB6_14:                               ;   in Loop: Header=BB6_4 Depth=1
	s_or_b32 exec_lo, exec_lo, s14
	s_delay_alu instid0(SALU_CYCLE_1)
	s_and_b32 s14, s15, exec_lo
.LBB6_15:                               ;   in Loop: Header=BB6_4 Depth=1
	s_or_b32 exec_lo, exec_lo, s13
	s_delay_alu instid0(SALU_CYCLE_1)
	s_and_b32 s13, s14, exec_lo
.LBB6_16:                               ;   in Loop: Header=BB6_4 Depth=1
	s_or_b32 exec_lo, exec_lo, s10
	s_delay_alu instid0(SALU_CYCLE_1)
	s_and_b32 s10, s13, exec_lo
.LBB6_17:                               ;   in Loop: Header=BB6_4 Depth=1
	s_or_b32 exec_lo, exec_lo, s8
	v_cndmask_b32_e64 v3, 0, 1, s10
	s_mov_b32 s13, exec_lo
	s_delay_alu instid0(VALU_DEP_1)
	v_cmp_ne_u32_e32 vcc_lo, 0, v3
	s_and_saveexec_b32 s8, s0
	s_cbranch_execz .LBB6_3
; %bb.18:                               ;   in Loop: Header=BB6_4 Depth=1
	s_cmp_eq_u32 vcc_lo, s13
	s_cselect_b32 s10, -1, 0
	s_delay_alu instid0(SALU_CYCLE_1)
	v_cndmask_b32_e64 v3, 0, 1, s10
	ds_store_b32 v1, v3
	s_branch .LBB6_3
.LBB6_19:                               ;   in Loop: Header=BB6_4 Depth=1
	s_cbranch_execz .LBB6_4
.LBB6_20:
	s_mov_b32 s0, exec_lo
	v_cmpx_eq_u32_e32 0, v0
	s_cbranch_execz .LBB6_22
; %bb.21:
	s_mul_i32 s0, s11, s12
	v_mov_b32_e32 v1, s4
	s_add_co_i32 s0, s0, s1
	s_delay_alu instid0(SALU_CYCLE_1)
	v_mov_b32_e32 v0, s0
	global_store_b32 v0, v1, s[6:7] scale_offset
.LBB6_22:
	s_endpgm
	.section	.rodata,"a",@progbits
	.p2align	6, 0x0
	.amdhsa_kernel _ZL25flash_attn_mask_to_KV_maxILi4EEvPK7__half2Piiii
		.amdhsa_group_segment_fixed_size 128
		.amdhsa_private_segment_fixed_size 0
		.amdhsa_kernarg_size 288
		.amdhsa_user_sgpr_count 2
		.amdhsa_user_sgpr_dispatch_ptr 0
		.amdhsa_user_sgpr_queue_ptr 0
		.amdhsa_user_sgpr_kernarg_segment_ptr 1
		.amdhsa_user_sgpr_dispatch_id 0
		.amdhsa_user_sgpr_kernarg_preload_length 0
		.amdhsa_user_sgpr_kernarg_preload_offset 0
		.amdhsa_user_sgpr_private_segment_size 0
		.amdhsa_wavefront_size32 1
		.amdhsa_uses_dynamic_stack 0
		.amdhsa_enable_private_segment 0
		.amdhsa_system_sgpr_workgroup_id_x 1
		.amdhsa_system_sgpr_workgroup_id_y 1
		.amdhsa_system_sgpr_workgroup_id_z 0
		.amdhsa_system_sgpr_workgroup_info 0
		.amdhsa_system_vgpr_workitem_id 0
		.amdhsa_next_free_vgpr 6
		.amdhsa_next_free_sgpr 19
		.amdhsa_named_barrier_count 0
		.amdhsa_reserve_vcc 1
		.amdhsa_float_round_mode_32 0
		.amdhsa_float_round_mode_16_64 0
		.amdhsa_float_denorm_mode_32 3
		.amdhsa_float_denorm_mode_16_64 3
		.amdhsa_fp16_overflow 0
		.amdhsa_memory_ordered 1
		.amdhsa_forward_progress 1
		.amdhsa_inst_pref_size 6
		.amdhsa_round_robin_scheduling 0
		.amdhsa_exception_fp_ieee_invalid_op 0
		.amdhsa_exception_fp_denorm_src 0
		.amdhsa_exception_fp_ieee_div_zero 0
		.amdhsa_exception_fp_ieee_overflow 0
		.amdhsa_exception_fp_ieee_underflow 0
		.amdhsa_exception_fp_ieee_inexact 0
		.amdhsa_exception_int_div_zero 0
	.end_amdhsa_kernel
	.section	.text._ZL25flash_attn_mask_to_KV_maxILi4EEvPK7__half2Piiii,"axG",@progbits,_ZL25flash_attn_mask_to_KV_maxILi4EEvPK7__half2Piiii,comdat
.Lfunc_end6:
	.size	_ZL25flash_attn_mask_to_KV_maxILi4EEvPK7__half2Piiii, .Lfunc_end6-_ZL25flash_attn_mask_to_KV_maxILi4EEvPK7__half2Piiii
                                        ; -- End function
	.set _ZL25flash_attn_mask_to_KV_maxILi4EEvPK7__half2Piiii.num_vgpr, 6
	.set _ZL25flash_attn_mask_to_KV_maxILi4EEvPK7__half2Piiii.num_agpr, 0
	.set _ZL25flash_attn_mask_to_KV_maxILi4EEvPK7__half2Piiii.numbered_sgpr, 19
	.set _ZL25flash_attn_mask_to_KV_maxILi4EEvPK7__half2Piiii.num_named_barrier, 0
	.set _ZL25flash_attn_mask_to_KV_maxILi4EEvPK7__half2Piiii.private_seg_size, 0
	.set _ZL25flash_attn_mask_to_KV_maxILi4EEvPK7__half2Piiii.uses_vcc, 1
	.set _ZL25flash_attn_mask_to_KV_maxILi4EEvPK7__half2Piiii.uses_flat_scratch, 0
	.set _ZL25flash_attn_mask_to_KV_maxILi4EEvPK7__half2Piiii.has_dyn_sized_stack, 0
	.set _ZL25flash_attn_mask_to_KV_maxILi4EEvPK7__half2Piiii.has_recursion, 0
	.set _ZL25flash_attn_mask_to_KV_maxILi4EEvPK7__half2Piiii.has_indirect_call, 0
	.section	.AMDGPU.csdata,"",@progbits
; Kernel info:
; codeLenInByte = 748
; TotalNumSgprs: 21
; NumVgprs: 6
; ScratchSize: 0
; MemoryBound: 0
; FloatMode: 240
; IeeeMode: 1
; LDSByteSize: 128 bytes/workgroup (compile time only)
; SGPRBlocks: 0
; VGPRBlocks: 0
; NumSGPRsForWavesPerEU: 21
; NumVGPRsForWavesPerEU: 6
; NamedBarCnt: 0
; Occupancy: 16
; WaveLimiterHint : 0
; COMPUTE_PGM_RSRC2:SCRATCH_EN: 0
; COMPUTE_PGM_RSRC2:USER_SGPR: 2
; COMPUTE_PGM_RSRC2:TRAP_HANDLER: 0
; COMPUTE_PGM_RSRC2:TGID_X_EN: 1
; COMPUTE_PGM_RSRC2:TGID_Y_EN: 1
; COMPUTE_PGM_RSRC2:TGID_Z_EN: 0
; COMPUTE_PGM_RSRC2:TIDIG_COMP_CNT: 0
	.section	.text._ZL33flash_attn_stream_k_fixup_uniformILi72ELi4ELi8EEvPfPK15HIP_vector_typeIfLj2EEiiiiiiS1_IjLj3EES5_S5_,"axG",@progbits,_ZL33flash_attn_stream_k_fixup_uniformILi72ELi4ELi8EEvPfPK15HIP_vector_typeIfLj2EEiiiiiiS1_IjLj3EES5_S5_,comdat
	.globl	_ZL33flash_attn_stream_k_fixup_uniformILi72ELi4ELi8EEvPfPK15HIP_vector_typeIfLj2EEiiiiiiS1_IjLj3EES5_S5_ ; -- Begin function _ZL33flash_attn_stream_k_fixup_uniformILi72ELi4ELi8EEvPfPK15HIP_vector_typeIfLj2EEiiiiiiS1_IjLj3EES5_S5_
	.p2align	8
	.type	_ZL33flash_attn_stream_k_fixup_uniformILi72ELi4ELi8EEvPfPK15HIP_vector_typeIfLj2EEiiiiiiS1_IjLj3EES5_S5_,@function
_ZL33flash_attn_stream_k_fixup_uniformILi72ELi4ELi8EEvPfPK15HIP_vector_typeIfLj2EEiiiiiiS1_IjLj3EES5_S5_: ; @_ZL33flash_attn_stream_k_fixup_uniformILi72ELi4ELi8EEvPfPK15HIP_vector_typeIfLj2EEiiiiiiS1_IjLj3EES5_S5_
; %bb.0:
	s_load_b256 s[4:11], s[0:1], 0x1c
	s_bfe_u32 s2, ttmp6, 0x40014
	s_lshr_b32 s3, ttmp7, 16
	s_add_co_i32 s2, s2, 1
	s_bfe_u32 s13, ttmp6, 0x40010
	s_mul_i32 s2, s3, s2
	s_bfe_u32 s12, ttmp6, 0x40008
	s_and_b32 s15, ttmp7, 0xffff
	s_add_co_i32 s13, s13, 1
	s_bfe_u32 s14, ttmp6, 0x4000c
	s_add_co_i32 s2, s12, s2
	s_mul_i32 s12, s15, s13
	s_bfe_u32 s13, ttmp6, 0x40004
	s_add_co_i32 s14, s14, 1
	s_add_co_i32 s13, s13, s12
	s_and_b32 s12, ttmp6, 15
	s_mul_i32 s14, ttmp9, s14
	s_getreg_b32 s20, hwreg(HW_REG_IB_STS2, 6, 4)
	s_add_co_i32 s12, s12, s14
	s_load_b128 s[16:19], s[0:1], 0x3c
	s_cmp_eq_u32 s20, 0
	s_cselect_b32 s14, ttmp9, s12
	s_cselect_b32 s12, s15, s13
	s_wait_kmcnt 0x0
	s_mul_hi_u32 s7, s7, s14
	s_cselect_b32 s13, s3, s2
	s_add_co_i32 s2, s14, s7
	s_delay_alu instid0(SALU_CYCLE_1) | instskip(NEXT) | instid1(SALU_CYCLE_1)
	s_lshr_b32 s7, s2, s8
	s_mul_i32 s2, s7, s9
	s_delay_alu instid0(SALU_CYCLE_1) | instskip(NEXT) | instid1(SALU_CYCLE_1)
	s_sub_co_i32 s8, s14, s2
	s_mul_hi_u32 s2, s8, s10
	s_delay_alu instid0(SALU_CYCLE_1) | instskip(SKIP_2) | instid1(SALU_CYCLE_1)
	s_add_co_i32 s9, s8, s2
	s_load_b64 s[2:3], s[0:1], 0x10
	s_lshr_b32 s15, s9, s11
	s_mul_i32 s9, s15, s16
	s_delay_alu instid0(SALU_CYCLE_1) | instskip(NEXT) | instid1(SALU_CYCLE_1)
	s_sub_co_i32 s8, s8, s9
	s_mul_hi_u32 s9, s8, s17
	s_delay_alu instid0(SALU_CYCLE_1) | instskip(NEXT) | instid1(SALU_CYCLE_1)
	s_add_co_i32 s9, s8, s9
	s_lshr_b32 s9, s9, s18
	s_delay_alu instid0(SALU_CYCLE_1) | instskip(SKIP_2) | instid1(SALU_CYCLE_1)
	s_mul_i32 s10, s9, s19
	s_lshl_b32 s17, s9, 3
	s_sub_co_i32 s16, s8, s10
	s_lshl_b32 s8, s16, 2
	s_delay_alu instid0(SALU_CYCLE_1) | instskip(SKIP_4) | instid1(SALU_CYCLE_1)
	s_add_co_i32 s8, s8, s12
	s_wait_kmcnt 0x0
	s_cmp_lt_i32 s8, s2
	s_cselect_b32 s8, -1, 0
	s_add_co_i32 s17, s17, s13
	s_cmp_lt_i32 s17, s5
	s_cselect_b32 s9, -1, 0
	s_delay_alu instid0(SALU_CYCLE_1) | instskip(NEXT) | instid1(SALU_CYCLE_1)
	s_and_b32 s8, s8, s9
	s_and_not1_b32 vcc_lo, exec_lo, s8
	s_cbranch_vccnz .LBB7_6
; %bb.1:
	s_load_b128 s[8:11], s[0:1], 0x0
	s_wait_xcnt 0x0
	s_mul_i32 s0, s7, s2
	s_mul_i32 s15, s15, s5
	s_add_co_i32 s0, s0, s12
	s_add_co_i32 s1, s17, s15
	s_mul_i32 s0, s0, s3
	s_mul_i32 s2, s3, s16
	s_add_co_i32 s0, s1, s0
	s_mulk_i32 s2, 0x120
	s_mulk_i32 s0, 0x48
	s_mul_i32 s7, s6, s14
	v_add3_u32 v4, s0, s2, v0
	s_lshl_b32 s5, s12, 3
	s_add_co_i32 s15, s7, s6
	s_add_co_i32 s0, s5, s13
	s_lshl_b32 s1, s15, 5
	v_ashrrev_i32_e32 v5, 31, v4
	s_add_co_i32 s0, s0, s1
	s_add_co_i32 s2, s15, -2
	s_sub_co_i32 s0, s0, 32
	s_wait_kmcnt 0x0
	global_load_b32 v3, v4, s[8:9] scale_offset
	s_ashr_i32 s1, s0, 31
	s_delay_alu instid0(SALU_CYCLE_1)
	s_lshl_b64 s[0:1], s[0:1], 3
	s_cmp_lt_i32 s2, s7
	s_add_nc_u64 s[0:1], s[10:11], s[0:1]
	s_load_b32 s16, s[0:1], 0x4
	s_cbranch_scc1 .LBB7_4
; %bb.2:
	s_wait_xcnt 0x0
	s_load_b32 s0, s[0:1], 0x0
	s_add_co_i32 s14, s14, 1
	s_mulk_i32 s12, 0x240
	s_wait_xcnt 0x0
	s_mul_i32 s1, s6, s14
	s_lshl_b32 s2, s4, 7
	s_lshl_b32 s6, s1, 5
	s_mulk_i32 s1, 0x900
	s_add_co_i32 s6, s13, s6
	s_mulk_i32 s13, 0x48
	s_lshl_b32 s4, s4, 5
	s_add_co_i32 s12, s13, s12
	s_ashr_i32 s3, s2, 31
	s_add_co_i32 s12, s12, s1
	s_add_co_i32 s1, s6, s4
	v_add3_u32 v0, s12, v0, 0xffffee00
	s_wait_kmcnt 0x0
	v_mov_b32_e32 v2, s16
	s_lshl_b64 s[2:3], s[2:3], 2
	s_add_co_i32 s4, s1, s5
	s_add_nc_u64 s[2:3], s[10:11], s[2:3]
	s_add_co_i32 s1, s15, -1
	s_sub_co_i32 s4, s4, 64
.LBB7_3:                                ; =>This Inner Loop Header: Depth=1
	global_load_b32 v7, v0, s[2:3] scale_offset
	s_ashr_i32 s5, s4, 31
	v_max_num_f32_e64 v1, s0, s0
	s_lshl_b64 s[12:13], s[4:5], 3
	s_delay_alu instid0(SALU_CYCLE_1) | instskip(SKIP_1) | instid1(VALU_DEP_1)
	s_add_nc_u64 s[12:13], s[10:11], s[12:13]
	s_load_b64 s[12:13], s[12:13], 0x0
	v_readfirstlane_b32 s5, v1
	v_add_nc_u32_e32 v0, 0xfffff700, v0
	s_wait_kmcnt 0x0
	v_max_num_f32_e64 v1, s12, s12
	s_delay_alu instid0(VALU_DEP_1) | instskip(SKIP_1) | instid1(SALU_CYCLE_3)
	v_readfirstlane_b32 s6, v1
	s_max_num_f32 s5, s5, s6
	s_sub_f32 s0, s0, s5
	s_sub_f32 s6, s12, s5
	s_delay_alu instid0(SALU_CYCLE_2) | instskip(NEXT) | instid1(SALU_CYCLE_2)
	s_mul_f32 s12, s0, 0x3fb8aa3b
	s_mul_f32 s14, s6, 0x3fb8aa3b
	s_delay_alu instid0(SALU_CYCLE_2)
	s_xor_b32 s15, s12, 0x80000000
	s_rndne_f32 s16, s12
	s_fmamk_f32 s15, s0, 0x3fb8aa3b, s15
	s_cmp_nlt_f32 s0, 0xc2ce8ed0
	s_rndne_f32 s17, s14
	s_sub_f32 s12, s12, s16
	s_fmamk_f32 s15, s0, 0x32a5705f, s15
	s_cselect_b32 vcc_lo, -1, 0
	s_cmp_ngt_f32 s0, 0x42b17218
	s_delay_alu instid0(SALU_CYCLE_1) | instskip(SKIP_2) | instid1(SALU_CYCLE_1)
	s_add_f32 s12, s12, s15
	s_cvt_i32_f32 s15, s16
	s_sub_f32 s16, s14, s17
	v_s_exp_f32 s12, s12
	v_nop
	s_delay_alu instid0(TRANS32_DEP_1) | instskip(SKIP_1) | instid1(VALU_DEP_1)
	v_ldexp_f32 v1, s12, s15
	s_cvt_i32_f32 s12, s17
	v_cndmask_b32_e32 v1, 0, v1, vcc_lo
	s_cselect_b32 vcc_lo, -1, 0
	s_cmp_ge_f32 s0, 0xc1a00000
	s_delay_alu instid0(VALU_DEP_1)
	v_cndmask_b32_e32 v1, 0x7f800000, v1, vcc_lo
	s_cselect_b32 vcc_lo, -1, 0
	s_xor_b32 s0, s14, 0x80000000
	s_cmp_nlt_f32 s6, 0xc2ce8ed0
	s_fmamk_f32 s0, s6, 0x3fb8aa3b, s0
	v_cndmask_b32_e32 v10, 0, v1, vcc_lo
	s_delay_alu instid0(SALU_CYCLE_2) | instskip(NEXT) | instid1(SALU_CYCLE_3)
	s_fmamk_f32 s0, s6, 0x32a5705f, s0
	s_add_f32 s0, s16, s0
	s_delay_alu instid0(SALU_CYCLE_3) | instskip(SKIP_1) | instid1(TRANS32_DEP_1)
	v_s_exp_f32 s0, s0
	v_nop
	v_ldexp_f32 v6, s0, s12
	s_cselect_b32 s0, -1, 0
	s_cmp_ngt_f32 s6, 0x42b17218
	s_delay_alu instid0(VALU_DEP_1) | instskip(SKIP_2) | instid1(VALU_DEP_1)
	v_cndmask_b32_e64 v6, 0, v6, s0
	s_cselect_b32 s0, -1, 0
	s_cmp_ge_f32 s6, 0xc1a00000
	v_cndmask_b32_e64 v8, 0x7f800000, v6, s0
	s_cselect_b32 s0, -1, 0
	v_mov_b32_e32 v6, s13
	s_add_co_i32 s1, s1, -1
	s_sub_co_i32 s4, s4, 32
	v_cndmask_b32_e64 v8, 0, v8, s0
	s_cmp_le_i32 s1, s7
	s_mov_b32 s0, s5
	s_wait_loadcnt 0x0
	s_delay_alu instid0(VALU_DEP_1) | instskip(NEXT) | instid1(VALU_DEP_1)
	v_pk_mul_f32 v[6:7], v[6:7], v[8:9] op_sel_hi:[1,0]
	v_pk_fma_f32 v[2:3], v[2:3], v[10:11], v[6:7] op_sel_hi:[1,0,1]
	s_cbranch_scc0 .LBB7_3
	s_branch .LBB7_5
.LBB7_4:
	s_wait_kmcnt 0x0
	v_mov_b32_e32 v2, s16
.LBB7_5:
	v_lshl_add_u64 v[0:1], v[4:5], 2, s[8:9]
	s_wait_loadcnt 0x0
	s_delay_alu instid0(VALU_DEP_2) | instskip(NEXT) | instid1(VALU_DEP_1)
	v_div_scale_f32 v4, null, v2, v2, v3
	v_rcp_f32_e32 v5, v4
	v_nop
	s_delay_alu instid0(TRANS32_DEP_1) | instskip(NEXT) | instid1(VALU_DEP_1)
	v_fma_f32 v6, -v4, v5, 1.0
	v_fmac_f32_e32 v5, v6, v5
	v_div_scale_f32 v6, vcc_lo, v3, v2, v3
	s_delay_alu instid0(VALU_DEP_1) | instskip(NEXT) | instid1(VALU_DEP_1)
	v_mul_f32_e32 v7, v6, v5
	v_fma_f32 v8, -v4, v7, v6
	s_delay_alu instid0(VALU_DEP_1) | instskip(NEXT) | instid1(VALU_DEP_1)
	v_fmac_f32_e32 v7, v8, v5
	v_fma_f32 v4, -v4, v7, v6
	s_delay_alu instid0(VALU_DEP_1) | instskip(NEXT) | instid1(VALU_DEP_1)
	v_div_fmas_f32 v4, v4, v5, v7
	v_div_fixup_f32 v2, v4, v2, v3
	global_store_b32 v[0:1], v2, off
.LBB7_6:
	s_endpgm
	.section	.rodata,"a",@progbits
	.p2align	6, 0x0
	.amdhsa_kernel _ZL33flash_attn_stream_k_fixup_uniformILi72ELi4ELi8EEvPfPK15HIP_vector_typeIfLj2EEiiiiiiS1_IjLj3EES5_S5_
		.amdhsa_group_segment_fixed_size 0
		.amdhsa_private_segment_fixed_size 0
		.amdhsa_kernarg_size 76
		.amdhsa_user_sgpr_count 2
		.amdhsa_user_sgpr_dispatch_ptr 0
		.amdhsa_user_sgpr_queue_ptr 0
		.amdhsa_user_sgpr_kernarg_segment_ptr 1
		.amdhsa_user_sgpr_dispatch_id 0
		.amdhsa_user_sgpr_kernarg_preload_length 0
		.amdhsa_user_sgpr_kernarg_preload_offset 0
		.amdhsa_user_sgpr_private_segment_size 0
		.amdhsa_wavefront_size32 1
		.amdhsa_uses_dynamic_stack 0
		.amdhsa_enable_private_segment 0
		.amdhsa_system_sgpr_workgroup_id_x 1
		.amdhsa_system_sgpr_workgroup_id_y 1
		.amdhsa_system_sgpr_workgroup_id_z 1
		.amdhsa_system_sgpr_workgroup_info 0
		.amdhsa_system_vgpr_workitem_id 0
		.amdhsa_next_free_vgpr 12
		.amdhsa_next_free_sgpr 21
		.amdhsa_named_barrier_count 0
		.amdhsa_reserve_vcc 1
		.amdhsa_float_round_mode_32 0
		.amdhsa_float_round_mode_16_64 0
		.amdhsa_float_denorm_mode_32 3
		.amdhsa_float_denorm_mode_16_64 3
		.amdhsa_fp16_overflow 0
		.amdhsa_memory_ordered 1
		.amdhsa_forward_progress 1
		.amdhsa_inst_pref_size 9
		.amdhsa_round_robin_scheduling 0
		.amdhsa_exception_fp_ieee_invalid_op 0
		.amdhsa_exception_fp_denorm_src 0
		.amdhsa_exception_fp_ieee_div_zero 0
		.amdhsa_exception_fp_ieee_overflow 0
		.amdhsa_exception_fp_ieee_underflow 0
		.amdhsa_exception_fp_ieee_inexact 0
		.amdhsa_exception_int_div_zero 0
	.end_amdhsa_kernel
	.section	.text._ZL33flash_attn_stream_k_fixup_uniformILi72ELi4ELi8EEvPfPK15HIP_vector_typeIfLj2EEiiiiiiS1_IjLj3EES5_S5_,"axG",@progbits,_ZL33flash_attn_stream_k_fixup_uniformILi72ELi4ELi8EEvPfPK15HIP_vector_typeIfLj2EEiiiiiiS1_IjLj3EES5_S5_,comdat
.Lfunc_end7:
	.size	_ZL33flash_attn_stream_k_fixup_uniformILi72ELi4ELi8EEvPfPK15HIP_vector_typeIfLj2EEiiiiiiS1_IjLj3EES5_S5_, .Lfunc_end7-_ZL33flash_attn_stream_k_fixup_uniformILi72ELi4ELi8EEvPfPK15HIP_vector_typeIfLj2EEiiiiiiS1_IjLj3EES5_S5_
                                        ; -- End function
	.set _ZL33flash_attn_stream_k_fixup_uniformILi72ELi4ELi8EEvPfPK15HIP_vector_typeIfLj2EEiiiiiiS1_IjLj3EES5_S5_.num_vgpr, 12
	.set _ZL33flash_attn_stream_k_fixup_uniformILi72ELi4ELi8EEvPfPK15HIP_vector_typeIfLj2EEiiiiiiS1_IjLj3EES5_S5_.num_agpr, 0
	.set _ZL33flash_attn_stream_k_fixup_uniformILi72ELi4ELi8EEvPfPK15HIP_vector_typeIfLj2EEiiiiiiS1_IjLj3EES5_S5_.numbered_sgpr, 21
	.set _ZL33flash_attn_stream_k_fixup_uniformILi72ELi4ELi8EEvPfPK15HIP_vector_typeIfLj2EEiiiiiiS1_IjLj3EES5_S5_.num_named_barrier, 0
	.set _ZL33flash_attn_stream_k_fixup_uniformILi72ELi4ELi8EEvPfPK15HIP_vector_typeIfLj2EEiiiiiiS1_IjLj3EES5_S5_.private_seg_size, 0
	.set _ZL33flash_attn_stream_k_fixup_uniformILi72ELi4ELi8EEvPfPK15HIP_vector_typeIfLj2EEiiiiiiS1_IjLj3EES5_S5_.uses_vcc, 1
	.set _ZL33flash_attn_stream_k_fixup_uniformILi72ELi4ELi8EEvPfPK15HIP_vector_typeIfLj2EEiiiiiiS1_IjLj3EES5_S5_.uses_flat_scratch, 0
	.set _ZL33flash_attn_stream_k_fixup_uniformILi72ELi4ELi8EEvPfPK15HIP_vector_typeIfLj2EEiiiiiiS1_IjLj3EES5_S5_.has_dyn_sized_stack, 0
	.set _ZL33flash_attn_stream_k_fixup_uniformILi72ELi4ELi8EEvPfPK15HIP_vector_typeIfLj2EEiiiiiiS1_IjLj3EES5_S5_.has_recursion, 0
	.set _ZL33flash_attn_stream_k_fixup_uniformILi72ELi4ELi8EEvPfPK15HIP_vector_typeIfLj2EEiiiiiiS1_IjLj3EES5_S5_.has_indirect_call, 0
	.section	.AMDGPU.csdata,"",@progbits
; Kernel info:
; codeLenInByte = 1084
; TotalNumSgprs: 23
; NumVgprs: 12
; ScratchSize: 0
; MemoryBound: 0
; FloatMode: 240
; IeeeMode: 1
; LDSByteSize: 0 bytes/workgroup (compile time only)
; SGPRBlocks: 0
; VGPRBlocks: 0
; NumSGPRsForWavesPerEU: 23
; NumVGPRsForWavesPerEU: 12
; NamedBarCnt: 0
; Occupancy: 16
; WaveLimiterHint : 0
; COMPUTE_PGM_RSRC2:SCRATCH_EN: 0
; COMPUTE_PGM_RSRC2:USER_SGPR: 2
; COMPUTE_PGM_RSRC2:TRAP_HANDLER: 0
; COMPUTE_PGM_RSRC2:TGID_X_EN: 1
; COMPUTE_PGM_RSRC2:TGID_Y_EN: 1
; COMPUTE_PGM_RSRC2:TGID_Z_EN: 1
; COMPUTE_PGM_RSRC2:TIDIG_COMP_CNT: 0
	.section	.text._ZL33flash_attn_stream_k_fixup_generalILi72ELi4ELi8EEvPfPK15HIP_vector_typeIfLj2EEiiiiS1_IjLj3EES5_S5_S5_,"axG",@progbits,_ZL33flash_attn_stream_k_fixup_generalILi72ELi4ELi8EEvPfPK15HIP_vector_typeIfLj2EEiiiiS1_IjLj3EES5_S5_S5_,comdat
	.globl	_ZL33flash_attn_stream_k_fixup_generalILi72ELi4ELi8EEvPfPK15HIP_vector_typeIfLj2EEiiiiS1_IjLj3EES5_S5_S5_ ; -- Begin function _ZL33flash_attn_stream_k_fixup_generalILi72ELi4ELi8EEvPfPK15HIP_vector_typeIfLj2EEiiiiS1_IjLj3EES5_S5_S5_
	.p2align	8
	.type	_ZL33flash_attn_stream_k_fixup_generalILi72ELi4ELi8EEvPfPK15HIP_vector_typeIfLj2EEiiiiS1_IjLj3EES5_S5_S5_,@function
_ZL33flash_attn_stream_k_fixup_generalILi72ELi4ELi8EEvPfPK15HIP_vector_typeIfLj2EEiiiiS1_IjLj3EES5_S5_S5_: ; @_ZL33flash_attn_stream_k_fixup_generalILi72ELi4ELi8EEvPfPK15HIP_vector_typeIfLj2EEiiiiS1_IjLj3EES5_S5_S5_
; %bb.0:
	s_clause 0x1
	s_load_b128 s[4:7], s[0:1], 0x10
	s_load_b32 s16, s[0:1], 0x50
	s_bfe_u32 s2, ttmp6, 0x4000c
	s_and_b32 s3, ttmp6, 15
	s_add_co_i32 s2, s2, 1
	s_getreg_b32 s15, hwreg(HW_REG_IB_STS2, 6, 4)
	s_mul_i32 s2, ttmp9, s2
	s_mov_b32 s17, 0
	s_add_co_i32 s3, s3, s2
	s_cmp_eq_u32 s15, 0
	s_cselect_b32 s2, ttmp9, s3
	s_delay_alu instid0(SALU_CYCLE_1) | instskip(SKIP_3) | instid1(SALU_CYCLE_1)
	s_ashr_i32 s3, s2, 31
	s_wait_kmcnt 0x0
	s_ashr_i32 s19, s7, 31
	s_mov_b32 s18, s7
	s_mul_u64 s[8:9], s[18:19], s[2:3]
	s_delay_alu instid0(SALU_CYCLE_1) | instskip(NEXT) | instid1(SALU_CYCLE_1)
	s_and_b64 s[10:11], s[8:9], 0xffffffff00000000
	s_cmp_lg_u64 s[10:11], 0
	s_cbranch_scc0 .LBB8_21
; %bb.1:
	s_add_nc_u64 s[10:11], s[16:17], 0
	s_mov_b32 s23, s17
	s_xor_b64 s[10:11], s[10:11], 0
	s_mov_b32 s27, s17
	s_cvt_f32_u32 s3, s10
	s_cvt_f32_u32 s7, s11
	s_sub_nc_u64 s[20:21], 0, s[10:11]
	s_delay_alu instid0(SALU_CYCLE_2) | instskip(NEXT) | instid1(SALU_CYCLE_3)
	s_fmamk_f32 s3, s7, 0x4f800000, s3
	v_s_rcp_f32 s3, s3
	s_delay_alu instid0(TRANS32_DEP_1) | instskip(NEXT) | instid1(SALU_CYCLE_3)
	s_mul_f32 s3, s3, 0x5f7ffffc
	s_mul_f32 s7, s3, 0x2f800000
	s_delay_alu instid0(SALU_CYCLE_3) | instskip(NEXT) | instid1(SALU_CYCLE_3)
	s_trunc_f32 s7, s7
	s_fmamk_f32 s3, s7, 0xcf800000, s3
	s_cvt_u32_f32 s13, s7
	s_delay_alu instid0(SALU_CYCLE_2) | instskip(NEXT) | instid1(SALU_CYCLE_3)
	s_cvt_u32_f32 s12, s3
	s_mul_u64 s[24:25], s[20:21], s[12:13]
	s_delay_alu instid0(SALU_CYCLE_1)
	s_mul_hi_u32 s29, s12, s25
	s_mul_i32 s28, s12, s25
	s_mul_hi_u32 s22, s12, s24
	s_mul_i32 s7, s13, s24
	s_add_nc_u64 s[22:23], s[22:23], s[28:29]
	s_mul_hi_u32 s3, s13, s24
	s_mul_hi_u32 s14, s13, s25
	s_add_co_u32 s7, s22, s7
	s_add_co_ci_u32 s26, s23, s3
	s_mul_i32 s24, s13, s25
	s_add_co_ci_u32 s25, s14, 0
	s_delay_alu instid0(SALU_CYCLE_1) | instskip(SKIP_3) | instid1(SALU_CYCLE_1)
	s_add_nc_u64 s[22:23], s[26:27], s[24:25]
	s_mov_b32 s25, s17
	s_add_co_u32 s12, s12, s22
	s_cselect_b32 s3, -1, 0
	s_cmp_lg_u32 s3, 0
	s_add_co_ci_u32 s13, s13, s23
	s_mov_b32 s23, s17
	s_mul_u64 s[20:21], s[20:21], s[12:13]
	s_delay_alu instid0(SALU_CYCLE_1)
	s_mul_hi_u32 s27, s12, s21
	s_mul_i32 s26, s12, s21
	s_mul_hi_u32 s22, s12, s20
	s_mul_i32 s7, s13, s20
	s_add_nc_u64 s[22:23], s[22:23], s[26:27]
	s_mul_hi_u32 s3, s13, s20
	s_mul_hi_u32 s14, s13, s21
	s_add_co_u32 s7, s22, s7
	s_add_co_ci_u32 s24, s23, s3
	s_mul_i32 s20, s13, s21
	s_add_co_ci_u32 s21, s14, 0
	s_mov_b32 s23, s17
	s_add_nc_u64 s[20:21], s[24:25], s[20:21]
	s_delay_alu instid0(SALU_CYCLE_1) | instskip(SKIP_1) | instid1(SALU_CYCLE_1)
	s_add_co_u32 s3, s12, s20
	s_cselect_b32 s7, -1, 0
	s_cmp_lg_u32 s7, 0
	s_add_co_ci_u32 s7, s13, s21
	s_ashr_i32 s12, s9, 31
	s_delay_alu instid0(SALU_CYCLE_1) | instskip(NEXT) | instid1(SALU_CYCLE_1)
	s_mov_b32 s13, s12
	s_add_nc_u64 s[20:21], s[8:9], s[12:13]
	s_delay_alu instid0(SALU_CYCLE_1) | instskip(NEXT) | instid1(SALU_CYCLE_1)
	s_xor_b64 s[20:21], s[20:21], s[12:13]
	s_mul_hi_u32 s27, s20, s7
	s_mul_i32 s26, s20, s7
	s_mul_hi_u32 s22, s20, s3
	s_mul_hi_u32 s14, s21, s3
	s_mul_i32 s3, s21, s3
	s_add_nc_u64 s[22:23], s[22:23], s[26:27]
	s_mul_hi_u32 s9, s21, s7
	s_add_co_u32 s3, s22, s3
	s_add_co_ci_u32 s24, s23, s14
	s_mul_i32 s26, s21, s7
	s_add_co_ci_u32 s27, s9, 0
	s_delay_alu instid0(SALU_CYCLE_1) | instskip(NEXT) | instid1(SALU_CYCLE_1)
	s_add_nc_u64 s[22:23], s[24:25], s[26:27]
	s_and_b64 s[24:25], s[22:23], 0xffffffff00000000
	s_delay_alu instid0(SALU_CYCLE_1) | instskip(NEXT) | instid1(SALU_CYCLE_1)
	s_or_b32 s24, s24, s22
	s_mul_u64 s[22:23], s[10:11], s[24:25]
	s_add_nc_u64 s[26:27], s[24:25], 1
	s_sub_co_u32 s3, s20, s22
	s_cselect_b32 s7, -1, 0
	s_sub_co_i32 s9, s21, s23
	s_cmp_lg_u32 s7, 0
	s_add_nc_u64 s[28:29], s[24:25], 2
	s_sub_co_ci_u32 s9, s9, s11
	s_sub_co_u32 s14, s3, s10
	s_cselect_b32 s20, -1, 0
	s_delay_alu instid0(SALU_CYCLE_1) | instskip(SKIP_1) | instid1(SALU_CYCLE_1)
	s_cmp_lg_u32 s20, 0
	s_sub_co_ci_u32 s9, s9, 0
	s_cmp_ge_u32 s9, s11
	s_cselect_b32 s20, -1, 0
	s_cmp_ge_u32 s14, s10
	s_cselect_b32 s14, -1, 0
	s_cmp_eq_u32 s9, s11
	s_cselect_b32 s9, s14, s20
	s_delay_alu instid0(SALU_CYCLE_1) | instskip(SKIP_4) | instid1(SALU_CYCLE_1)
	s_cmp_lg_u32 s9, 0
	s_cselect_b32 s9, s28, s26
	s_cselect_b32 s14, s29, s27
	s_cmp_lg_u32 s7, 0
	s_sub_co_ci_u32 s7, s21, s23
	s_cmp_ge_u32 s7, s11
	s_cselect_b32 s20, -1, 0
	s_cmp_ge_u32 s3, s10
	s_cselect_b32 s3, -1, 0
	s_cmp_eq_u32 s7, s11
	s_cselect_b32 s3, s3, s20
	s_delay_alu instid0(SALU_CYCLE_1) | instskip(SKIP_4) | instid1(SALU_CYCLE_1)
	s_cmp_lg_u32 s3, 0
	s_mov_b32 s3, s17
	s_cselect_b32 s11, s14, s25
	s_cselect_b32 s10, s9, s24
	s_xor_b64 s[12:13], s[12:13], 0
	s_xor_b64 s[10:11], s[10:11], s[12:13]
	s_delay_alu instid0(SALU_CYCLE_1)
	s_sub_nc_u64 s[20:21], s[10:11], s[12:13]
	s_and_not1_b32 vcc_lo, exec_lo, s3
	s_cbranch_vccnz .LBB8_3
.LBB8_2:
	v_cvt_f32_u32_e32 v1, s16
	s_sub_co_i32 s7, 0, s16
	s_mov_b32 s21, 0
	s_delay_alu instid0(VALU_DEP_1) | instskip(SKIP_1) | instid1(TRANS32_DEP_1)
	v_rcp_iflag_f32_e32 v1, v1
	v_nop
	v_mul_f32_e32 v1, 0x4f7ffffe, v1
	s_delay_alu instid0(VALU_DEP_1) | instskip(NEXT) | instid1(VALU_DEP_1)
	v_cvt_u32_f32_e32 v1, v1
	v_readfirstlane_b32 s3, v1
	s_mul_i32 s7, s7, s3
	s_delay_alu instid0(SALU_CYCLE_1) | instskip(NEXT) | instid1(SALU_CYCLE_1)
	s_mul_hi_u32 s7, s3, s7
	s_add_co_i32 s3, s3, s7
	s_delay_alu instid0(SALU_CYCLE_1) | instskip(NEXT) | instid1(SALU_CYCLE_1)
	s_mul_hi_u32 s3, s8, s3
	s_mul_i32 s7, s3, s16
	s_delay_alu instid0(SALU_CYCLE_1)
	s_sub_co_i32 s7, s8, s7
	s_add_co_i32 s8, s3, 1
	s_sub_co_i32 s9, s7, s16
	s_cmp_ge_u32 s7, s16
	s_cselect_b32 s3, s8, s3
	s_cselect_b32 s7, s9, s7
	s_add_co_i32 s8, s3, 1
	s_cmp_ge_u32 s7, s16
	s_cselect_b32 s20, s8, s3
.LBB8_3:
	s_add_co_i32 s8, s2, 1
	s_delay_alu instid0(SALU_CYCLE_1) | instskip(NEXT) | instid1(SALU_CYCLE_1)
	s_ashr_i32 s9, s8, 31
	s_mul_u64 s[8:9], s[18:19], s[8:9]
	s_delay_alu instid0(SALU_CYCLE_1) | instskip(NEXT) | instid1(SALU_CYCLE_1)
	s_and_b64 s[10:11], s[8:9], 0xffffffff00000000
	s_cmp_lg_u64 s[10:11], 0
	s_cbranch_scc0 .LBB8_22
; %bb.4:
	s_add_nc_u64 s[10:11], s[16:17], 0
	s_delay_alu instid0(SALU_CYCLE_1) | instskip(SKIP_4) | instid1(SALU_CYCLE_2)
	s_xor_b64 s[12:13], s[10:11], 0
	s_mov_b32 s11, 0
	s_cvt_f32_u32 s3, s12
	s_cvt_f32_u32 s7, s13
	s_sub_nc_u64 s[24:25], 0, s[12:13]
	s_fmamk_f32 s3, s7, 0x4f800000, s3
	s_delay_alu instid0(SALU_CYCLE_3) | instskip(NEXT) | instid1(TRANS32_DEP_1)
	v_s_rcp_f32 s3, s3
	s_mul_f32 s3, s3, 0x5f7ffffc
	s_delay_alu instid0(SALU_CYCLE_3) | instskip(NEXT) | instid1(SALU_CYCLE_3)
	s_mul_f32 s7, s3, 0x2f800000
	s_trunc_f32 s7, s7
	s_delay_alu instid0(SALU_CYCLE_3) | instskip(SKIP_1) | instid1(SALU_CYCLE_2)
	s_fmamk_f32 s3, s7, 0xcf800000, s3
	s_cvt_u32_f32 s23, s7
	s_cvt_u32_f32 s22, s3
	s_delay_alu instid0(SALU_CYCLE_3) | instskip(NEXT) | instid1(SALU_CYCLE_1)
	s_mul_u64 s[26:27], s[24:25], s[22:23]
	s_mul_hi_u32 s29, s22, s27
	s_mul_i32 s28, s22, s27
	s_mul_hi_u32 s10, s22, s26
	s_mul_i32 s7, s23, s26
	s_add_nc_u64 s[28:29], s[10:11], s[28:29]
	s_mul_hi_u32 s3, s23, s26
	s_mul_hi_u32 s14, s23, s27
	s_add_co_u32 s7, s28, s7
	s_add_co_ci_u32 s10, s29, s3
	s_mul_i32 s26, s23, s27
	s_add_co_ci_u32 s27, s14, 0
	s_delay_alu instid0(SALU_CYCLE_1) | instskip(NEXT) | instid1(SALU_CYCLE_1)
	s_add_nc_u64 s[26:27], s[10:11], s[26:27]
	s_add_co_u32 s22, s22, s26
	s_cselect_b32 s3, -1, 0
	s_delay_alu instid0(SALU_CYCLE_1) | instskip(SKIP_1) | instid1(SALU_CYCLE_1)
	s_cmp_lg_u32 s3, 0
	s_add_co_ci_u32 s23, s23, s27
	s_mul_u64 s[24:25], s[24:25], s[22:23]
	s_delay_alu instid0(SALU_CYCLE_1)
	s_mul_hi_u32 s27, s22, s25
	s_mul_i32 s26, s22, s25
	s_mul_hi_u32 s10, s22, s24
	s_mul_i32 s7, s23, s24
	s_add_nc_u64 s[26:27], s[10:11], s[26:27]
	s_mul_hi_u32 s3, s23, s24
	s_mul_hi_u32 s14, s23, s25
	s_add_co_u32 s7, s26, s7
	s_add_co_ci_u32 s10, s27, s3
	s_mul_i32 s24, s23, s25
	s_add_co_ci_u32 s25, s14, 0
	s_delay_alu instid0(SALU_CYCLE_1) | instskip(NEXT) | instid1(SALU_CYCLE_1)
	s_add_nc_u64 s[24:25], s[10:11], s[24:25]
	s_add_co_u32 s3, s22, s24
	s_cselect_b32 s7, -1, 0
	s_delay_alu instid0(SALU_CYCLE_1) | instskip(SKIP_2) | instid1(SALU_CYCLE_1)
	s_cmp_lg_u32 s7, 0
	s_add_co_ci_u32 s7, s23, s25
	s_ashr_i32 s22, s9, 31
	s_mov_b32 s23, s22
	s_delay_alu instid0(SALU_CYCLE_1) | instskip(NEXT) | instid1(SALU_CYCLE_1)
	s_add_nc_u64 s[24:25], s[8:9], s[22:23]
	s_xor_b64 s[24:25], s[24:25], s[22:23]
	s_delay_alu instid0(SALU_CYCLE_1)
	s_mul_hi_u32 s27, s24, s7
	s_mul_i32 s26, s24, s7
	s_mul_hi_u32 s10, s24, s3
	s_mul_hi_u32 s14, s25, s3
	s_mul_i32 s3, s25, s3
	s_add_nc_u64 s[26:27], s[10:11], s[26:27]
	s_mul_hi_u32 s9, s25, s7
	s_add_co_u32 s3, s26, s3
	s_add_co_ci_u32 s10, s27, s14
	s_mul_i32 s28, s25, s7
	s_add_co_ci_u32 s29, s9, 0
	s_delay_alu instid0(SALU_CYCLE_1) | instskip(NEXT) | instid1(SALU_CYCLE_1)
	s_add_nc_u64 s[26:27], s[10:11], s[28:29]
	s_and_b64 s[28:29], s[26:27], 0xffffffff00000000
	s_delay_alu instid0(SALU_CYCLE_1) | instskip(NEXT) | instid1(SALU_CYCLE_1)
	s_or_b32 s28, s28, s26
	s_mul_u64 s[26:27], s[12:13], s[28:29]
	s_add_nc_u64 s[30:31], s[28:29], 1
	s_sub_co_u32 s3, s24, s26
	s_cselect_b32 s7, -1, 0
	s_sub_co_i32 s9, s25, s27
	s_cmp_lg_u32 s7, 0
	s_add_nc_u64 s[34:35], s[28:29], 2
	s_sub_co_ci_u32 s9, s9, s13
	s_sub_co_u32 s10, s3, s12
	s_cselect_b32 s14, -1, 0
	s_delay_alu instid0(SALU_CYCLE_1) | instskip(SKIP_1) | instid1(SALU_CYCLE_1)
	s_cmp_lg_u32 s14, 0
	s_sub_co_ci_u32 s9, s9, 0
	s_cmp_ge_u32 s9, s13
	s_cselect_b32 s14, -1, 0
	s_cmp_ge_u32 s10, s12
	s_cselect_b32 s10, -1, 0
	s_cmp_eq_u32 s9, s13
	s_cselect_b32 s9, s10, s14
	s_delay_alu instid0(SALU_CYCLE_1) | instskip(SKIP_4) | instid1(SALU_CYCLE_1)
	s_cmp_lg_u32 s9, 0
	s_cselect_b32 s9, s34, s30
	s_cselect_b32 s10, s35, s31
	s_cmp_lg_u32 s7, 0
	s_sub_co_ci_u32 s7, s25, s27
	s_cmp_ge_u32 s7, s13
	s_cselect_b32 s14, -1, 0
	s_cmp_ge_u32 s3, s12
	s_cselect_b32 s3, -1, 0
	s_cmp_eq_u32 s7, s13
	s_cselect_b32 s3, s3, s14
	s_delay_alu instid0(SALU_CYCLE_1) | instskip(SKIP_3) | instid1(SALU_CYCLE_1)
	s_cmp_lg_u32 s3, 0
	s_cselect_b32 s13, s10, s29
	s_cselect_b32 s12, s9, s28
	s_xor_b64 s[22:23], s[22:23], 0
	s_xor_b64 s[12:13], s[12:13], s[22:23]
	s_delay_alu instid0(SALU_CYCLE_1)
	s_sub_nc_u64 s[24:25], s[12:13], s[22:23]
	s_load_b96 s[12:14], s[0:1], 0x44
	s_cbranch_execnz .LBB8_6
.LBB8_5:
	v_cvt_f32_u32_e32 v1, s16
	s_sub_co_i32 s7, 0, s16
	s_delay_alu instid0(VALU_DEP_1) | instskip(SKIP_1) | instid1(TRANS32_DEP_1)
	v_rcp_iflag_f32_e32 v1, v1
	v_nop
	v_mul_f32_e32 v1, 0x4f7ffffe, v1
	s_delay_alu instid0(VALU_DEP_1) | instskip(NEXT) | instid1(VALU_DEP_1)
	v_cvt_u32_f32_e32 v1, v1
	v_readfirstlane_b32 s3, v1
	s_mul_i32 s7, s7, s3
	s_delay_alu instid0(SALU_CYCLE_1) | instskip(NEXT) | instid1(SALU_CYCLE_1)
	s_mul_hi_u32 s7, s3, s7
	s_add_co_i32 s3, s3, s7
	s_delay_alu instid0(SALU_CYCLE_1) | instskip(NEXT) | instid1(SALU_CYCLE_1)
	s_mul_hi_u32 s3, s8, s3
	s_mul_i32 s7, s3, s16
	s_delay_alu instid0(SALU_CYCLE_1)
	s_sub_co_i32 s7, s8, s7
	s_add_co_i32 s8, s3, 1
	s_sub_co_i32 s9, s7, s16
	s_cmp_ge_u32 s7, s16
	s_cselect_b32 s3, s8, s3
	s_cselect_b32 s7, s9, s7
	s_add_co_i32 s8, s3, 1
	s_cmp_ge_u32 s7, s16
	s_cselect_b32 s24, s8, s3
.LBB8_6:
	s_delay_alu instid0(SALU_CYCLE_1)
	s_cmp_eq_u32 s20, s24
	s_mov_b64 s[8:9], 0xffffffff
	s_cselect_b32 s3, -1, 0
	s_and_b64 s[8:9], s[20:21], s[8:9]
	s_mov_b32 s23, 0
	s_wait_kmcnt 0x0
	s_mov_b32 s22, s12
	s_mov_b32 s25, s23
	s_mul_u64 s[10:11], s[8:9], s[22:23]
	s_delay_alu instid0(SALU_CYCLE_1) | instskip(SKIP_2) | instid1(SALU_CYCLE_1)
	s_add_co_i32 s7, s11, s20
	s_mul_u64 s[10:11], s[24:25], s[22:23]
	s_lshr_b32 s12, s7, s13
	s_mul_i32 s7, s12, s14
	s_delay_alu instid0(SALU_CYCLE_1) | instskip(SKIP_2) | instid1(SALU_CYCLE_1)
	s_cmp_eq_u32 s7, s20
	s_cselect_b32 s7, -1, 0
	s_add_co_i32 s10, s11, s24
	s_lshr_b32 s10, s10, s13
	s_delay_alu instid0(SALU_CYCLE_1)
	s_cmp_eq_u32 s12, s10
	s_mul_i32 s10, s10, s14
	s_cselect_b32 s11, -1, 0
	s_cmp_lg_u32 s10, s24
	s_cselect_b32 s10, -1, 0
	s_or_b32 s3, s3, s7
	s_and_b32 s10, s11, s10
	s_delay_alu instid0(SALU_CYCLE_1) | instskip(NEXT) | instid1(SALU_CYCLE_1)
	s_or_b32 s3, s3, s10
	s_and_b32 vcc_lo, exec_lo, s3
	s_cbranch_vccnz .LBB8_24
; %bb.7:
	s_load_b256 s[24:31], s[0:1], 0x20
	s_bfe_u32 s7, ttmp6, 0x40014
	s_bfe_u32 s33, ttmp6, 0x40010
	s_lshr_b32 s3, ttmp7, 16
	s_add_co_i32 s7, s7, 1
	s_and_b32 s21, ttmp7, 0xffff
	s_add_co_i32 s33, s33, 1
	s_bfe_u32 s10, ttmp6, 0x40008
	s_mul_i32 s7, s3, s7
	s_bfe_u32 s34, ttmp6, 0x40004
	s_mul_i32 s33, s21, s33
	s_mov_b32 s11, s23
	s_add_co_i32 s35, s10, s7
	s_add_co_i32 s34, s34, s33
	s_cmp_eq_u32 s15, 0
	s_cselect_b32 s7, s21, s34
	s_cselect_b32 s3, s3, s35
	s_wait_kmcnt 0x0
	s_mov_b32 s10, s24
	s_delay_alu instid0(SALU_CYCLE_1) | instskip(NEXT) | instid1(SALU_CYCLE_1)
	s_mul_u64 s[8:9], s[8:9], s[10:11]
	s_add_co_i32 s8, s9, s20
	s_delay_alu instid0(SALU_CYCLE_1) | instskip(SKIP_2) | instid1(SALU_CYCLE_1)
	s_lshr_b32 s15, s8, s25
	s_load_b32 s8, s[0:1], 0x40
	s_mul_i32 s9, s15, s26
	s_sub_co_i32 s9, s20, s9
	s_delay_alu instid0(SALU_CYCLE_1) | instskip(NEXT) | instid1(SALU_CYCLE_1)
	s_mul_hi_u32 s10, s9, s27
	s_add_co_i32 s10, s9, s10
	s_delay_alu instid0(SALU_CYCLE_1) | instskip(NEXT) | instid1(SALU_CYCLE_1)
	s_lshr_b32 s21, s10, s28
	s_mul_i32 s10, s21, s29
	s_delay_alu instid0(SALU_CYCLE_1) | instskip(NEXT) | instid1(SALU_CYCLE_1)
	s_sub_co_i32 s10, s9, s10
	s_mul_hi_u32 s9, s10, s30
	s_delay_alu instid0(SALU_CYCLE_1) | instskip(NEXT) | instid1(SALU_CYCLE_1)
	s_add_co_i32 s9, s10, s9
	s_lshr_b32 s25, s9, s31
	s_mov_b32 s9, s23
	s_wait_kmcnt 0x0
	s_mul_i32 s8, s25, s8
	s_lshl_b32 s25, s25, 3
	s_sub_co_i32 s8, s10, s8
	s_delay_alu instid0(SALU_CYCLE_1) | instskip(NEXT) | instid1(SALU_CYCLE_1)
	s_mul_u64 s[10:11], s[8:9], s[22:23]
	s_add_co_i32 s8, s8, s11
	s_delay_alu instid0(SALU_CYCLE_1) | instskip(NEXT) | instid1(SALU_CYCLE_1)
	s_lshr_b32 s24, s8, s13
	s_lshl_b32 s8, s24, 2
	s_delay_alu instid0(SALU_CYCLE_1) | instskip(NEXT) | instid1(SALU_CYCLE_1)
	s_add_co_i32 s8, s8, s7
	s_cmp_lt_i32 s8, s4
	s_cselect_b32 s8, -1, 0
	s_add_co_i32 s25, s25, s3
	s_delay_alu instid0(SALU_CYCLE_1) | instskip(SKIP_1) | instid1(SALU_CYCLE_1)
	s_cmp_lt_i32 s25, s6
	s_cselect_b32 s9, -1, 0
	s_and_b32 s8, s8, s9
	s_delay_alu instid0(SALU_CYCLE_1)
	s_and_not1_b32 vcc_lo, exec_lo, s8
	s_cbranch_vccnz .LBB8_24
; %bb.8:
	s_load_b128 s[8:11], s[0:1], 0x0
	s_wait_xcnt 0x0
	s_mul_i32 s0, s15, s4
	s_mul_i32 s21, s21, s6
	s_add_co_i32 s0, s0, s7
	s_add_co_i32 s1, s25, s21
	s_mul_i32 s0, s0, s5
	s_mul_i32 s4, s5, s24
	s_add_co_i32 s0, s1, s0
	s_mulk_i32 s4, 0x120
	s_mulk_i32 s0, 0x48
	s_lshl_b32 s15, s7, 3
	v_add3_u32 v2, s4, s0, v0
	s_add_nc_u64 s[0:1], s[16:17], 0
	s_add_co_i32 s15, s15, s3
	s_xor_b64 s[6:7], s[0:1], 0
	s_lshl_b32 s0, s2, 5
	s_cvt_f32_u32 s3, s6
	s_cvt_f32_u32 s4, s7
	s_add_co_i32 s0, s15, s0
	v_cvt_f32_u32_e32 v4, s16
	s_wait_kmcnt 0x0
	global_load_b32 v1, v2, s[8:9] scale_offset
	s_fmamk_f32 s3, s4, 0x4f800000, s3
	s_ashr_i32 s1, s0, 31
	s_lshl_b32 s24, s16, 7
	s_lshl_b64 s[0:1], s[0:1], 3
	v_s_rcp_f32 s3, s3
	s_add_nc_u64 s[0:1], s[10:11], s[0:1]
	v_rcp_iflag_f32_e32 v4, v4
	s_load_b64 s[28:29], s[0:1], 0x0
	s_mov_b32 s25, 0
	v_mad_u32 v6, 0x48, s15, v0
	v_ashrrev_i32_e32 v3, 31, v2
	s_wait_xcnt 0x0
	s_lshl_b64 s[0:1], s[24:25], 2
	s_mul_f32 s3, s3, 0x5f7ffffc
	v_mul_f32_e32 v4, 0x4f7ffffe, v4
	s_add_nc_u64 s[26:27], s[10:11], s[0:1]
	v_lshl_add_u64 v[2:3], v[2:3], 2, s[8:9]
	s_mul_f32 s4, s3, 0x2f800000
	s_mov_b64 s[8:9], 0xffffffff
	v_cvt_u32_f32_e32 v7, v4
	s_add_co_i32 s36, s2, -1
	s_trunc_f32 s4, s4
	s_sub_nc_u64 s[34:35], 0, s[6:7]
	s_delay_alu instid0(SALU_CYCLE_2)
	s_fmamk_f32 s0, s4, 0xcf800000, s3
	s_cvt_u32_f32 s31, s4
	s_wait_kmcnt 0x0
	v_mov_b32_e32 v0, s29
	s_cvt_u32_f32 s30, s0
.LBB8_9:                                ; =>This Inner Loop Header: Depth=1
	s_ashr_i32 s37, s36, 31
                                        ; implicit-def: $sgpr40_sgpr41
	s_delay_alu instid0(SALU_CYCLE_1) | instskip(NEXT) | instid1(SALU_CYCLE_1)
	s_mul_u64 s[0:1], s[36:37], s[18:19]
	s_and_b64 s[2:3], s[0:1], 0xffffffff00000000
	s_delay_alu instid0(SALU_CYCLE_1)
	s_cmp_lg_u64 s[2:3], 0
	s_mov_b32 s2, -1
	s_cbranch_scc0 .LBB8_11
; %bb.10:                               ;   in Loop: Header=BB8_9 Depth=1
	s_mul_u64 s[2:3], s[34:35], s[30:31]
	s_delay_alu instid0(SALU_CYCLE_1)
	s_mul_hi_u32 s5, s30, s3
	s_mul_i32 s4, s30, s3
	s_mul_hi_u32 s24, s30, s2
	s_mul_hi_u32 s17, s31, s2
	s_add_nc_u64 s[4:5], s[24:25], s[4:5]
	s_mul_i32 s2, s31, s2
	s_mul_hi_u32 s21, s31, s3
	s_add_co_u32 s2, s4, s2
	s_add_co_ci_u32 s24, s5, s17
	s_add_co_ci_u32 s5, s21, 0
	s_mul_i32 s4, s31, s3
	s_delay_alu instid0(SALU_CYCLE_1) | instskip(NEXT) | instid1(SALU_CYCLE_1)
	s_add_nc_u64 s[2:3], s[24:25], s[4:5]
	s_add_co_u32 s2, s30, s2
	s_cselect_b32 s4, -1, 0
	s_delay_alu instid0(SALU_CYCLE_1) | instskip(SKIP_1) | instid1(SALU_CYCLE_1)
	s_cmp_lg_u32 s4, 0
	s_add_co_ci_u32 s3, s31, s3
	s_mul_u64 s[4:5], s[34:35], s[2:3]
	s_delay_alu instid0(SALU_CYCLE_1)
	s_mul_hi_u32 s39, s2, s5
	s_mul_i32 s38, s2, s5
	s_mul_hi_u32 s24, s2, s4
	s_mul_hi_u32 s17, s3, s4
	s_mul_i32 s4, s3, s4
	s_add_nc_u64 s[38:39], s[24:25], s[38:39]
	s_mul_hi_u32 s21, s3, s5
	s_add_co_u32 s4, s38, s4
	s_add_co_ci_u32 s24, s39, s17
	s_mul_i32 s4, s3, s5
	s_add_co_ci_u32 s5, s21, 0
	s_delay_alu instid0(SALU_CYCLE_1) | instskip(NEXT) | instid1(SALU_CYCLE_1)
	s_add_nc_u64 s[4:5], s[24:25], s[4:5]
	s_add_co_u32 s17, s2, s4
	s_cselect_b32 s2, -1, 0
	s_delay_alu instid0(SALU_CYCLE_1) | instskip(SKIP_2) | instid1(SALU_CYCLE_1)
	s_cmp_lg_u32 s2, 0
	s_add_co_ci_u32 s21, s3, s5
	s_ashr_i32 s2, s1, 31
	s_mov_b32 s3, s2
	s_delay_alu instid0(SALU_CYCLE_1) | instskip(NEXT) | instid1(SALU_CYCLE_1)
	s_add_nc_u64 s[4:5], s[0:1], s[2:3]
	s_xor_b64 s[4:5], s[4:5], s[2:3]
	s_delay_alu instid0(SALU_CYCLE_1)
	s_mul_hi_u32 s39, s4, s21
	s_mul_i32 s38, s4, s21
	s_mul_hi_u32 s24, s4, s17
	s_mul_hi_u32 s29, s5, s17
	s_mul_i32 s17, s5, s17
	s_add_nc_u64 s[38:39], s[24:25], s[38:39]
	s_mul_hi_u32 s1, s5, s21
	s_add_co_u32 s17, s38, s17
	s_add_co_ci_u32 s24, s39, s29
	s_mul_i32 s40, s5, s21
	s_add_co_ci_u32 s41, s1, 0
	s_delay_alu instid0(SALU_CYCLE_1) | instskip(NEXT) | instid1(SALU_CYCLE_1)
	s_add_nc_u64 s[38:39], s[24:25], s[40:41]
	s_and_b64 s[40:41], s[38:39], 0xffffffff00000000
	s_delay_alu instid0(SALU_CYCLE_1) | instskip(NEXT) | instid1(SALU_CYCLE_1)
	s_or_b32 s40, s40, s38
	s_mul_u64 s[38:39], s[6:7], s[40:41]
	s_add_nc_u64 s[42:43], s[40:41], 1
	s_sub_co_u32 s1, s4, s38
	s_cselect_b32 s4, -1, 0
	s_sub_co_i32 s17, s5, s39
	s_cmp_lg_u32 s4, 0
	s_add_nc_u64 s[44:45], s[40:41], 2
	s_sub_co_ci_u32 s17, s17, s7
	s_sub_co_u32 s21, s1, s6
	s_cselect_b32 s24, -1, 0
	s_delay_alu instid0(SALU_CYCLE_1) | instskip(SKIP_1) | instid1(SALU_CYCLE_1)
	s_cmp_lg_u32 s24, 0
	s_sub_co_ci_u32 s17, s17, 0
	s_cmp_ge_u32 s17, s7
	s_cselect_b32 s24, -1, 0
	s_cmp_ge_u32 s21, s6
	s_cselect_b32 s21, -1, 0
	s_cmp_eq_u32 s17, s7
	s_cselect_b32 s17, s21, s24
	s_delay_alu instid0(SALU_CYCLE_1) | instskip(SKIP_4) | instid1(SALU_CYCLE_1)
	s_cmp_lg_u32 s17, 0
	s_cselect_b32 s17, s44, s42
	s_cselect_b32 s21, s45, s43
	s_cmp_lg_u32 s4, 0
	s_sub_co_ci_u32 s4, s5, s39
	s_cmp_ge_u32 s4, s7
	s_cselect_b32 s5, -1, 0
	s_cmp_ge_u32 s1, s6
	s_cselect_b32 s1, -1, 0
	s_cmp_eq_u32 s4, s7
	s_cselect_b32 s1, s1, s5
	s_delay_alu instid0(SALU_CYCLE_1) | instskip(SKIP_3) | instid1(SALU_CYCLE_1)
	s_cmp_lg_u32 s1, 0
	s_cselect_b32 s5, s21, s41
	s_cselect_b32 s4, s17, s40
	s_xor_b64 s[2:3], s[2:3], 0
	s_xor_b64 s[4:5], s[4:5], s[2:3]
	s_delay_alu instid0(SALU_CYCLE_1)
	s_sub_nc_u64 s[40:41], s[4:5], s[2:3]
	s_mov_b32 s2, 0
.LBB8_11:                               ;   in Loop: Header=BB8_9 Depth=1
	s_delay_alu instid0(SALU_CYCLE_1)
	s_and_not1_b32 vcc_lo, exec_lo, s2
	s_cbranch_vccnz .LBB8_13
; %bb.12:                               ;   in Loop: Header=BB8_9 Depth=1
	v_readfirstlane_b32 s1, v7
	s_sub_co_i32 s2, 0, s16
	s_delay_alu instid0(SALU_CYCLE_1) | instskip(NEXT) | instid1(SALU_CYCLE_1)
	s_mul_i32 s2, s2, s1
	s_mul_hi_u32 s2, s1, s2
	s_delay_alu instid0(SALU_CYCLE_1) | instskip(NEXT) | instid1(SALU_CYCLE_1)
	s_add_co_i32 s1, s1, s2
	s_mul_hi_u32 s1, s0, s1
	s_delay_alu instid0(SALU_CYCLE_1) | instskip(NEXT) | instid1(SALU_CYCLE_1)
	s_mul_i32 s2, s1, s16
	s_sub_co_i32 s0, s0, s2
	s_add_co_i32 s2, s1, 1
	s_sub_co_i32 s3, s0, s16
	s_cmp_ge_u32 s0, s16
	s_cselect_b32 s1, s2, s1
	s_cselect_b32 s0, s3, s0
	s_add_co_i32 s2, s1, 1
	s_cmp_ge_u32 s0, s16
	s_cselect_b32 s24, s2, s1
	s_delay_alu instid0(SALU_CYCLE_1)
	s_mov_b64 s[40:41], s[24:25]
.LBB8_13:                               ;   in Loop: Header=BB8_9 Depth=1
	s_delay_alu instid0(SALU_CYCLE_1)
	s_cmp_lg_u32 s20, s40
	s_mov_b32 s0, -1
                                        ; implicit-def: $vgpr4_vgpr5
                                        ; implicit-def: $sgpr24
                                        ; implicit-def: $sgpr17
                                        ; implicit-def: $sgpr21
                                        ; implicit-def: $sgpr29
	s_cbranch_scc0 .LBB8_18
; %bb.14:                               ;   in Loop: Header=BB8_9 Depth=1
	s_add_co_i32 s0, s36, s16
	v_max_num_f32_e64 v4, s28, s28
	s_lshl_b32 s0, s0, 5
	s_mov_b32 s29, s20
	s_add_co_i32 s0, s0, s15
	s_load_b64 s[38:39], s[10:11], s0 offset:0x0 scale_offset
	s_wait_xcnt 0x0
	v_readfirstlane_b32 s0, v4
	s_wait_kmcnt 0x0
	v_max_num_f32_e64 v5, s38, s38
	s_delay_alu instid0(VALU_DEP_1) | instskip(SKIP_1) | instid1(SALU_CYCLE_3)
	v_readfirstlane_b32 s1, v5
	s_max_num_f32 s17, s0, s1
	s_sub_f32 s33, s28, s17
	s_sub_f32 s37, s38, s17
	s_delay_alu instid0(SALU_CYCLE_2)
	s_cmp_nlt_f32 s33, 0xc2ce8ed0
	s_cselect_b32 s1, -1, 0
	s_cmp_ngt_f32 s33, 0x42b17218
	s_cselect_b32 s2, -1, 0
	s_cmp_ge_f32 s33, 0xc1a00000
	s_cselect_b32 s0, -1, 0
	s_cmp_nlt_f32 s37, 0xc2ce8ed0
	s_cselect_b32 s3, -1, 0
	s_cmp_ngt_f32 s37, 0x42b17218
	s_cselect_b32 s4, -1, 0
	s_cmp_ge_f32 s37, 0xc1a00000
	s_cselect_b32 s5, -1, 0
	s_and_b64 s[42:43], s[40:41], s[8:9]
	s_delay_alu instid0(SALU_CYCLE_1) | instskip(NEXT) | instid1(SALU_CYCLE_1)
	s_mul_u64 s[42:43], s[42:43], s[22:23]
	s_add_co_i32 s21, s43, s40
	s_delay_alu instid0(SALU_CYCLE_1) | instskip(NEXT) | instid1(SALU_CYCLE_1)
	s_lshr_b32 s21, s21, s13
	s_mul_i32 s24, s21, s14
	s_delay_alu instid0(SALU_CYCLE_1) | instskip(SKIP_3) | instid1(SALU_CYCLE_1)
	s_cmp_eq_u32 s24, s40
	s_cselect_b32 s24, -1, 0
	s_cmp_lt_u32 s21, s12
	s_cselect_b32 s21, -1, 0
	s_or_b32 s21, s21, s24
	s_mov_b32 s24, -1
	s_and_b32 vcc_lo, exec_lo, s21
	s_mov_b32 s21, s36
	s_cbranch_vccnz .LBB8_16
; %bb.15:                               ;   in Loop: Header=BB8_9 Depth=1
	s_add_co_i32 s21, s36, -1
	s_mov_b32 s24, 0
	s_mov_b32 s29, s40
.LBB8_16:                               ;   in Loop: Header=BB8_9 Depth=1
	v_mad_u32 v4, 0x900, s36, v6
	s_mul_f32 s40, s33, 0x3fb8aa3b
	s_mul_f32 s38, s37, 0x3fb8aa3b
	s_delay_alu instid0(SALU_CYCLE_2)
	s_xor_b32 s42, s40, 0x80000000
	s_rndne_f32 s44, s40
	s_fmamk_f32 s42, s33, 0x3fb8aa3b, s42
	s_xor_b32 s41, s38, 0x80000000
	s_rndne_f32 s43, s38
	s_sub_f32 s40, s40, s44
	global_load_b32 v5, v4, s[26:27] scale_offset
	s_fmamk_f32 s33, s33, 0x32a5705f, s42
	s_fmamk_f32 s41, s37, 0x3fb8aa3b, s41
	s_sub_f32 s38, s38, s43
	s_delay_alu instid0(SALU_CYCLE_1) | instskip(NEXT) | instid1(SALU_CYCLE_1)
	s_add_f32 s33, s40, s33
	s_fmamk_f32 s37, s37, 0x32a5705f, s41
	s_cvt_i32_f32 s40, s44
	s_delay_alu instid0(SALU_CYCLE_1) | instskip(NEXT) | instid1(SALU_CYCLE_1)
	v_s_exp_f32 s33, s33
	s_add_f32 s37, s38, s37
	s_cvt_i32_f32 s38, s43
	s_delay_alu instid0(SALU_CYCLE_2) | instskip(NEXT) | instid1(TRANS32_DEP_2)
	v_s_exp_f32 s37, s37
	v_ldexp_f32 v8, s33, s40
	s_wait_xcnt 0x0
	s_delay_alu instid0(TRANS32_DEP_1) | instskip(NEXT) | instid1(VALU_DEP_2)
	v_ldexp_f32 v4, s37, s38
	v_cndmask_b32_e64 v8, 0, v8, s1
	s_delay_alu instid0(VALU_DEP_1) | instskip(NEXT) | instid1(VALU_DEP_1)
	v_cndmask_b32_e64 v9, 0x7f800000, v8, s2
	v_dual_cndmask_b32 v4, 0, v4, s3 :: v_dual_cndmask_b32 v10, 0, v9, s0
	s_delay_alu instid0(VALU_DEP_1) | instskip(NEXT) | instid1(VALU_DEP_1)
	v_cndmask_b32_e64 v4, 0x7f800000, v4, s4
	v_dual_cndmask_b32 v8, 0, v4, s5 :: v_dual_mov_b32 v4, s39
	s_wait_loadcnt 0x0
	s_delay_alu instid0(VALU_DEP_1) | instskip(NEXT) | instid1(VALU_DEP_1)
	v_pk_mul_f32 v[4:5], v[4:5], v[8:9] op_sel_hi:[1,0]
	v_pk_fma_f32 v[4:5], v[0:1], v[10:11], v[4:5] op_sel_hi:[1,0,1]
	s_cbranch_execz .LBB8_19
.LBB8_17:                               ;   in Loop: Header=BB8_9 Depth=1
	s_and_not1_b32 vcc_lo, exec_lo, s24
	s_cbranch_vccnz .LBB8_20
	s_branch .LBB8_23
.LBB8_18:                               ;   in Loop: Header=BB8_9 Depth=1
	s_and_not1_b32 vcc_lo, exec_lo, s0
	s_cbranch_vccnz .LBB8_17
.LBB8_19:                               ;   in Loop: Header=BB8_9 Depth=1
	s_wait_loadcnt 0x0
	v_mov_b64_e32 v[4:5], v[0:1]
	s_add_co_i32 s21, s36, -1
	s_mov_b32 s29, s20
	s_mov_b32 s17, s28
	s_cbranch_execz .LBB8_23
.LBB8_20:                               ;   in Loop: Header=BB8_9 Depth=1
	s_wait_loadcnt 0x0
	s_delay_alu instid0(VALU_DEP_1)
	v_mov_b64_e32 v[0:1], v[4:5]
	s_mov_b32 s20, s29
	s_mov_b32 s36, s21
	s_mov_b32 s28, s17
	s_branch .LBB8_9
.LBB8_21:
                                        ; implicit-def: $sgpr20_sgpr21
	s_branch .LBB8_2
.LBB8_22:
                                        ; implicit-def: $sgpr24_sgpr25
	s_load_b96 s[12:14], s[0:1], 0x44
	s_branch .LBB8_5
.LBB8_23:
	s_delay_alu instid0(VALU_DEP_1) | instskip(SKIP_1) | instid1(VALU_DEP_1)
	v_div_scale_f32 v0, null, v4, v4, v5
	s_wait_loadcnt 0x0
	v_rcp_f32_e32 v1, v0
	v_nop
	s_delay_alu instid0(TRANS32_DEP_1) | instskip(NEXT) | instid1(VALU_DEP_1)
	v_fma_f32 v6, -v0, v1, 1.0
	v_fmac_f32_e32 v1, v6, v1
	v_div_scale_f32 v6, vcc_lo, v5, v4, v5
	s_delay_alu instid0(VALU_DEP_1) | instskip(NEXT) | instid1(VALU_DEP_1)
	v_mul_f32_e32 v7, v6, v1
	v_fma_f32 v8, -v0, v7, v6
	s_delay_alu instid0(VALU_DEP_1) | instskip(NEXT) | instid1(VALU_DEP_1)
	v_fmac_f32_e32 v7, v8, v1
	v_fma_f32 v0, -v0, v7, v6
	s_delay_alu instid0(VALU_DEP_1) | instskip(NEXT) | instid1(VALU_DEP_1)
	v_div_fmas_f32 v0, v0, v1, v7
	v_div_fixup_f32 v0, v0, v4, v5
	global_store_b32 v[2:3], v0, off
.LBB8_24:
	s_endpgm
	.section	.rodata,"a",@progbits
	.p2align	6, 0x0
	.amdhsa_kernel _ZL33flash_attn_stream_k_fixup_generalILi72ELi4ELi8EEvPfPK15HIP_vector_typeIfLj2EEiiiiS1_IjLj3EES5_S5_S5_
		.amdhsa_group_segment_fixed_size 0
		.amdhsa_private_segment_fixed_size 0
		.amdhsa_kernarg_size 336
		.amdhsa_user_sgpr_count 2
		.amdhsa_user_sgpr_dispatch_ptr 0
		.amdhsa_user_sgpr_queue_ptr 0
		.amdhsa_user_sgpr_kernarg_segment_ptr 1
		.amdhsa_user_sgpr_dispatch_id 0
		.amdhsa_user_sgpr_kernarg_preload_length 0
		.amdhsa_user_sgpr_kernarg_preload_offset 0
		.amdhsa_user_sgpr_private_segment_size 0
		.amdhsa_wavefront_size32 1
		.amdhsa_uses_dynamic_stack 0
		.amdhsa_enable_private_segment 0
		.amdhsa_system_sgpr_workgroup_id_x 1
		.amdhsa_system_sgpr_workgroup_id_y 1
		.amdhsa_system_sgpr_workgroup_id_z 1
		.amdhsa_system_sgpr_workgroup_info 0
		.amdhsa_system_vgpr_workitem_id 0
		.amdhsa_next_free_vgpr 12
		.amdhsa_next_free_sgpr 46
		.amdhsa_named_barrier_count 0
		.amdhsa_reserve_vcc 1
		.amdhsa_float_round_mode_32 0
		.amdhsa_float_round_mode_16_64 0
		.amdhsa_float_denorm_mode_32 3
		.amdhsa_float_denorm_mode_16_64 3
		.amdhsa_fp16_overflow 0
		.amdhsa_memory_ordered 1
		.amdhsa_forward_progress 1
		.amdhsa_inst_pref_size 27
		.amdhsa_round_robin_scheduling 0
		.amdhsa_exception_fp_ieee_invalid_op 0
		.amdhsa_exception_fp_denorm_src 0
		.amdhsa_exception_fp_ieee_div_zero 0
		.amdhsa_exception_fp_ieee_overflow 0
		.amdhsa_exception_fp_ieee_underflow 0
		.amdhsa_exception_fp_ieee_inexact 0
		.amdhsa_exception_int_div_zero 0
	.end_amdhsa_kernel
	.section	.text._ZL33flash_attn_stream_k_fixup_generalILi72ELi4ELi8EEvPfPK15HIP_vector_typeIfLj2EEiiiiS1_IjLj3EES5_S5_S5_,"axG",@progbits,_ZL33flash_attn_stream_k_fixup_generalILi72ELi4ELi8EEvPfPK15HIP_vector_typeIfLj2EEiiiiS1_IjLj3EES5_S5_S5_,comdat
.Lfunc_end8:
	.size	_ZL33flash_attn_stream_k_fixup_generalILi72ELi4ELi8EEvPfPK15HIP_vector_typeIfLj2EEiiiiS1_IjLj3EES5_S5_S5_, .Lfunc_end8-_ZL33flash_attn_stream_k_fixup_generalILi72ELi4ELi8EEvPfPK15HIP_vector_typeIfLj2EEiiiiS1_IjLj3EES5_S5_S5_
                                        ; -- End function
	.set _ZL33flash_attn_stream_k_fixup_generalILi72ELi4ELi8EEvPfPK15HIP_vector_typeIfLj2EEiiiiS1_IjLj3EES5_S5_S5_.num_vgpr, 12
	.set _ZL33flash_attn_stream_k_fixup_generalILi72ELi4ELi8EEvPfPK15HIP_vector_typeIfLj2EEiiiiS1_IjLj3EES5_S5_S5_.num_agpr, 0
	.set _ZL33flash_attn_stream_k_fixup_generalILi72ELi4ELi8EEvPfPK15HIP_vector_typeIfLj2EEiiiiS1_IjLj3EES5_S5_S5_.numbered_sgpr, 46
	.set _ZL33flash_attn_stream_k_fixup_generalILi72ELi4ELi8EEvPfPK15HIP_vector_typeIfLj2EEiiiiS1_IjLj3EES5_S5_S5_.num_named_barrier, 0
	.set _ZL33flash_attn_stream_k_fixup_generalILi72ELi4ELi8EEvPfPK15HIP_vector_typeIfLj2EEiiiiS1_IjLj3EES5_S5_S5_.private_seg_size, 0
	.set _ZL33flash_attn_stream_k_fixup_generalILi72ELi4ELi8EEvPfPK15HIP_vector_typeIfLj2EEiiiiS1_IjLj3EES5_S5_S5_.uses_vcc, 1
	.set _ZL33flash_attn_stream_k_fixup_generalILi72ELi4ELi8EEvPfPK15HIP_vector_typeIfLj2EEiiiiS1_IjLj3EES5_S5_S5_.uses_flat_scratch, 0
	.set _ZL33flash_attn_stream_k_fixup_generalILi72ELi4ELi8EEvPfPK15HIP_vector_typeIfLj2EEiiiiS1_IjLj3EES5_S5_S5_.has_dyn_sized_stack, 0
	.set _ZL33flash_attn_stream_k_fixup_generalILi72ELi4ELi8EEvPfPK15HIP_vector_typeIfLj2EEiiiiS1_IjLj3EES5_S5_S5_.has_recursion, 0
	.set _ZL33flash_attn_stream_k_fixup_generalILi72ELi4ELi8EEvPfPK15HIP_vector_typeIfLj2EEiiiiS1_IjLj3EES5_S5_S5_.has_indirect_call, 0
	.section	.AMDGPU.csdata,"",@progbits
; Kernel info:
; codeLenInByte = 3352
; TotalNumSgprs: 48
; NumVgprs: 12
; ScratchSize: 0
; MemoryBound: 0
; FloatMode: 240
; IeeeMode: 1
; LDSByteSize: 0 bytes/workgroup (compile time only)
; SGPRBlocks: 0
; VGPRBlocks: 0
; NumSGPRsForWavesPerEU: 48
; NumVGPRsForWavesPerEU: 12
; NamedBarCnt: 0
; Occupancy: 16
; WaveLimiterHint : 0
; COMPUTE_PGM_RSRC2:SCRATCH_EN: 0
; COMPUTE_PGM_RSRC2:USER_SGPR: 2
; COMPUTE_PGM_RSRC2:TRAP_HANDLER: 0
; COMPUTE_PGM_RSRC2:TGID_X_EN: 1
; COMPUTE_PGM_RSRC2:TGID_Y_EN: 1
; COMPUTE_PGM_RSRC2:TGID_Z_EN: 1
; COMPUTE_PGM_RSRC2:TIDIG_COMP_CNT: 0
	.section	.text._ZL15flash_attn_tileILi72ELi72ELi2ELi8ELb0EEvPKcS1_S1_S1_S1_PKiPfP15HIP_vector_typeIfLj2EEffffjfiS5_IjLj3EEiiiiiiiiiiiliiliiiiil,"axG",@progbits,_ZL15flash_attn_tileILi72ELi72ELi2ELi8ELb0EEvPKcS1_S1_S1_S1_PKiPfP15HIP_vector_typeIfLj2EEffffjfiS5_IjLj3EEiiiiiiiiiiiliiliiiiil,comdat
	.globl	_ZL15flash_attn_tileILi72ELi72ELi2ELi8ELb0EEvPKcS1_S1_S1_S1_PKiPfP15HIP_vector_typeIfLj2EEffffjfiS5_IjLj3EEiiiiiiiiiiiliiliiiiil ; -- Begin function _ZL15flash_attn_tileILi72ELi72ELi2ELi8ELb0EEvPKcS1_S1_S1_S1_PKiPfP15HIP_vector_typeIfLj2EEffffjfiS5_IjLj3EEiiiiiiiiiiiliiliiiiil
	.p2align	8
	.type	_ZL15flash_attn_tileILi72ELi72ELi2ELi8ELb0EEvPKcS1_S1_S1_S1_PKiPfP15HIP_vector_typeIfLj2EEffffjfiS5_IjLj3EEiiiiiiiiiiiliiliiiiil,@function
_ZL15flash_attn_tileILi72ELi72ELi2ELi8ELb0EEvPKcS1_S1_S1_S1_PKiPfP15HIP_vector_typeIfLj2EEffffjfiS5_IjLj3EEiiiiiiiiiiiliiliiiiil: ; @_ZL15flash_attn_tileILi72ELi72ELi2ELi8ELb0EEvPKcS1_S1_S1_S1_PKiPfP15HIP_vector_typeIfLj2EEffffjfiS5_IjLj3EEiiiiiiiiiiiliiliiiiil
; %bb.0:
	s_clause 0x1
	s_load_b128 s[20:23], s[0:1], 0x5c
	s_load_b64 s[30:31], s[0:1], 0x80
	s_bfe_u32 s5, ttmp6, 0x40014
	s_lshr_b32 s4, ttmp7, 16
	s_add_co_i32 s5, s5, 1
	s_bfe_u32 s6, ttmp6, 0x40008
	s_mul_i32 s5, s4, s5
	s_getreg_b32 s27, hwreg(HW_REG_IB_STS2, 6, 4)
	s_add_co_i32 s6, s6, s5
	s_mov_b32 s37, 0
	s_mov_b64 s[34:35], 0
	s_wait_kmcnt 0x0
	s_ashr_i32 s2, s23, 31
	s_delay_alu instid0(SALU_CYCLE_1) | instskip(NEXT) | instid1(SALU_CYCLE_1)
	s_lshr_b32 s2, s2, 29
	s_add_co_i32 s2, s23, s2
	s_delay_alu instid0(SALU_CYCLE_1) | instskip(NEXT) | instid1(SALU_CYCLE_1)
	s_ashr_i32 s2, s2, 3
	s_cvt_f32_u32 s3, s2
	s_sub_co_i32 s7, 0, s2
	s_delay_alu instid0(SALU_CYCLE_2) | instskip(SKIP_1) | instid1(TRANS32_DEP_1)
	v_rcp_iflag_f32_e32 v1, s3
	v_nop
	v_readfirstlane_b32 s3, v1
	s_mul_f32 s3, s3, 0x4f7ffffe
	s_delay_alu instid0(SALU_CYCLE_3) | instskip(NEXT) | instid1(SALU_CYCLE_3)
	s_cvt_u32_f32 s3, s3
	s_mul_i32 s7, s7, s3
	s_delay_alu instid0(SALU_CYCLE_1) | instskip(NEXT) | instid1(SALU_CYCLE_1)
	s_mul_hi_u32 s7, s3, s7
	s_add_co_i32 s3, s3, s7
	s_cmp_eq_u32 s27, 0
	s_cselect_b32 s4, s4, s6
	s_delay_alu instid0(SALU_CYCLE_1) | instskip(NEXT) | instid1(SALU_CYCLE_1)
	s_mul_hi_u32 s3, s4, s3
	s_mul_i32 s5, s3, s2
	s_add_co_i32 s6, s3, 1
	s_sub_co_i32 s5, s4, s5
	s_delay_alu instid0(SALU_CYCLE_1)
	s_sub_co_i32 s7, s5, s2
	s_cmp_ge_u32 s5, s2
	s_cselect_b32 s3, s6, s3
	s_cselect_b32 s5, s7, s5
	s_add_co_i32 s6, s3, 1
	s_cmp_ge_u32 s5, s2
	s_cselect_b32 s28, s6, s3
	s_abs_i32 s2, s31
	s_abs_i32 s6, s23
	s_cvt_f32_u32 s3, s2
	s_sub_co_i32 s5, 0, s2
	s_lshl_b32 s24, s4, 3
	s_xor_b32 s4, s23, s31
	v_rcp_iflag_f32_e32 v1, s3
	s_ashr_i32 s25, s4, 31
	v_nop
	s_delay_alu instid0(TRANS32_DEP_1) | instskip(SKIP_1) | instid1(SALU_CYCLE_3)
	v_readfirstlane_b32 s3, v1
	s_mul_f32 s3, s3, 0x4f7ffffe
	s_cvt_u32_f32 s3, s3
	s_delay_alu instid0(SALU_CYCLE_3) | instskip(NEXT) | instid1(SALU_CYCLE_1)
	s_mul_i32 s5, s5, s3
	s_mul_hi_u32 s5, s3, s5
	s_delay_alu instid0(SALU_CYCLE_1) | instskip(NEXT) | instid1(SALU_CYCLE_1)
	s_add_co_i32 s3, s3, s5
	s_mul_hi_u32 s3, s6, s3
	s_delay_alu instid0(SALU_CYCLE_1) | instskip(NEXT) | instid1(SALU_CYCLE_1)
	s_mul_i32 s5, s3, s2
	s_sub_co_i32 s4, s6, s5
	s_add_co_i32 s5, s3, 1
	s_sub_co_i32 s6, s4, s2
	s_cmp_ge_u32 s4, s2
	s_cselect_b32 s3, s5, s3
	s_cselect_b32 s4, s6, s4
	s_add_co_i32 s5, s3, 1
	s_cmp_ge_u32 s4, s2
	s_cselect_b32 s2, s5, s3
	s_load_b512 s[4:19], s[0:1], 0x0
	s_xor_b32 s26, s2, s25
	s_load_b64 s[2:3], s[0:1], 0xb8
	s_sub_co_i32 s29, s26, s25
	s_delay_alu instid0(SALU_CYCLE_1) | instskip(NEXT) | instid1(SALU_CYCLE_1)
	s_abs_i32 s38, s29
	s_cvt_f32_u32 s25, s38
	s_delay_alu instid0(SALU_CYCLE_3) | instskip(SKIP_2) | instid1(TRANS32_DEP_1)
	v_rcp_iflag_f32_e32 v1, s25
	s_mul_i32 s25, s28, s23
	v_nop
	v_readfirstlane_b32 s36, v1
	s_wait_kmcnt 0x0
	s_cmp_eq_u64 s[10:11], 0
	s_cbranch_scc1 .LBB9_2
; %bb.1:
	s_abs_i32 s2, s2
	s_abs_i32 s33, s28
	s_cvt_f32_u32 s26, s2
	s_sub_co_i32 s31, 0, s2
	s_load_b64 s[34:35], s[0:1], 0xc8
	s_delay_alu instid0(SALU_CYCLE_1) | instskip(SKIP_1) | instid1(TRANS32_DEP_1)
	v_rcp_iflag_f32_e32 v1, s26
	v_nop
	v_readfirstlane_b32 s26, v1
	s_mul_f32 s26, s26, 0x4f7ffffe
	s_delay_alu instid0(SALU_CYCLE_3) | instskip(NEXT) | instid1(SALU_CYCLE_3)
	s_cvt_u32_f32 s26, s26
	s_mul_i32 s31, s31, s26
	s_delay_alu instid0(SALU_CYCLE_1) | instskip(NEXT) | instid1(SALU_CYCLE_1)
	s_mul_hi_u32 s31, s26, s31
	s_add_co_i32 s26, s26, s31
	s_ashr_i32 s31, s28, 31
	s_mul_hi_u32 s26, s33, s26
	s_delay_alu instid0(SALU_CYCLE_1) | instskip(NEXT) | instid1(SALU_CYCLE_1)
	s_mul_i32 s26, s26, s2
	s_sub_co_i32 s26, s33, s26
	s_delay_alu instid0(SALU_CYCLE_1) | instskip(SKIP_2) | instid1(SALU_CYCLE_1)
	s_sub_co_i32 s33, s26, s2
	s_cmp_ge_u32 s26, s2
	s_cselect_b32 s26, s33, s26
	s_sub_co_i32 s33, s26, s2
	s_cmp_ge_u32 s26, s2
	s_cselect_b32 s2, s33, s26
	s_delay_alu instid0(SALU_CYCLE_1) | instskip(NEXT) | instid1(SALU_CYCLE_1)
	s_xor_b32 s2, s2, s31
	s_sub_co_i32 s40, s2, s31
	s_delay_alu instid0(SALU_CYCLE_1) | instskip(SKIP_2) | instid1(SALU_CYCLE_1)
	s_ashr_i32 s41, s40, 31
	s_wait_kmcnt 0x0
	s_mul_u64 s[34:35], s[34:35], s[40:41]
	s_add_nc_u64 s[34:35], s[10:11], s[34:35]
.LBB9_2:
	s_bfe_u32 s2, ttmp6, 0x4000c
	v_bfe_u32 v2, v0, 10, 10
	v_lshrrev_b32_e32 v1, 10, v0
	s_add_co_i32 s2, s2, 1
	s_and_b32 s10, ttmp6, 15
	s_mul_i32 s2, ttmp9, s2
	s_sub_co_i32 s31, s24, s25
	s_add_co_i32 s10, s10, s2
	v_lshlrev_b32_e32 v3, 1, v2
	v_bfe_u32 v1, v1, 2, 8
	s_cmp_eq_u32 s27, 0
	v_and_b32_e32 v23, 0x3ff, v0
	s_cselect_b32 s10, ttmp9, s10
	v_and_b32_e32 v4, 6, v3
	v_lshl_add_u32 v24, s10, 1, v1
	s_delay_alu instid0(VALU_DEP_3) | instskip(SKIP_1) | instid1(VALU_DEP_3)
	v_dual_lshlrev_b32 v22, 2, v23 :: v_dual_lshlrev_b32 v25, 3, v23
	v_cmp_gt_u32_e64 s2, 18, v23
	v_mul_hi_u32 v1, s20, v24
	s_delay_alu instid0(VALU_DEP_1) | instskip(NEXT) | instid1(VALU_DEP_1)
	v_add_nc_u32_e32 v1, v24, v1
	v_lshrrev_b32_e32 v1, s21, v1
	s_delay_alu instid0(VALU_DEP_1) | instskip(NEXT) | instid1(VALU_DEP_1)
	v_mul_lo_u32 v1, v1, s22
	v_sub_nc_u32_e32 v0, v24, v1
	s_and_saveexec_b32 s11, s2
	s_cbranch_execz .LBB9_4
; %bb.3:
	s_load_b96 s[24:26], s[0:1], 0x70
	v_dual_mov_b32 v1, 0 :: v_dual_lshlrev_b32 v12, 2, v22
	v_bitop3_b32 v8, v3, 7, 1 bitop3:0xc8
	s_delay_alu instid0(VALU_DEP_2)
	v_dual_mov_b32 v13, v1 :: v_dual_bitop2_b32 v3, 1, v3 bitop3:0x54
	v_dual_mov_b32 v5, v1 :: v_dual_mov_b32 v9, v1
	s_wait_kmcnt 0x0
	s_ashr_i32 s21, s24, 31
	s_mov_b32 s20, s24
	s_mul_i32 s24, s31, s25
	s_lshr_b64 s[20:21], s[20:21], 2
	s_delay_alu instid0(SALU_CYCLE_1)
	v_mul_u64_e32 v[6:7], s[20:21], v[0:1]
	s_ashr_i32 s21, s25, 31
	s_mov_b32 s20, s25
	s_ashr_i32 s25, s24, 31
	s_lshr_b64 s[20:21], s[20:21], 2
	v_add_nc_u32_e32 v1, 0x14e0, v25
	v_mul_u64_e32 v[10:11], s[20:21], v[4:5]
	v_mul_u64_e32 v[8:9], s[20:21], v[8:9]
	s_mul_i32 s20, s28, s26
	s_delay_alu instid0(SALU_CYCLE_1) | instskip(SKIP_4) | instid1(SALU_CYCLE_1)
	s_ashr_i32 s21, s20, 31
	v_mad_u32_u24 v5, 0x120, v2, v1
	s_add_nc_u64 s[4:5], s[4:5], s[20:21]
	v_mad_u32_u24 v1, 0x90, v3, v1
	s_add_nc_u64 s[4:5], s[4:5], s[24:25]
	v_lshl_add_u64 v[6:7], v[6:7], 2, s[4:5]
	s_load_b32 s4, s[0:1], 0x40
	s_delay_alu instid0(VALU_DEP_1) | instskip(NEXT) | instid1(VALU_DEP_1)
	v_add_nc_u64_e32 v[6:7], v[6:7], v[12:13]
	v_lshl_add_u64 v[14:15], v[10:11], 2, v[6:7]
	v_lshl_add_u64 v[16:17], v[8:9], 2, v[6:7]
	s_clause 0x1
	global_load_b128 v[6:9], v[14:15], off
	global_load_b128 v[10:13], v[16:17], off
	s_wait_loadcnt 0x1
	s_wait_kmcnt 0x0
	v_fma_mixlo_f16 v6, s4, v6, 0
	v_fma_mixlo_f16 v7, s4, v7, 0
	s_wait_loadcnt 0x0
	v_fma_mixlo_f16 v10, s4, v10, 0
	v_fma_mixlo_f16 v11, s4, v11, 0
	;; [unrolled: 1-line block ×4, first 2 shown]
	v_lshlrev_b32_e32 v7, 16, v7
	v_and_b32_e32 v6, 0xffff, v6
	v_fma_mixlo_f16 v12, s4, v12, 0
	v_fma_mixlo_f16 v13, s4, v13, 0
	v_lshlrev_b32_e32 v11, 16, v11
	v_and_b32_e32 v10, 0xffff, v10
	v_lshlrev_b32_e32 v9, 16, v9
	v_and_b32_e32 v8, 0xffff, v8
	v_dual_lshlrev_b32 v13, 16, v13 :: v_dual_bitop2_b32 v6, v7, v6 bitop3:0x54
	v_and_b32_e32 v12, 0xffff, v12
	v_or_b32_e32 v10, v11, v10
	s_delay_alu instid0(VALU_DEP_4) | instskip(NEXT) | instid1(VALU_DEP_4)
	v_or3_b32 v7, v9, v8, 0
	v_or3_b32 v6, 0, 0, v6
	s_delay_alu instid0(VALU_DEP_4) | instskip(NEXT) | instid1(VALU_DEP_4)
	v_or3_b32 v9, v13, v12, 0
	v_or3_b32 v8, 0, 0, v10
	ds_store_b64 v5, v[6:7]
	ds_store_b64 v1, v[8:9]
.LBB9_4:
	s_or_b32 exec_lo, exec_lo, s11
	s_cmp_eq_u64 s[14:15], 0
	s_wait_dscnt 0x0
	s_barrier_signal -1
	s_barrier_wait -1
	s_cbranch_scc1 .LBB9_6
; %bb.5:
	s_load_b32 s4, s[0:1], 0xd0
	s_wait_kmcnt 0x0
	s_mul_i32 s4, s4, s28
	s_delay_alu instid0(SALU_CYCLE_1)
	s_add_co_i32 s4, s4, s10
	s_load_b32 s30, s[14:15], s4 offset:0x0 scale_offset
.LBB9_6:
	s_wait_xcnt 0x0
	s_bfe_u32 s4, ttmp6, 0x40010
	s_and_b32 s5, ttmp7, 0xffff
	s_add_co_i32 s4, s4, 1
	s_bfe_u32 s10, ttmp6, 0x40004
	s_mul_i32 s4, s5, s4
	v_mbcnt_lo_u32_b32 v5, -1, 0
	s_add_co_i32 s10, s10, s4
	s_cmp_eq_u32 s27, 0
	s_cselect_b32 s33, s5, s10
	s_mov_b32 s5, 0
	s_lshl_b32 s4, s33, 5
	s_wait_kmcnt 0x0
	s_cmp_lt_i32 s4, s30
	s_cbranch_scc1 .LBB9_9
; %bb.7:
	v_mbcnt_lo_u32_b32 v1, -1, 0
	s_delay_alu instid0(VALU_DEP_1)
	v_dual_mov_b32 v28, 32 :: v_dual_bitop2_b32 v33, 16, v1 bitop3:0x14
	v_xor_b32_e32 v32, 8, v1
	v_xor_b32_e32 v31, 4, v1
	;; [unrolled: 1-line block ×4, first 2 shown]
	s_and_not1_b32 vcc_lo, exec_lo, s5
	s_cbranch_vccz .LBB9_10
; %bb.8:
	v_dual_mov_b32 v19, 0xfeffffff :: v_dual_mov_b32 v34, 0
	v_dual_mov_b32 v7, 0 :: v_dual_mov_b32 v44, 0
	;; [unrolled: 1-line block ×3, first 2 shown]
	s_delay_alu instid0(VALU_DEP_2)
	v_dual_mov_b32 v18, v19 :: v_dual_mov_b32 v6, v7
	s_branch .LBB9_18
.LBB9_9:
                                        ; implicit-def: $vgpr1
                                        ; implicit-def: $vgpr28
                                        ; implicit-def: $vgpr33
                                        ; implicit-def: $vgpr32
                                        ; implicit-def: $vgpr31
                                        ; implicit-def: $vgpr30
                                        ; implicit-def: $vgpr29
.LBB9_10:
	s_clause 0x1
	s_load_b64 s[14:15], s[0:1], 0x8c
	s_load_b128 s[24:27], s[0:1], 0x98
	s_mul_f32 s5, s36, 0x4f7ffffe
	s_sub_co_i32 s10, 0, s38
	s_abs_i32 s36, s31
	s_mov_b32 s11, s37
	s_cvt_u32_f32 s5, s5
	s_load_b64 s[20:21], s[0:1], 0xa8
	v_dual_lshrrev_b32 v1, 3, v23 :: v_dual_bitop2_b32 v6, 28, v22 bitop3:0x40
	s_delay_alu instid0(SALU_CYCLE_1)
	s_mul_i32 s10, s10, s5
	s_ashr_i32 s39, s31, 31
	s_mul_hi_u32 s10, s5, s10
	s_ashr_i32 s40, s29, 31
	s_add_co_i32 s10, s5, s10
	s_ashr_i32 s3, s3, 1
	s_mul_u64 s[10:11], s[36:37], s[10:11]
	s_ashr_i32 s29, s28, 31
	s_mul_i32 s5, s11, s38
	s_xor_b32 s37, s39, s40
	s_sub_co_i32 s5, s36, s5
	s_wait_kmcnt 0x0
	s_ashr_i32 s10, s26, 2
	s_ashr_i32 s14, s14, 2
	s_add_co_i32 s26, s11, 1
	s_sub_co_i32 s36, s5, s38
	v_lshl_add_u32 v1, v2, 2, v1
	v_lshl_add_u32 v3, v2, 5, v23
	s_cmp_ge_u32 s5, s38
	v_mad_u32 v39, v0, s3, v23
	s_cselect_b32 s11, s26, s11
	s_cselect_b32 s5, s36, s5
	s_add_co_i32 s26, s11, 1
	v_mul_lo_u32 v8, s14, v1
	v_mul_lo_u32 v10, s14, v3
	;; [unrolled: 1-line block ×4, first 2 shown]
	s_cmp_ge_u32 s5, s38
	v_dual_lshlrev_b32 v7, 2, v6 :: v_dual_mov_b32 v13, 0
	s_cselect_b32 s5, s26, s11
	v_lshl_add_u32 v40, v2, 7, 0x1de0
	s_xor_b32 s5, s5, s37
	s_mul_u64 s[24:25], s[24:25], s[28:29]
	s_sub_co_i32 s5, s5, s37
	s_add_nc_u64 s[6:7], s[6:7], s[24:25]
	s_mul_i32 s36, s5, s15
	s_mul_i32 s24, s5, s27
	s_movk_i32 s5, 0x80
	s_movk_i32 s11, 0x120
	;; [unrolled: 1-line block ×3, first 2 shown]
	s_mul_u64 s[20:21], s[20:21], s[28:29]
	v_mad_u32_u24 v35, 0xa0, v1, v7
	v_dual_ashrrev_i32 v9, 31, v8 :: v_dual_ashrrev_i32 v11, 31, v10
	v_mul_u32_u24_e32 v36, 0xa0, v23
	v_mad_u32_u24 v37, 0xa0, v3, s5
	v_mad_u32_u24 v38, v2, s11, 0x14e0
	v_dual_ashrrev_i32 v15, 31, v14 :: v_dual_ashrrev_i32 v17, 31, v16
	v_mad_u32_u24 v41, v3, s3, 0x80
	v_mad_u32_u24 v42, 0x90, v1, v7
	v_dual_mov_b32 v0, 0xfeffffff :: v_dual_add_nc_u32 v43, v40, v22
	v_dual_lshlrev_b32 v12, 2, v6 :: v_dual_mov_b32 v28, 32
	v_dual_mov_b32 v27, v13 :: v_dual_bitop2_b32 v33, 16, v5 bitop3:0x14
	v_dual_mov_b32 v26, v13 :: v_dual_bitop2_b32 v32, 8, v5 bitop3:0x14
	;; [unrolled: 1-line block ×5, first 2 shown]
	v_mov_b32_e32 v1, 0xfeffffff
	v_mov_b32_e32 v7, v13
	s_ashr_i32 s37, s36, 31
	s_add_nc_u64 s[8:9], s[8:9], s[20:21]
	s_ashr_i32 s25, s24, 31
	s_add_nc_u64 s[6:7], s[6:7], s[36:37]
	s_add_nc_u64 s[8:9], s[8:9], s[24:25]
	s_ashr_i32 s15, s14, 31
	s_ashr_i32 s11, s10, 31
	s_add_nc_u64 s[20:21], s[0:1], 0xd0
	v_cmp_gt_u32_e32 vcc_lo, 32, v3
.LBB9_11:                               ; =>This Inner Loop Header: Depth=1
	s_ashr_i32 s5, s4, 31
	s_delay_alu instid0(SALU_CYCLE_1) | instskip(NEXT) | instid1(SALU_CYCLE_1)
	s_mul_u64 s[24:25], s[4:5], s[14:15]
	s_lshl_b64 s[24:25], s[24:25], 2
	s_delay_alu instid0(SALU_CYCLE_1)
	s_add_nc_u64 s[24:25], s[6:7], s[24:25]
	s_and_saveexec_b32 s3, vcc_lo
	s_cbranch_execz .LBB9_13
; %bb.12:                               ;   in Loop: Header=BB9_11 Depth=1
	v_lshl_add_u64 v[2:3], v[10:11], 2, s[24:25]
	global_load_b128 v[18:21], v[2:3], off offset:128
	s_wait_loadcnt 0x0
	ds_store_b128 v37, v[18:21]
.LBB9_13:                               ;   in Loop: Header=BB9_11 Depth=1
	s_or_b32 exec_lo, exec_lo, s3
	v_lshl_add_u64 v[2:3], v[8:9], 2, s[24:25]
	v_cmp_gt_i32_e64 s3, 32, v33
	s_mul_u64 s[24:25], s[4:5], s[10:11]
	v_mov_b32_e32 v45, 0
	s_lshl_b64 s[24:25], s[24:25], 2
	v_add_nc_u64_e32 v[2:3], v[2:3], v[12:13]
	s_add_nc_u64 s[24:25], s[8:9], s[24:25]
	global_load_b128 v[18:21], v[2:3], off
	s_wait_xcnt 0x0
	v_dual_mov_b32 v3, 0 :: v_dual_add_nc_u32 v2, s4, v39
	s_wait_loadcnt 0x0
	ds_store_b128 v35, v[18:21]
	s_wait_dscnt 0x0
	s_barrier_signal -1
	s_barrier_wait -1
	ds_load_b128 v[18:21], v36
	ds_load_b128 v[46:49], v38
	ds_load_b128 v[50:53], v38 offset:144
	s_wait_dscnt 0x1
	;;#ASMSTART
	v_dot2_f32_f16 v3, v18, v46, v3
	;;#ASMEND
	;;#ASMSTART
	v_dot2_f32_f16 v3, v19, v47, v3
	;;#ASMEND
	;;#ASMSTART
	v_dot2_f32_f16 v3, v20, v48, v3
	;;#ASMEND
	;;#ASMSTART
	v_dot2_f32_f16 v3, v21, v49, v3
	;;#ASMEND
	s_wait_dscnt 0x0
	;;#ASMSTART
	v_dot2_f32_f16 v45, v18, v50, v45
	;;#ASMEND
	;;#ASMSTART
	v_dot2_f32_f16 v45, v19, v51, v45
	;;#ASMEND
	;;#ASMSTART
	v_dot2_f32_f16 v45, v20, v52, v45
	;;#ASMEND
	;;#ASMSTART
	v_dot2_f32_f16 v45, v21, v53, v45
	;;#ASMEND
	ds_load_b128 v[18:21], v36 offset:16
	ds_load_b128 v[46:49], v38 offset:16
	ds_load_b128 v[50:53], v38 offset:160
	s_wait_dscnt 0x1
	;;#ASMSTART
	v_dot2_f32_f16 v3, v18, v46, v3
	;;#ASMEND
	;;#ASMSTART
	v_dot2_f32_f16 v3, v19, v47, v3
	;;#ASMEND
	;;#ASMSTART
	v_dot2_f32_f16 v3, v20, v48, v3
	;;#ASMEND
	;;#ASMSTART
	v_dot2_f32_f16 v3, v21, v49, v3
	;;#ASMEND
	s_wait_dscnt 0x0
	;;#ASMSTART
	v_dot2_f32_f16 v45, v18, v50, v45
	;;#ASMEND
	;;#ASMSTART
	v_dot2_f32_f16 v45, v19, v51, v45
	;;#ASMEND
	;;#ASMSTART
	v_dot2_f32_f16 v45, v20, v52, v45
	;;#ASMEND
	;;#ASMSTART
	v_dot2_f32_f16 v45, v21, v53, v45
	;;#ASMEND
	ds_load_b128 v[18:21], v36 offset:32
	ds_load_b128 v[46:49], v38 offset:32
	;; [unrolled: 29-line block ×8, first 2 shown]
	ds_load_b128 v[50:53], v38 offset:272
	s_wait_dscnt 0x1
	;;#ASMSTART
	v_dot2_f32_f16 v3, v18, v46, v3
	;;#ASMEND
	;;#ASMSTART
	v_dot2_f32_f16 v3, v19, v47, v3
	;;#ASMEND
	;; [unrolled: 3-line block ×4, first 2 shown]
	s_wait_dscnt 0x0
	;;#ASMSTART
	v_dot2_f32_f16 v45, v18, v50, v45
	;;#ASMEND
	;;#ASMSTART
	v_dot2_f32_f16 v45, v19, v51, v45
	;;#ASMEND
	;;#ASMSTART
	v_dot2_f32_f16 v45, v20, v52, v45
	;;#ASMEND
	;;#ASMSTART
	v_dot2_f32_f16 v45, v21, v53, v45
	;;#ASMEND
	v_cndmask_b32_e64 v18, v5, v33, s3
	global_load_u16 v2, v2, s[34:35] scale_offset
	v_max_num_f32_e32 v21, v1, v1
	v_cmp_gt_i32_e64 s3, 32, v32
	s_wait_loadcnt 0x0
	v_lshlrev_b32_e32 v18, 2, v18
	s_barrier_signal -1
	s_barrier_wait -1
	s_wait_xcnt 0x0
	v_cvt_f32_f16_e32 v2, v2
	s_delay_alu instid0(VALU_DEP_1) | instskip(NEXT) | instid1(VALU_DEP_1)
	v_dual_add_f32 v3, v3, v2 :: v_dual_add_f32 v2, v45, v2
	v_dual_max_num_f32 v19, v0, v0 :: v_dual_add_f32 v20, 0x40051340, v3
	s_delay_alu instid0(VALU_DEP_2) | instskip(NEXT) | instid1(VALU_DEP_1)
	v_add_f32_e32 v45, 0x40051340, v2
	v_dual_max_num_f32 v19, v19, v20 :: v_dual_max_num_f32 v20, v21, v45
	ds_bpermute_b32 v21, v18, v19
	ds_bpermute_b32 v18, v18, v20
	v_cndmask_b32_e64 v45, v5, v32, s3
	v_cmp_gt_i32_e64 s3, 32, v31
	s_wait_dscnt 0x0
	v_dual_max_num_f32 v18, v18, v18 :: v_dual_max_num_f32 v21, v21, v21
	s_delay_alu instid0(VALU_DEP_1) | instskip(SKIP_4) | instid1(VALU_DEP_1)
	v_dual_max_num_f32 v18, v20, v18 :: v_dual_max_num_f32 v19, v19, v21
	v_lshlrev_b32_e32 v45, 2, v45
	ds_bpermute_b32 v20, v45, v19
	s_wait_dscnt 0x0
	v_max_num_f32_e32 v20, v20, v20
	v_max_num_f32_e32 v19, v19, v20
	ds_bpermute_b32 v21, v45, v18
	v_cndmask_b32_e64 v45, v5, v31, s3
	v_cmp_gt_i32_e64 s3, 32, v30
	s_delay_alu instid0(VALU_DEP_2) | instskip(SKIP_3) | instid1(VALU_DEP_1)
	v_lshlrev_b32_e32 v45, 2, v45
	ds_bpermute_b32 v20, v45, v19
	s_wait_dscnt 0x0
	v_dual_max_num_f32 v21, v21, v21 :: v_dual_max_num_f32 v20, v20, v20
	v_dual_max_num_f32 v18, v18, v21 :: v_dual_max_num_f32 v19, v19, v20
	ds_bpermute_b32 v21, v45, v18
	v_cndmask_b32_e64 v45, v5, v30, s3
	v_cmp_gt_i32_e64 s3, 32, v29
	s_delay_alu instid0(VALU_DEP_2) | instskip(SKIP_3) | instid1(VALU_DEP_1)
	v_lshlrev_b32_e32 v45, 2, v45
	ds_bpermute_b32 v20, v45, v19
	s_wait_dscnt 0x0
	v_dual_max_num_f32 v21, v21, v21 :: v_dual_max_num_f32 v20, v20, v20
	v_dual_max_num_f32 v18, v18, v21 :: v_dual_max_num_f32 v19, v19, v20
	ds_bpermute_b32 v21, v45, v18
	v_cndmask_b32_e64 v45, v5, v29, s3
	s_delay_alu instid0(VALU_DEP_1) | instskip(SKIP_2) | instid1(VALU_DEP_1)
	v_lshlrev_b32_e32 v45, 2, v45
	s_wait_dscnt 0x0
	v_max_num_f32_e32 v21, v21, v21
	v_max_num_f32_e32 v20, v18, v21
	ds_bpermute_b32 v18, v45, v19
	s_wait_dscnt 0x0
	v_max_num_f32_e32 v18, v18, v18
	s_delay_alu instid0(VALU_DEP_1) | instskip(SKIP_2) | instid1(VALU_DEP_1)
	v_max_num_f32_e32 v18, v19, v18
	ds_bpermute_b32 v21, v45, v20
	v_sub_f32_e32 v3, v3, v18
	v_cmp_ngt_f32_e64 s3, 0xc2ce8ed0, v3
	s_wait_dscnt 0x0
	v_max_num_f32_e32 v21, v21, v21
	s_delay_alu instid0(VALU_DEP_1) | instskip(NEXT) | instid1(VALU_DEP_1)
	v_dual_max_num_f32 v19, v20, v21 :: v_dual_mul_f32 v20, 0x3fb8aa3b, v3
	v_rndne_f32_e32 v46, v20
	s_delay_alu instid0(VALU_DEP_2) | instskip(SKIP_1) | instid1(VALU_DEP_3)
	v_sub_f32_e32 v2, v2, v19
	v_fma_f32 v45, 0x3fb8aa3b, v3, -v20
	v_sub_f32_e32 v20, v20, v46
	s_delay_alu instid0(VALU_DEP_3) | instskip(NEXT) | instid1(VALU_DEP_3)
	v_mul_f32_e32 v21, 0x3fb8aa3b, v2
	v_fmac_f32_e32 v45, 0x32a5705f, v3
	s_delay_alu instid0(VALU_DEP_2) | instskip(NEXT) | instid1(VALU_DEP_2)
	v_fma_f32 v47, 0x3fb8aa3b, v2, -v21
	v_add_f32_e32 v20, v20, v45
	v_rndne_f32_e32 v48, v21
	v_cvt_i32_f32_e32 v45, v46
	s_delay_alu instid0(VALU_DEP_4) | instskip(NEXT) | instid1(VALU_DEP_4)
	v_fmac_f32_e32 v47, 0x32a5705f, v2
	v_exp_f32_e32 v20, v20
	s_delay_alu instid0(VALU_DEP_3) | instskip(SKIP_1) | instid1(TRANS32_DEP_1)
	v_sub_f32_e32 v21, v21, v48
	v_cvt_i32_f32_e32 v46, v48
	v_ldexp_f32 v20, v20, v45
	s_delay_alu instid0(VALU_DEP_1) | instskip(NEXT) | instid1(VALU_DEP_1)
	v_dual_add_f32 v21, v21, v47 :: v_dual_cndmask_b32 v20, 0, v20, s3
	v_exp_f32_e32 v21, v21
	v_cmp_ngt_f32_e64 s3, 0xc2ce8ed0, v2
	s_delay_alu instid0(TRANS32_DEP_1) | instskip(NEXT) | instid1(VALU_DEP_1)
	v_ldexp_f32 v21, v21, v46
	v_cndmask_b32_e64 v21, 0, v21, s3
	v_cmp_nlt_f32_e64 s3, 0x42b17218, v3
	s_delay_alu instid0(VALU_DEP_1) | instskip(SKIP_1) | instid1(VALU_DEP_1)
	v_cndmask_b32_e64 v20, 0x7f800000, v20, s3
	v_cmp_nlt_f32_e64 s3, 0x42b17218, v2
	v_cndmask_b32_e64 v21, 0x7f800000, v21, s3
	s_delay_alu instid0(VALU_DEP_1)
	v_cvt_pk_f16_f32 v2, v20, v21
	ds_store_b32 v43, v2
	s_and_saveexec_b32 s3, vcc_lo
	s_cbranch_execz .LBB9_15
; %bb.14:                               ;   in Loop: Header=BB9_11 Depth=1
	v_lshl_add_u64 v[2:3], v[14:15], 2, s[24:25]
	global_load_b128 v[46:49], v[2:3], off offset:128
	s_wait_loadcnt 0x0
	ds_store_b128 v41, v[46:49]
.LBB9_15:                               ;   in Loop: Header=BB9_11 Depth=1
	s_or_b32 exec_lo, exec_lo, s3
	v_lshl_add_u64 v[2:3], v[16:17], 2, s[24:25]
	v_dual_sub_f32 v0, v0, v18 :: v_dual_sub_f32 v1, v1, v19
	v_add_nc_u32_e32 v82, 0x400, v25
	v_add_nc_u32_e32 v83, 0x800, v25
	s_delay_alu instid0(VALU_DEP_4) | instskip(NEXT) | instid1(VALU_DEP_4)
	v_add_nc_u64_e32 v[2:3], v[2:3], v[12:13]
	v_cmp_ngt_f32_e64 s3, 0xc2ce8ed0, v0
	v_add_nc_u32_e32 v84, 0xc00, v25
	v_add_nc_u32_e32 v85, 0x1000, v25
	global_load_b128 v[46:49], v[2:3], off
	s_wait_xcnt 0x0
	v_dual_mul_f32 v2, 0x3fb8aa3b, v0 :: v_dual_mul_f32 v3, 0x3fb8aa3b, v1
	s_delay_alu instid0(VALU_DEP_1) | instskip(SKIP_1) | instid1(VALU_DEP_3)
	v_fma_f32 v45, 0x3fb8aa3b, v0, -v2
	v_rndne_f32_e32 v50, v2
	v_rndne_f32_e32 v52, v3
	v_fma_f32 v51, 0x3fb8aa3b, v1, -v3
	s_delay_alu instid0(VALU_DEP_3) | instskip(NEXT) | instid1(VALU_DEP_3)
	v_dual_fmac_f32 v45, 0x32a5705f, v0 :: v_dual_sub_f32 v2, v2, v50
	v_sub_f32_e32 v3, v3, v52
	s_delay_alu instid0(VALU_DEP_3) | instskip(NEXT) | instid1(VALU_DEP_3)
	v_fmac_f32_e32 v51, 0x32a5705f, v1
	v_add_f32_e32 v2, v2, v45
	v_cvt_i32_f32_e32 v45, v50
	v_cvt_i32_f32_e32 v50, v52
	s_delay_alu instid0(VALU_DEP_3) | instskip(SKIP_1) | instid1(TRANS32_DEP_1)
	v_exp_f32_e32 v2, v2
	v_nop
	v_ldexp_f32 v2, v2, v45
	s_delay_alu instid0(VALU_DEP_1) | instskip(NEXT) | instid1(VALU_DEP_1)
	v_dual_add_f32 v3, v3, v51 :: v_dual_cndmask_b32 v2, 0, v2, s3
	v_exp_f32_e32 v3, v3
	v_cmp_ngt_f32_e64 s3, 0xc2ce8ed0, v1
	s_delay_alu instid0(TRANS32_DEP_1) | instskip(NEXT) | instid1(VALU_DEP_1)
	v_ldexp_f32 v3, v3, v50
	v_cndmask_b32_e64 v3, 0, v3, s3
	v_cmp_nlt_f32_e64 s3, 0x42b17218, v0
	s_delay_alu instid0(VALU_DEP_1) | instskip(SKIP_1) | instid1(VALU_DEP_2)
	v_cndmask_b32_e64 v50, 0x7f800000, v2, s3
	v_cmp_nlt_f32_e64 s3, 0x42b17218, v1
	v_cvt_f16_f32_e32 v45, v50
	s_delay_alu instid0(VALU_DEP_2) | instskip(NEXT) | instid1(VALU_DEP_2)
	v_cndmask_b32_e64 v51, 0x7f800000, v3, s3
	v_and_b32_e32 v45, 0xffff, v45
	s_delay_alu instid0(VALU_DEP_2) | instskip(SKIP_1) | instid1(VALU_DEP_3)
	v_cvt_f16_f32_e32 v52, v51
	v_pk_fma_f32 v[6:7], v[6:7], v[50:51], v[20:21]
	v_mul_u32_u24_e32 v45, 0x10001, v45
	s_delay_alu instid0(VALU_DEP_3) | instskip(NEXT) | instid1(VALU_DEP_2)
	v_and_b32_e32 v52, 0xffff, v52
	v_pk_mul_f16 v21, v44, v45
	s_delay_alu instid0(VALU_DEP_2) | instskip(NEXT) | instid1(VALU_DEP_1)
	v_mul_u32_u24_e32 v20, 0x10001, v52
	v_pk_mul_f16 v27, v27, v20
	s_wait_loadcnt 0x0
	ds_store_b128 v42, v[46:49]
	s_wait_dscnt 0x0
	s_barrier_signal -1
	s_barrier_wait -1
	ds_load_b128 v[0:3], v40
	ds_load_b128 v[46:49], v40 offset:16
	ds_load_2addr_b64 v[50:53], v25 offset1:18
	ds_load_b128 v[54:57], v40 offset:32
	ds_load_b128 v[58:61], v40 offset:48
	ds_load_2addr_b64 v[62:65], v25 offset0:36 offset1:54
	ds_load_b128 v[66:69], v40 offset:64
	ds_load_b128 v[70:73], v40 offset:80
	;; [unrolled: 1-line block ×4, first 2 shown]
	s_wait_dscnt 0x6
	v_dual_lshrrev_b32 v100, 16, v54 :: v_dual_lshrrev_b32 v102, 16, v55
	s_wait_dscnt 0x5
	v_dual_lshrrev_b32 v112, 16, v60 :: v_dual_lshrrev_b32 v114, 16, v61
	v_and_b32_e32 v44, 0xffff, v0
	v_lshrrev_b32_e32 v0, 16, v0
	v_and_b32_e32 v86, 0xffff, v1
	v_dual_lshrrev_b32 v87, 16, v1 :: v_dual_lshrrev_b32 v93, 16, v46
	v_lshrrev_b32_e32 v95, 16, v47
	v_mul_u32_u24_e32 v1, 0x10001, v44
	v_mul_u32_u24_e32 v44, 0x10001, v0
	v_and_b32_e32 v94, 0xffff, v47
	v_and_b32_e32 v88, 0xffff, v2
	v_dual_lshrrev_b32 v89, 16, v2 :: v_dual_lshrrev_b32 v90, 16, v3
	v_pk_mul_f16 v0, v50, v1
	v_pk_mul_f16 v47, v50, v44
	v_and_b32_e32 v91, 0xffff, v3
	v_and_b32_e32 v92, 0xffff, v46
	;; [unrolled: 1-line block ×3, first 2 shown]
	v_dual_lshrrev_b32 v97, 16, v48 :: v_dual_lshrrev_b32 v98, 16, v49
	v_mul_u32_u24_e32 v46, 0x10001, v86
	v_pk_fma_f16 v21, v51, v1, v21
	v_pk_fma_f16 v34, v34, v45, v0
	ds_load_2addr_b64 v[0:3], v25 offset0:72 offset1:90
	v_mul_u32_u24_e32 v48, 0x10001, v87
	v_pk_fma_f16 v27, v51, v44, v27
	v_pk_fma_f16 v20, v26, v20, v47
	;; [unrolled: 1-line block ×4, first 2 shown]
	v_mul_u32_u24_e32 v34, 0x10001, v88
	v_pk_fma_f16 v27, v53, v48, v27
	v_pk_fma_f16 v20, v52, v48, v20
	v_mul_u32_u24_e32 v52, 0x10001, v89
	ds_load_2addr_b64 v[44:47], v25 offset0:108 offset1:126
	v_mul_u32_u24_e32 v53, 0x10001, v91
	s_wait_dscnt 0x6
	v_pk_fma_f16 v21, v63, v34, v21
	v_pk_fma_f16 v26, v62, v34, v26
	v_mul_u32_u24_e32 v34, 0x10001, v90
	v_pk_fma_f16 v27, v63, v52, v27
	v_pk_fma_f16 v20, v62, v52, v20
	v_and_b32_e32 v113, 0xffff, v60
	v_and_b32_e32 v115, 0xffff, v61
	v_pk_fma_f16 v21, v65, v53, v21
	v_pk_fma_f16 v26, v64, v53, v26
	v_mul_u32_u24_e32 v60, 0x10001, v92
	v_mul_u32_u24_e32 v61, 0x10001, v93
	v_pk_fma_f16 v27, v65, v34, v27
	v_pk_fma_f16 v20, v64, v34, v20
	v_and_b32_e32 v99, 0xffff, v49
	ds_load_2addr_b64 v[48:51], v25 offset0:144 offset1:162
	v_mul_u32_u24_e32 v34, 0x10001, v94
	v_mul_u32_u24_e32 v64, 0x10001, v95
	s_wait_dscnt 0x2
	v_pk_fma_f16 v21, v1, v60, v21
	v_pk_fma_f16 v1, v1, v61, v27
	;; [unrolled: 1-line block ×4, first 2 shown]
	v_mul_u32_u24_e32 v20, 0x10001, v96
	v_mul_u32_u24_e32 v27, 0x10001, v97
	v_pk_fma_f16 v21, v3, v34, v21
	v_pk_fma_f16 v65, v3, v64, v1
	;; [unrolled: 1-line block ×4, first 2 shown]
	v_and_b32_e32 v101, 0xffff, v54
	v_and_b32_e32 v103, 0xffff, v55
	v_dual_lshrrev_b32 v120, 16, v68 :: v_dual_lshrrev_b32 v122, 16, v69
	v_and_b32_e32 v121, 0xffff, v68
	v_and_b32_e32 v123, 0xffff, v69
	ds_load_2addr_b64 v[52:55], v25 offset0:180 offset1:198
	v_mul_u32_u24_e32 v68, 0x10001, v99
	v_mul_u32_u24_e32 v69, 0x10001, v98
	s_wait_dscnt 0x2
	v_pk_fma_f16 v21, v45, v20, v21
	v_pk_fma_f16 v45, v45, v27, v65
	;; [unrolled: 1-line block ×4, first 2 shown]
	v_dual_lshrrev_b32 v124, 16, v70 :: v_dual_lshrrev_b32 v126, 16, v71
	v_and_b32_e32 v125, 0xffff, v70
	v_mul_u32_u24_e32 v27, 0x10001, v101
	v_mul_u32_u24_e32 v34, 0x10001, v100
	v_pk_fma_f16 v21, v47, v68, v21
	v_pk_fma_f16 v70, v47, v69, v45
	;; [unrolled: 1-line block ×4, first 2 shown]
	v_dual_lshrrev_b32 v104, 16, v56 :: v_dual_lshrrev_b32 v106, 16, v57
	v_and_b32_e32 v105, 0xffff, v56
	v_and_b32_e32 v107, 0xffff, v57
	v_dual_lshrrev_b32 v108, 16, v58 :: v_dual_lshrrev_b32 v110, 16, v59
	v_and_b32_e32 v109, 0xffff, v58
	v_and_b32_e32 v111, 0xffff, v59
	;; [unrolled: 3-line block ×3, first 2 shown]
	ds_load_2addr_b64 v[56:59], v25 offset0:216 offset1:234
	v_mul_u32_u24_e32 v72, 0x10001, v103
	v_mul_u32_u24_e32 v73, 0x10001, v102
	s_wait_dscnt 0x2
	v_pk_fma_f16 v21, v49, v27, v21
	v_pk_fma_f16 v49, v49, v34, v70
	;; [unrolled: 1-line block ×4, first 2 shown]
	v_dual_lshrrev_b32 v136, 16, v76 :: v_dual_lshrrev_b32 v138, 16, v77
	v_and_b32_e32 v137, 0xffff, v76
	v_mul_u32_u24_e32 v27, 0x10001, v105
	v_pk_fma_f16 v21, v51, v72, v21
	v_pk_fma_f16 v34, v51, v73, v49
	;; [unrolled: 1-line block ×4, first 2 shown]
	v_mul_u32_u24_e32 v76, 0x10001, v104
	v_and_b32_e32 v139, 0xffff, v77
	ds_load_2addr_b64 v[60:63], v82 offset0:124 offset1:142
	s_wait_dscnt 0x2
	v_pk_fma_f16 v21, v53, v27, v21
	v_pk_fma_f16 v20, v52, v27, v20
	v_mul_u32_u24_e32 v27, 0x10001, v107
	v_mul_u32_u24_e32 v77, 0x10001, v106
	v_pk_fma_f16 v34, v53, v76, v34
	v_pk_fma_f16 v26, v52, v76, v26
	v_mul_u32_u24_e32 v52, 0x10001, v109
	v_pk_fma_f16 v21, v55, v27, v21
	v_pk_fma_f16 v20, v54, v27, v20
	;; [unrolled: 1-line block ×4, first 2 shown]
	v_mul_u32_u24_e32 v76, 0x10001, v108
	ds_load_2addr_b64 v[0:3], v83 offset0:32 offset1:50
	v_mul_u32_u24_e32 v77, 0x10001, v111
	s_wait_dscnt 0x2
	v_pk_fma_f16 v21, v57, v52, v21
	v_pk_fma_f16 v20, v56, v52, v20
	;; [unrolled: 1-line block ×4, first 2 shown]
	v_mul_u32_u24_e32 v56, 0x10001, v110
	ds_load_2addr_b64 v[52:55], v84 offset0:120 offset1:138
	v_pk_fma_f16 v21, v59, v77, v21
	v_pk_fma_f16 v20, v58, v77, v20
	v_mul_u32_u24_e32 v57, 0x10001, v113
	v_mul_u32_u24_e32 v84, 0x10001, v112
	v_pk_fma_f16 v34, v59, v56, v34
	v_pk_fma_f16 v26, v58, v56, v26
	v_dual_lshrrev_b32 v116, 16, v66 :: v_dual_lshrrev_b32 v118, 16, v67
	v_and_b32_e32 v117, 0xffff, v66
	v_and_b32_e32 v119, 0xffff, v67
	;; [unrolled: 1-line block ×3, first 2 shown]
	v_dual_lshrrev_b32 v132, 16, v74 :: v_dual_lshrrev_b32 v134, 16, v75
	v_and_b32_e32 v133, 0xffff, v74
	v_and_b32_e32 v135, 0xffff, v75
	ds_load_2addr_b64 v[64:67], v83 offset0:68 offset1:86
	ds_load_2addr_b64 v[44:47], v83 offset0:104 offset1:122
	;; [unrolled: 1-line block ×5, first 2 shown]
	v_dual_lshrrev_b32 v82, 16, v78 :: v_dual_lshrrev_b32 v83, 16, v79
	v_and_b32_e32 v27, 0xffff, v78
	v_and_b32_e32 v86, 0xffff, v79
	ds_load_2addr_b64 v[76:79], v85 offset0:28 offset1:46
	v_mul_u32_u24_e32 v85, 0x10001, v115
	v_mul_u32_u24_e32 v89, 0x10001, v114
	s_wait_dscnt 0x8
	v_pk_fma_f16 v21, v61, v57, v21
	v_pk_fma_f16 v34, v61, v84, v34
	v_pk_fma_f16 v20, v60, v57, v20
	v_pk_fma_f16 v26, v60, v84, v26
	v_mul_u32_u24_e32 v90, 0x10001, v117
	v_mul_u32_u24_e32 v91, 0x10001, v116
	v_pk_fma_f16 v21, v63, v85, v21
	v_pk_fma_f16 v34, v63, v89, v34
	v_pk_fma_f16 v20, v62, v85, v20
	v_pk_fma_f16 v26, v62, v89, v26
	v_mul_u32_u24_e32 v92, 0x10001, v119
	v_mul_u32_u24_e32 v93, 0x10001, v118
	s_wait_dscnt 0x7
	v_pk_fma_f16 v21, v1, v90, v21
	v_pk_fma_f16 v1, v1, v91, v34
	v_pk_fma_f16 v20, v0, v90, v20
	v_pk_fma_f16 v0, v0, v91, v26
	v_mul_u32_u24_e32 v94, 0x10001, v121
	v_mul_u32_u24_e32 v95, 0x10001, v120
	v_pk_fma_f16 v21, v3, v92, v21
	v_pk_fma_f16 v1, v3, v93, v1
	v_pk_fma_f16 v3, v2, v92, v20
	v_pk_fma_f16 v0, v2, v93, v0
	;; [unrolled: 13-line block ×6, first 2 shown]
	v_mul_u32_u24_e32 v44, 0x10001, v139
	v_mul_u32_u24_e32 v45, 0x10001, v138
	s_wait_dscnt 0x1
	v_pk_fma_f16 v20, v73, v21, v20
	v_pk_fma_f16 v1, v73, v34, v1
	v_pk_fma_f16 v3, v72, v21, v3
	v_pk_fma_f16 v0, v72, v34, v0
	s_wait_dscnt 0x0
	s_barrier_signal -1
	s_barrier_wait -1
	s_load_b32 s3, s[20:21], 0x4
	v_mul_u32_u24_e32 v27, 0x10001, v27
	v_mul_u32_u24_e32 v46, 0x10001, v82
	v_pk_fma_f16 v20, v75, v44, v20
	v_pk_fma_f16 v1, v75, v45, v1
	;; [unrolled: 1-line block ×4, first 2 shown]
	v_dual_lshrrev_b32 v87, 16, v80 :: v_dual_lshrrev_b32 v88, 16, v81
	v_and_b32_e32 v80, 0xffff, v80
	v_mul_u32_u24_e32 v47, 0x10001, v86
	v_mul_u32_u24_e32 v2, 0x10001, v83
	v_pk_fma_f16 v20, v53, v27, v20
	v_pk_fma_f16 v1, v53, v46, v1
	v_pk_fma_f16 v3, v52, v27, v3
	v_pk_fma_f16 v0, v52, v46, v0
	v_and_b32_e32 v81, 0xffff, v81
	v_mul_u32_u24_e32 v21, 0x10001, v80
	v_mul_u32_u24_e32 v26, 0x10001, v87
	v_pk_fma_f16 v20, v55, v47, v20
	v_pk_fma_f16 v1, v55, v2, v1
	;; [unrolled: 1-line block ×4, first 2 shown]
	v_mul_u32_u24_e32 v34, 0x10001, v81
	v_mul_u32_u24_e32 v2, 0x10001, v88
	v_pk_fma_f16 v20, v77, v21, v20
	v_pk_fma_f16 v1, v77, v26, v1
	;; [unrolled: 1-line block ×4, first 2 shown]
	s_wait_kmcnt 0x0
	s_lshl_b32 s3, s3, 5
	v_pk_fma_f16 v44, v79, v34, v20
	v_pk_fma_f16 v27, v79, v2, v1
	;; [unrolled: 1-line block ×4, first 2 shown]
	s_add_co_i32 s4, s3, s4
	s_delay_alu instid0(SALU_CYCLE_1)
	s_cmp_ge_i32 s4, s30
	s_cbranch_scc1 .LBB9_17
; %bb.16:                               ;   in Loop: Header=BB9_11 Depth=1
	v_dual_mov_b32 v0, v18 :: v_dual_mov_b32 v1, v19
	s_branch .LBB9_11
.LBB9_17:
	v_mov_b32_e32 v1, v5
.LBB9_18:
	v_cmp_lt_i32_e32 vcc_lo, v33, v28
	s_cmp_lg_u64 s[12:13], 0
	s_cselect_b32 s3, -1, 0
	s_cmp_eq_u32 s33, 0
	v_cndmask_b32_e32 v0, v1, v33, vcc_lo
	v_cmp_lt_i32_e32 vcc_lo, v32, v28
	s_cselect_b32 s4, -1, 0
	s_delay_alu instid0(SALU_CYCLE_1) | instskip(NEXT) | instid1(VALU_DEP_2)
	s_and_b32 s3, s4, s3
	v_lshlrev_b32_e32 v0, 2, v0
	ds_bpermute_b32 v2, v0, v6
	ds_bpermute_b32 v3, v0, v7
	v_cndmask_b32_e32 v0, v1, v32, vcc_lo
	v_cmp_lt_i32_e32 vcc_lo, v31, v28
	s_delay_alu instid0(VALU_DEP_2)
	v_lshlrev_b32_e32 v0, 2, v0
	s_wait_dscnt 0x0
	v_pk_add_f32 v[2:3], v[6:7], v[2:3]
	ds_bpermute_b32 v6, v0, v2
	ds_bpermute_b32 v7, v0, v3
	v_cndmask_b32_e32 v0, v1, v31, vcc_lo
	v_cmp_lt_i32_e32 vcc_lo, v30, v28
	s_delay_alu instid0(VALU_DEP_2)
	v_lshlrev_b32_e32 v0, 2, v0
	s_wait_dscnt 0x0
	v_pk_add_f32 v[2:3], v[2:3], v[6:7]
	;; [unrolled: 8-line block ×3, first 2 shown]
	ds_bpermute_b32 v6, v0, v2
	ds_bpermute_b32 v7, v0, v3
	v_cndmask_b32_e32 v0, v1, v29, vcc_lo
	s_and_b32 vcc_lo, exec_lo, s3
	s_delay_alu instid0(VALU_DEP_1)
	v_lshlrev_b32_e32 v5, 2, v0
	s_wait_dscnt 0x0
	v_pk_add_f32 v[0:1], v[2:3], v[6:7]
	ds_bpermute_b32 v2, v5, v0
	ds_bpermute_b32 v3, v5, v1
	s_wait_dscnt 0x0
	v_pk_add_f32 v[0:1], v[0:1], v[2:3]
	s_cbranch_vccz .LBB9_20
; %bb.19:
	v_dual_max_num_f32 v5, v18, v18 :: v_dual_add_nc_u32 v2, s31, v4
	s_delay_alu instid0(VALU_DEP_1) | instskip(NEXT) | instid1(VALU_DEP_1)
	v_ashrrev_i32_e32 v3, 31, v2
	v_lshl_add_u64 v[2:3], v[2:3], 2, s[12:13]
	global_load_b64 v[2:3], v[2:3], off
	s_wait_loadcnt 0x0
	v_dual_max_num_f32 v6, v2, v2 :: v_dual_max_num_f32 v7, v19, v19
	s_delay_alu instid0(VALU_DEP_1) | instskip(NEXT) | instid1(VALU_DEP_1)
	v_dual_max_num_f32 v6, v5, v6 :: v_dual_max_num_f32 v8, v3, v3
	v_dual_sub_f32 v5, v18, v6 :: v_dual_max_num_f32 v7, v7, v8
	v_sub_f32_e32 v8, v2, v6
	s_delay_alu instid0(VALU_DEP_2) | instskip(NEXT) | instid1(VALU_DEP_2)
	v_dual_mul_f32 v2, 0x3fb8aa3b, v5 :: v_dual_sub_f32 v9, v19, v7
	v_dual_sub_f32 v10, v3, v7 :: v_dual_mul_f32 v3, 0x3fb8aa3b, v8
	v_cmp_ngt_f32_e32 vcc_lo, 0xc2ce8ed0, v5
	s_delay_alu instid0(VALU_DEP_3) | instskip(NEXT) | instid1(VALU_DEP_3)
	v_fma_f32 v13, 0x3fb8aa3b, v5, -v2
	v_dual_mul_f32 v11, 0x3fb8aa3b, v9 :: v_dual_mul_f32 v12, 0x3fb8aa3b, v10
	v_rndne_f32_e32 v14, v2
	v_rndne_f32_e32 v16, v3
	s_delay_alu instid0(VALU_DEP_4) | instskip(NEXT) | instid1(VALU_DEP_4)
	v_fmac_f32_e32 v13, 0x32a5705f, v5
	v_rndne_f32_e32 v18, v11
	v_fma_f32 v17, 0x3fb8aa3b, v9, -v11
	v_sub_f32_e32 v2, v2, v14
	v_cvt_i32_f32_e32 v14, v14
	v_rndne_f32_e32 v20, v12
	v_sub_f32_e32 v11, v11, v18
	v_fmac_f32_e32 v17, 0x32a5705f, v9
	v_add_f32_e32 v2, v2, v13
	v_fma_f32 v15, 0x3fb8aa3b, v8, -v3
	v_fma_f32 v19, 0x3fb8aa3b, v10, -v12
	v_sub_f32_e32 v12, v12, v20
	v_cvt_i32_f32_e32 v13, v16
	v_exp_f32_e32 v2, v2
	s_delay_alu instid0(VALU_DEP_3) | instskip(NEXT) | instid1(VALU_DEP_1)
	v_fmac_f32_e32 v19, 0x32a5705f, v10
	v_dual_fmac_f32 v15, 0x32a5705f, v8 :: v_dual_add_f32 v12, v12, v19
	s_delay_alu instid0(TRANS32_DEP_1) | instskip(SKIP_2) | instid1(VALU_DEP_4)
	v_ldexp_f32 v2, v2, v14
	v_sub_f32_e32 v3, v3, v16
	v_cvt_i32_f32_e32 v16, v20
	v_exp_f32_e32 v12, v12
	s_delay_alu instid0(VALU_DEP_3) | instskip(NEXT) | instid1(VALU_DEP_3)
	v_dual_cndmask_b32 v2, 0, v2 :: v_dual_add_f32 v11, v11, v17
	v_add_f32_e32 v3, v3, v15
	v_cvt_i32_f32_e32 v15, v18
	v_cmp_ngt_f32_e32 vcc_lo, 0xc2ce8ed0, v9
	v_mov_b64_e32 v[18:19], v[6:7]
	v_exp_f32_e32 v11, v11
	v_exp_f32_e32 v3, v3
	s_delay_alu instid0(TRANS32_DEP_2) | instskip(NEXT) | instid1(VALU_DEP_1)
	v_ldexp_f32 v11, v11, v15
	v_cndmask_b32_e32 v11, 0, v11, vcc_lo
	v_cmp_nlt_f32_e32 vcc_lo, 0x42b17218, v5
	s_delay_alu instid0(TRANS32_DEP_1)
	v_ldexp_f32 v5, v3, v13
	v_cndmask_b32_e32 v2, 0x7f800000, v2, vcc_lo
	v_cmp_nlt_f32_e32 vcc_lo, 0x42b17218, v9
	v_ldexp_f32 v9, v12, v16
	v_cndmask_b32_e32 v3, 0x7f800000, v11, vcc_lo
	v_cmp_ngt_f32_e32 vcc_lo, 0xc2ce8ed0, v8
	v_cvt_f16_f32_e32 v11, v2
	s_delay_alu instid0(VALU_DEP_3) | instskip(SKIP_2) | instid1(VALU_DEP_4)
	v_cvt_f16_f32_e32 v12, v3
	v_cndmask_b32_e32 v5, 0, v5, vcc_lo
	v_cmp_ngt_f32_e32 vcc_lo, 0xc2ce8ed0, v10
	v_and_b32_e32 v11, 0xffff, v11
	v_cndmask_b32_e32 v9, 0, v9, vcc_lo
	v_cmp_nlt_f32_e32 vcc_lo, 0x42b17218, v8
	v_cndmask_b32_e32 v8, 0x7f800000, v5, vcc_lo
	v_and_b32_e32 v5, 0xffff, v12
	v_cmp_nlt_f32_e32 vcc_lo, 0x42b17218, v10
	v_mul_u32_u24_e32 v10, 0x10001, v11
	s_delay_alu instid0(VALU_DEP_3) | instskip(SKIP_1) | instid1(VALU_DEP_3)
	v_mul_u32_u24_e32 v5, 0x10001, v5
	v_cndmask_b32_e32 v9, 0x7f800000, v9, vcc_lo
	v_pk_mul_f16 v34, v34, v10
	v_pk_mul_f16 v44, v44, v10
	s_delay_alu instid0(VALU_DEP_4) | instskip(NEXT) | instid1(VALU_DEP_4)
	v_pk_mul_f16 v26, v26, v5
	v_pk_fma_f32 v[0:1], v[0:1], v[2:3], v[8:9]
	v_pk_mul_f16 v27, v27, v5
.LBB9_20:
	s_mov_b32 s3, exec_lo
	v_cmpx_gt_i32_e64 s22, v24
	s_cbranch_execz .LBB9_30
; %bb.21:
	s_load_b32 s0, s[0:1], 0xd4
	v_mov_b32_e32 v2, 1.0
	s_wait_kmcnt 0x0
	s_cmp_lg_u32 s0, 1
	s_cselect_b32 s3, -1, 0
	s_cmp_eq_u32 s0, 1
	s_cselect_b32 s1, -1, 0
	s_and_b32 vcc_lo, exec_lo, s3
	s_cbranch_vccnz .LBB9_23
; %bb.22:
	v_div_scale_f32 v2, null, v0, v0, 1.0
	s_delay_alu instid0(VALU_DEP_1) | instskip(SKIP_1) | instid1(TRANS32_DEP_1)
	v_rcp_f32_e32 v3, v2
	v_nop
	v_fma_f32 v5, -v2, v3, 1.0
	s_delay_alu instid0(VALU_DEP_1) | instskip(SKIP_1) | instid1(VALU_DEP_1)
	v_fmac_f32_e32 v3, v5, v3
	v_div_scale_f32 v5, vcc_lo, 1.0, v0, 1.0
	v_mul_f32_e32 v6, v5, v3
	s_delay_alu instid0(VALU_DEP_1) | instskip(NEXT) | instid1(VALU_DEP_1)
	v_fma_f32 v7, -v2, v6, v5
	v_fmac_f32_e32 v6, v7, v3
	s_delay_alu instid0(VALU_DEP_1) | instskip(NEXT) | instid1(VALU_DEP_1)
	v_fma_f32 v2, -v2, v6, v5
	v_div_fmas_f32 v2, v2, v3, v6
	s_delay_alu instid0(VALU_DEP_1)
	v_div_fixup_f32 v2, v2, v0, 1.0
.LBB9_23:
	v_mad_u32 v3, s28, s22, v24
	v_add_nc_u32_e32 v4, s31, v4
	s_delay_alu instid0(VALU_DEP_1) | instskip(NEXT) | instid1(VALU_DEP_1)
	v_mad_u32 v3, v3, s23, v4
	v_mul_lo_u32 v3, s0, v3
	s_delay_alu instid0(VALU_DEP_1)
	v_add_nc_u32_e32 v4, s33, v3
	s_and_saveexec_b32 s4, s2
	s_cbranch_execz .LBB9_25
; %bb.24:
	s_delay_alu instid0(VALU_DEP_1) | instskip(SKIP_4) | instid1(VALU_DEP_4)
	v_mad_u32 v8, 0x48, v4, v22
	v_dual_lshrrev_b32 v5, 16, v34 :: v_dual_lshrrev_b32 v11, 16, v44
	v_mov_b32_e32 v9, 0
	v_cvt_f32_f16_e32 v6, v34
	v_cvt_f32_f16_e32 v10, v44
	;; [unrolled: 1-line block ×4, first 2 shown]
	s_delay_alu instid0(VALU_DEP_2) | instskip(SKIP_1) | instid1(VALU_DEP_3)
	v_pk_mul_f32 v[6:7], v[2:3], v[6:7] op_sel_hi:[0,1]
	v_lshl_add_u64 v[12:13], v[8:9], 2, s[16:17]
	v_pk_mul_f32 v[8:9], v[2:3], v[10:11] op_sel_hi:[0,1]
	global_store_b128 v[12:13], v[6:9], off
.LBB9_25:
	s_wait_xcnt 0x0
	s_or_b32 exec_lo, exec_lo, s4
	v_cmp_eq_u32_e32 vcc_lo, 0, v23
	s_and_b32 s3, vcc_lo, s3
	s_delay_alu instid0(SALU_CYCLE_1)
	s_and_saveexec_b32 s4, s3
	s_cbranch_execnz .LBB9_31
; %bb.26:
	s_or_b32 exec_lo, exec_lo, s4
	v_mov_b32_e32 v0, 1.0
	s_and_not1_b32 vcc_lo, exec_lo, s1
	s_cbranch_vccz .LBB9_32
.LBB9_27:
	v_add3_u32 v2, s33, s0, v3
	s_and_saveexec_b32 s0, s2
	s_cbranch_execnz .LBB9_33
.LBB9_28:
	s_or_b32 exec_lo, exec_lo, s0
	s_delay_alu instid0(SALU_CYCLE_1)
	s_and_b32 exec_lo, exec_lo, s3
	s_cbranch_execz .LBB9_30
.LBB9_29:
	v_mov_b32_e32 v0, v19
	global_store_b64 v2, v[0:1], s[18:19] scale_offset
.LBB9_30:
	s_sendmsg sendmsg(MSG_DEALLOC_VGPRS)
	s_endpgm
.LBB9_31:
	v_dual_mov_b32 v6, v18 :: v_dual_mov_b32 v7, v0
	global_store_b64 v4, v[6:7], s[18:19] scale_offset
	s_wait_xcnt 0x0
	s_or_b32 exec_lo, exec_lo, s4
	v_mov_b32_e32 v0, 1.0
	s_and_not1_b32 vcc_lo, exec_lo, s1
	s_cbranch_vccnz .LBB9_27
.LBB9_32:
	v_div_scale_f32 v0, null, v1, v1, 1.0
	s_delay_alu instid0(VALU_DEP_1) | instskip(SKIP_1) | instid1(TRANS32_DEP_1)
	v_rcp_f32_e32 v2, v0
	v_nop
	v_fma_f32 v4, -v0, v2, 1.0
	s_delay_alu instid0(VALU_DEP_1) | instskip(SKIP_1) | instid1(VALU_DEP_1)
	v_fmac_f32_e32 v2, v4, v2
	v_div_scale_f32 v4, vcc_lo, 1.0, v1, 1.0
	v_mul_f32_e32 v5, v4, v2
	s_delay_alu instid0(VALU_DEP_1) | instskip(NEXT) | instid1(VALU_DEP_1)
	v_fma_f32 v6, -v0, v5, v4
	v_fmac_f32_e32 v5, v6, v2
	s_delay_alu instid0(VALU_DEP_1) | instskip(NEXT) | instid1(VALU_DEP_1)
	v_fma_f32 v0, -v0, v5, v4
	v_div_fmas_f32 v0, v0, v2, v5
	s_delay_alu instid0(VALU_DEP_1)
	v_div_fixup_f32 v0, v0, v1, 1.0
	v_add3_u32 v2, s33, s0, v3
	s_and_saveexec_b32 s0, s2
	s_cbranch_execz .LBB9_28
.LBB9_33:
	s_delay_alu instid0(VALU_DEP_1) | instskip(SKIP_4) | instid1(VALU_DEP_4)
	v_mad_u32 v6, 0x48, v2, v22
	v_dual_lshrrev_b32 v3, 16, v26 :: v_dual_lshrrev_b32 v9, 16, v27
	v_mov_b32_e32 v7, 0
	v_cvt_f32_f16_e32 v4, v26
	v_cvt_f32_f16_e32 v8, v27
	;; [unrolled: 1-line block ×4, first 2 shown]
	s_delay_alu instid0(VALU_DEP_2) | instskip(SKIP_1) | instid1(VALU_DEP_3)
	v_pk_mul_f32 v[4:5], v[0:1], v[4:5] op_sel_hi:[0,1]
	v_lshl_add_u64 v[10:11], v[6:7], 2, s[16:17]
	v_pk_mul_f32 v[6:7], v[0:1], v[8:9] op_sel_hi:[0,1]
	global_store_b128 v[10:11], v[4:7], off
	s_wait_xcnt 0x0
	s_or_b32 exec_lo, exec_lo, s0
	s_delay_alu instid0(SALU_CYCLE_1)
	s_and_b32 exec_lo, exec_lo, s3
	s_cbranch_execnz .LBB9_29
	s_branch .LBB9_30
	.section	.rodata,"a",@progbits
	.p2align	6, 0x0
	.amdhsa_kernel _ZL15flash_attn_tileILi72ELi72ELi2ELi8ELb0EEvPKcS1_S1_S1_S1_PKiPfP15HIP_vector_typeIfLj2EEffffjfiS5_IjLj3EEiiiiiiiiiiiliiliiiiil
		.amdhsa_group_segment_fixed_size 8672
		.amdhsa_private_segment_fixed_size 0
		.amdhsa_kernarg_size 464
		.amdhsa_user_sgpr_count 2
		.amdhsa_user_sgpr_dispatch_ptr 0
		.amdhsa_user_sgpr_queue_ptr 0
		.amdhsa_user_sgpr_kernarg_segment_ptr 1
		.amdhsa_user_sgpr_dispatch_id 0
		.amdhsa_user_sgpr_kernarg_preload_length 0
		.amdhsa_user_sgpr_kernarg_preload_offset 0
		.amdhsa_user_sgpr_private_segment_size 0
		.amdhsa_wavefront_size32 1
		.amdhsa_uses_dynamic_stack 0
		.amdhsa_enable_private_segment 0
		.amdhsa_system_sgpr_workgroup_id_x 1
		.amdhsa_system_sgpr_workgroup_id_y 1
		.amdhsa_system_sgpr_workgroup_id_z 1
		.amdhsa_system_sgpr_workgroup_info 0
		.amdhsa_system_vgpr_workitem_id 1
		.amdhsa_next_free_vgpr 140
		.amdhsa_next_free_sgpr 42
		.amdhsa_named_barrier_count 0
		.amdhsa_reserve_vcc 1
		.amdhsa_float_round_mode_32 0
		.amdhsa_float_round_mode_16_64 0
		.amdhsa_float_denorm_mode_32 3
		.amdhsa_float_denorm_mode_16_64 3
		.amdhsa_fp16_overflow 0
		.amdhsa_memory_ordered 1
		.amdhsa_forward_progress 1
		.amdhsa_inst_pref_size 56
		.amdhsa_round_robin_scheduling 0
		.amdhsa_exception_fp_ieee_invalid_op 0
		.amdhsa_exception_fp_denorm_src 0
		.amdhsa_exception_fp_ieee_div_zero 0
		.amdhsa_exception_fp_ieee_overflow 0
		.amdhsa_exception_fp_ieee_underflow 0
		.amdhsa_exception_fp_ieee_inexact 0
		.amdhsa_exception_int_div_zero 0
	.end_amdhsa_kernel
	.section	.text._ZL15flash_attn_tileILi72ELi72ELi2ELi8ELb0EEvPKcS1_S1_S1_S1_PKiPfP15HIP_vector_typeIfLj2EEffffjfiS5_IjLj3EEiiiiiiiiiiiliiliiiiil,"axG",@progbits,_ZL15flash_attn_tileILi72ELi72ELi2ELi8ELb0EEvPKcS1_S1_S1_S1_PKiPfP15HIP_vector_typeIfLj2EEffffjfiS5_IjLj3EEiiiiiiiiiiiliiliiiiil,comdat
.Lfunc_end9:
	.size	_ZL15flash_attn_tileILi72ELi72ELi2ELi8ELb0EEvPKcS1_S1_S1_S1_PKiPfP15HIP_vector_typeIfLj2EEffffjfiS5_IjLj3EEiiiiiiiiiiiliiliiiiil, .Lfunc_end9-_ZL15flash_attn_tileILi72ELi72ELi2ELi8ELb0EEvPKcS1_S1_S1_S1_PKiPfP15HIP_vector_typeIfLj2EEffffjfiS5_IjLj3EEiiiiiiiiiiiliiliiiiil
                                        ; -- End function
	.set _ZL15flash_attn_tileILi72ELi72ELi2ELi8ELb0EEvPKcS1_S1_S1_S1_PKiPfP15HIP_vector_typeIfLj2EEffffjfiS5_IjLj3EEiiiiiiiiiiiliiliiiiil.num_vgpr, 140
	.set _ZL15flash_attn_tileILi72ELi72ELi2ELi8ELb0EEvPKcS1_S1_S1_S1_PKiPfP15HIP_vector_typeIfLj2EEffffjfiS5_IjLj3EEiiiiiiiiiiiliiliiiiil.num_agpr, 0
	.set _ZL15flash_attn_tileILi72ELi72ELi2ELi8ELb0EEvPKcS1_S1_S1_S1_PKiPfP15HIP_vector_typeIfLj2EEffffjfiS5_IjLj3EEiiiiiiiiiiiliiliiiiil.numbered_sgpr, 42
	.set _ZL15flash_attn_tileILi72ELi72ELi2ELi8ELb0EEvPKcS1_S1_S1_S1_PKiPfP15HIP_vector_typeIfLj2EEffffjfiS5_IjLj3EEiiiiiiiiiiiliiliiiiil.num_named_barrier, 0
	.set _ZL15flash_attn_tileILi72ELi72ELi2ELi8ELb0EEvPKcS1_S1_S1_S1_PKiPfP15HIP_vector_typeIfLj2EEffffjfiS5_IjLj3EEiiiiiiiiiiiliiliiiiil.private_seg_size, 0
	.set _ZL15flash_attn_tileILi72ELi72ELi2ELi8ELb0EEvPKcS1_S1_S1_S1_PKiPfP15HIP_vector_typeIfLj2EEffffjfiS5_IjLj3EEiiiiiiiiiiiliiliiiiil.uses_vcc, 1
	.set _ZL15flash_attn_tileILi72ELi72ELi2ELi8ELb0EEvPKcS1_S1_S1_S1_PKiPfP15HIP_vector_typeIfLj2EEffffjfiS5_IjLj3EEiiiiiiiiiiiliiliiiiil.uses_flat_scratch, 0
	.set _ZL15flash_attn_tileILi72ELi72ELi2ELi8ELb0EEvPKcS1_S1_S1_S1_PKiPfP15HIP_vector_typeIfLj2EEffffjfiS5_IjLj3EEiiiiiiiiiiiliiliiiiil.has_dyn_sized_stack, 0
	.set _ZL15flash_attn_tileILi72ELi72ELi2ELi8ELb0EEvPKcS1_S1_S1_S1_PKiPfP15HIP_vector_typeIfLj2EEffffjfiS5_IjLj3EEiiiiiiiiiiiliiliiiiil.has_recursion, 0
	.set _ZL15flash_attn_tileILi72ELi72ELi2ELi8ELb0EEvPKcS1_S1_S1_S1_PKiPfP15HIP_vector_typeIfLj2EEffffjfiS5_IjLj3EEiiiiiiiiiiiliiliiiiil.has_indirect_call, 0
	.section	.AMDGPU.csdata,"",@progbits
; Kernel info:
; codeLenInByte = 7136
; TotalNumSgprs: 44
; NumVgprs: 140
; ScratchSize: 0
; MemoryBound: 0
; FloatMode: 240
; IeeeMode: 1
; LDSByteSize: 8672 bytes/workgroup (compile time only)
; SGPRBlocks: 0
; VGPRBlocks: 8
; NumSGPRsForWavesPerEU: 44
; NumVGPRsForWavesPerEU: 140
; NamedBarCnt: 0
; Occupancy: 7
; WaveLimiterHint : 1
; COMPUTE_PGM_RSRC2:SCRATCH_EN: 0
; COMPUTE_PGM_RSRC2:USER_SGPR: 2
; COMPUTE_PGM_RSRC2:TRAP_HANDLER: 0
; COMPUTE_PGM_RSRC2:TGID_X_EN: 1
; COMPUTE_PGM_RSRC2:TGID_Y_EN: 1
; COMPUTE_PGM_RSRC2:TGID_Z_EN: 1
; COMPUTE_PGM_RSRC2:TIDIG_COMP_CNT: 1
	.section	.text._ZL25flash_attn_mask_to_KV_maxILi2EEvPK7__half2Piiii,"axG",@progbits,_ZL25flash_attn_mask_to_KV_maxILi2EEvPK7__half2Piiii,comdat
	.globl	_ZL25flash_attn_mask_to_KV_maxILi2EEvPK7__half2Piiii ; -- Begin function _ZL25flash_attn_mask_to_KV_maxILi2EEvPK7__half2Piiii
	.p2align	8
	.type	_ZL25flash_attn_mask_to_KV_maxILi2EEvPK7__half2Piiii,@function
_ZL25flash_attn_mask_to_KV_maxILi2EEvPK7__half2Piiii: ; @_ZL25flash_attn_mask_to_KV_maxILi2EEvPK7__half2Piiii
; %bb.0:
	s_load_b128 s[4:7], s[0:1], 0x0
	s_mov_b32 s2, exec_lo
	v_cmpx_gt_u32_e32 32, v0
; %bb.1:
	v_dual_mov_b32 v2, 1 :: v_dual_lshlrev_b32 v1, 2, v0
	ds_store_b32 v1, v2
; %bb.2:
	s_or_b32 exec_lo, exec_lo, s2
	s_clause 0x1
	s_load_b96 s[8:10], s[0:1], 0x10
	s_load_b32 s11, s[0:1], 0x20
	s_wait_xcnt 0x0
	s_bfe_u32 s1, ttmp6, 0x4000c
	s_bfe_u32 s2, ttmp6, 0x40010
	s_add_co_i32 s1, s1, 1
	s_add_co_i32 s2, s2, 1
	s_and_b32 s0, ttmp6, 15
	s_bfe_u32 s3, ttmp6, 0x40004
	s_mul_i32 s1, ttmp9, s1
	s_mul_i32 s2, ttmp7, s2
	s_getreg_b32 s12, hwreg(HW_REG_IB_STS2, 6, 4)
	s_add_co_i32 s0, s0, s1
	s_add_co_i32 s3, s3, s2
	s_cmp_eq_u32 s12, 0
	v_dual_lshrrev_b32 v1, 3, v0 :: v_dual_bitop2_b32 v2, 31, v0 bitop3:0x40
	s_cselect_b32 s1, ttmp9, s0
	s_cselect_b32 s12, ttmp7, s3
	s_wait_dscnt 0x0
	s_barrier_signal -1
	s_wait_kmcnt 0x0
	s_mul_i32 s0, s1, s9
	s_mul_i32 s2, s10, s12
	s_lshl_b32 s0, s0, 1
	s_barrier_wait -1
	s_add_co_i32 s2, s2, s0
	v_cmp_eq_u32_e64 s0, 0, v2
	s_ashr_i32 s3, s2, 31
	v_lshlrev_b32_e32 v2, 2, v2
	s_lshl_b64 s[2:3], s[2:3], 2
	s_delay_alu instid0(SALU_CYCLE_1)
	s_add_nc_u64 s[2:3], s[4:5], s[2:3]
	s_lshl_b32 s5, s8, 8
	s_branch .LBB10_4
.LBB10_3:                               ;   in Loop: Header=BB10_4 Depth=1
	s_or_b32 exec_lo, exec_lo, s8
	s_wait_dscnt 0x0
	s_barrier_signal -1
	s_barrier_wait -1
	ds_load_b32 v3, v2
	s_wait_dscnt 0x0
	s_barrier_signal -1
	s_barrier_wait -1
	v_cmp_ne_u32_e32 vcc_lo, 0, v3
	s_cmp_lg_u32 vcc_lo, exec_lo
	s_cselect_b32 s8, -1, 0
	s_delay_alu instid0(SALU_CYCLE_1)
	s_and_b32 vcc_lo, exec_lo, s8
	s_cbranch_vccnz .LBB10_12
.LBB10_4:                               ; =>This Inner Loop Header: Depth=1
	s_mov_b32 s4, s5
	s_addk_co_i32 s5, 0xff00
	s_delay_alu instid0(SALU_CYCLE_1)
	s_cmp_lt_i32 s5, 0
	s_cbranch_scc1 .LBB10_11
; %bb.5:                                ;   in Loop: Header=BB10_4 Depth=1
	s_lshr_b32 s8, s5, 1
	s_delay_alu instid0(SALU_CYCLE_1) | instskip(SKIP_4) | instid1(VALU_DEP_2)
	v_add_nc_u32_e32 v3, s8, v0
	global_load_b32 v4, v3, s[2:3] scale_offset
	s_wait_loadcnt 0x0
	v_lshrrev_b32_e32 v5, 16, v4
	v_cmp_class_f16_e64 s8, v4, 0x204
	v_cmp_class_f16_e64 s10, v5, 0x204
	s_and_b32 s13, s8, s10
	s_mov_b32 s10, 0
	s_and_saveexec_b32 s8, s13
	s_cbranch_execz .LBB10_9
; %bb.6:                                ;   in Loop: Header=BB10_4 Depth=1
	v_add_nc_u32_e32 v3, s9, v3
	global_load_b32 v3, v3, s[2:3] scale_offset
	s_wait_loadcnt 0x0
	v_cmp_class_f16_e64 s14, v3, 0x204
	s_and_saveexec_b32 s13, s14
; %bb.7:                                ;   in Loop: Header=BB10_4 Depth=1
	v_lshrrev_b32_e32 v3, 16, v3
	s_delay_alu instid0(VALU_DEP_1)
	v_cmp_class_f16_e64 s10, v3, 0x204
	s_and_b32 s10, s10, exec_lo
; %bb.8:                                ;   in Loop: Header=BB10_4 Depth=1
	s_or_b32 exec_lo, exec_lo, s13
	s_delay_alu instid0(SALU_CYCLE_1)
	s_and_b32 s10, s10, exec_lo
.LBB10_9:                               ;   in Loop: Header=BB10_4 Depth=1
	s_or_b32 exec_lo, exec_lo, s8
	v_cndmask_b32_e64 v3, 0, 1, s10
	s_mov_b32 s13, exec_lo
	s_delay_alu instid0(VALU_DEP_1)
	v_cmp_ne_u32_e32 vcc_lo, 0, v3
	s_and_saveexec_b32 s8, s0
	s_cbranch_execz .LBB10_3
; %bb.10:                               ;   in Loop: Header=BB10_4 Depth=1
	s_cmp_eq_u32 vcc_lo, s13
	s_cselect_b32 s10, -1, 0
	s_delay_alu instid0(SALU_CYCLE_1)
	v_cndmask_b32_e64 v3, 0, 1, s10
	ds_store_b32 v1, v3
	s_branch .LBB10_3
.LBB10_11:                              ;   in Loop: Header=BB10_4 Depth=1
	s_cbranch_execz .LBB10_4
.LBB10_12:
	s_mov_b32 s0, exec_lo
	v_cmpx_eq_u32_e32 0, v0
	s_cbranch_execz .LBB10_14
; %bb.13:
	s_mul_i32 s0, s11, s12
	v_mov_b32_e32 v1, s4
	s_add_co_i32 s0, s0, s1
	s_delay_alu instid0(SALU_CYCLE_1)
	v_mov_b32_e32 v0, s0
	global_store_b32 v0, v1, s[6:7] scale_offset
.LBB10_14:
	s_endpgm
	.section	.rodata,"a",@progbits
	.p2align	6, 0x0
	.amdhsa_kernel _ZL25flash_attn_mask_to_KV_maxILi2EEvPK7__half2Piiii
		.amdhsa_group_segment_fixed_size 128
		.amdhsa_private_segment_fixed_size 0
		.amdhsa_kernarg_size 288
		.amdhsa_user_sgpr_count 2
		.amdhsa_user_sgpr_dispatch_ptr 0
		.amdhsa_user_sgpr_queue_ptr 0
		.amdhsa_user_sgpr_kernarg_segment_ptr 1
		.amdhsa_user_sgpr_dispatch_id 0
		.amdhsa_user_sgpr_kernarg_preload_length 0
		.amdhsa_user_sgpr_kernarg_preload_offset 0
		.amdhsa_user_sgpr_private_segment_size 0
		.amdhsa_wavefront_size32 1
		.amdhsa_uses_dynamic_stack 0
		.amdhsa_enable_private_segment 0
		.amdhsa_system_sgpr_workgroup_id_x 1
		.amdhsa_system_sgpr_workgroup_id_y 1
		.amdhsa_system_sgpr_workgroup_id_z 0
		.amdhsa_system_sgpr_workgroup_info 0
		.amdhsa_system_vgpr_workitem_id 0
		.amdhsa_next_free_vgpr 6
		.amdhsa_next_free_sgpr 15
		.amdhsa_named_barrier_count 0
		.amdhsa_reserve_vcc 1
		.amdhsa_float_round_mode_32 0
		.amdhsa_float_round_mode_16_64 0
		.amdhsa_float_denorm_mode_32 3
		.amdhsa_float_denorm_mode_16_64 3
		.amdhsa_fp16_overflow 0
		.amdhsa_memory_ordered 1
		.amdhsa_forward_progress 1
		.amdhsa_inst_pref_size 5
		.amdhsa_round_robin_scheduling 0
		.amdhsa_exception_fp_ieee_invalid_op 0
		.amdhsa_exception_fp_denorm_src 0
		.amdhsa_exception_fp_ieee_div_zero 0
		.amdhsa_exception_fp_ieee_overflow 0
		.amdhsa_exception_fp_ieee_underflow 0
		.amdhsa_exception_fp_ieee_inexact 0
		.amdhsa_exception_int_div_zero 0
	.end_amdhsa_kernel
	.section	.text._ZL25flash_attn_mask_to_KV_maxILi2EEvPK7__half2Piiii,"axG",@progbits,_ZL25flash_attn_mask_to_KV_maxILi2EEvPK7__half2Piiii,comdat
.Lfunc_end10:
	.size	_ZL25flash_attn_mask_to_KV_maxILi2EEvPK7__half2Piiii, .Lfunc_end10-_ZL25flash_attn_mask_to_KV_maxILi2EEvPK7__half2Piiii
                                        ; -- End function
	.set _ZL25flash_attn_mask_to_KV_maxILi2EEvPK7__half2Piiii.num_vgpr, 6
	.set _ZL25flash_attn_mask_to_KV_maxILi2EEvPK7__half2Piiii.num_agpr, 0
	.set _ZL25flash_attn_mask_to_KV_maxILi2EEvPK7__half2Piiii.numbered_sgpr, 15
	.set _ZL25flash_attn_mask_to_KV_maxILi2EEvPK7__half2Piiii.num_named_barrier, 0
	.set _ZL25flash_attn_mask_to_KV_maxILi2EEvPK7__half2Piiii.private_seg_size, 0
	.set _ZL25flash_attn_mask_to_KV_maxILi2EEvPK7__half2Piiii.uses_vcc, 1
	.set _ZL25flash_attn_mask_to_KV_maxILi2EEvPK7__half2Piiii.uses_flat_scratch, 0
	.set _ZL25flash_attn_mask_to_KV_maxILi2EEvPK7__half2Piiii.has_dyn_sized_stack, 0
	.set _ZL25flash_attn_mask_to_KV_maxILi2EEvPK7__half2Piiii.has_recursion, 0
	.set _ZL25flash_attn_mask_to_KV_maxILi2EEvPK7__half2Piiii.has_indirect_call, 0
	.section	.AMDGPU.csdata,"",@progbits
; Kernel info:
; codeLenInByte = 548
; TotalNumSgprs: 17
; NumVgprs: 6
; ScratchSize: 0
; MemoryBound: 0
; FloatMode: 240
; IeeeMode: 1
; LDSByteSize: 128 bytes/workgroup (compile time only)
; SGPRBlocks: 0
; VGPRBlocks: 0
; NumSGPRsForWavesPerEU: 17
; NumVGPRsForWavesPerEU: 6
; NamedBarCnt: 0
; Occupancy: 16
; WaveLimiterHint : 0
; COMPUTE_PGM_RSRC2:SCRATCH_EN: 0
; COMPUTE_PGM_RSRC2:USER_SGPR: 2
; COMPUTE_PGM_RSRC2:TRAP_HANDLER: 0
; COMPUTE_PGM_RSRC2:TGID_X_EN: 1
; COMPUTE_PGM_RSRC2:TGID_Y_EN: 1
; COMPUTE_PGM_RSRC2:TGID_Z_EN: 0
; COMPUTE_PGM_RSRC2:TIDIG_COMP_CNT: 0
	.section	.text._ZL33flash_attn_stream_k_fixup_uniformILi72ELi2ELi8EEvPfPK15HIP_vector_typeIfLj2EEiiiiiiS1_IjLj3EES5_S5_,"axG",@progbits,_ZL33flash_attn_stream_k_fixup_uniformILi72ELi2ELi8EEvPfPK15HIP_vector_typeIfLj2EEiiiiiiS1_IjLj3EES5_S5_,comdat
	.globl	_ZL33flash_attn_stream_k_fixup_uniformILi72ELi2ELi8EEvPfPK15HIP_vector_typeIfLj2EEiiiiiiS1_IjLj3EES5_S5_ ; -- Begin function _ZL33flash_attn_stream_k_fixup_uniformILi72ELi2ELi8EEvPfPK15HIP_vector_typeIfLj2EEiiiiiiS1_IjLj3EES5_S5_
	.p2align	8
	.type	_ZL33flash_attn_stream_k_fixup_uniformILi72ELi2ELi8EEvPfPK15HIP_vector_typeIfLj2EEiiiiiiS1_IjLj3EES5_S5_,@function
_ZL33flash_attn_stream_k_fixup_uniformILi72ELi2ELi8EEvPfPK15HIP_vector_typeIfLj2EEiiiiiiS1_IjLj3EES5_S5_: ; @_ZL33flash_attn_stream_k_fixup_uniformILi72ELi2ELi8EEvPfPK15HIP_vector_typeIfLj2EEiiiiiiS1_IjLj3EES5_S5_
; %bb.0:
	s_load_b256 s[4:11], s[0:1], 0x1c
	s_bfe_u32 s2, ttmp6, 0x40014
	s_lshr_b32 s3, ttmp7, 16
	s_add_co_i32 s2, s2, 1
	s_bfe_u32 s13, ttmp6, 0x40010
	s_mul_i32 s2, s3, s2
	s_bfe_u32 s12, ttmp6, 0x40008
	s_and_b32 s15, ttmp7, 0xffff
	s_add_co_i32 s13, s13, 1
	s_bfe_u32 s14, ttmp6, 0x4000c
	s_add_co_i32 s2, s12, s2
	s_mul_i32 s12, s15, s13
	s_bfe_u32 s13, ttmp6, 0x40004
	s_add_co_i32 s14, s14, 1
	s_add_co_i32 s13, s13, s12
	s_and_b32 s12, ttmp6, 15
	s_mul_i32 s14, ttmp9, s14
	s_getreg_b32 s20, hwreg(HW_REG_IB_STS2, 6, 4)
	s_add_co_i32 s12, s12, s14
	s_load_b128 s[16:19], s[0:1], 0x3c
	s_cmp_eq_u32 s20, 0
	s_cselect_b32 s14, ttmp9, s12
	s_cselect_b32 s12, s15, s13
	s_wait_kmcnt 0x0
	s_mul_hi_u32 s7, s7, s14
	s_cselect_b32 s13, s3, s2
	s_add_co_i32 s2, s14, s7
	s_delay_alu instid0(SALU_CYCLE_1) | instskip(NEXT) | instid1(SALU_CYCLE_1)
	s_lshr_b32 s7, s2, s8
	s_mul_i32 s2, s7, s9
	s_delay_alu instid0(SALU_CYCLE_1) | instskip(NEXT) | instid1(SALU_CYCLE_1)
	s_sub_co_i32 s8, s14, s2
	s_mul_hi_u32 s2, s8, s10
	s_delay_alu instid0(SALU_CYCLE_1) | instskip(SKIP_2) | instid1(SALU_CYCLE_1)
	s_add_co_i32 s9, s8, s2
	s_load_b64 s[2:3], s[0:1], 0x10
	s_lshr_b32 s15, s9, s11
	s_mul_i32 s9, s15, s16
	s_delay_alu instid0(SALU_CYCLE_1) | instskip(NEXT) | instid1(SALU_CYCLE_1)
	s_sub_co_i32 s8, s8, s9
	s_mul_hi_u32 s9, s8, s17
	s_delay_alu instid0(SALU_CYCLE_1) | instskip(NEXT) | instid1(SALU_CYCLE_1)
	s_add_co_i32 s9, s8, s9
	s_lshr_b32 s9, s9, s18
	s_delay_alu instid0(SALU_CYCLE_1) | instskip(SKIP_2) | instid1(SALU_CYCLE_1)
	s_mul_i32 s10, s9, s19
	s_lshl_b32 s17, s9, 3
	s_sub_co_i32 s16, s8, s10
	s_lshl_b32 s8, s16, 1
	s_delay_alu instid0(SALU_CYCLE_1) | instskip(SKIP_4) | instid1(SALU_CYCLE_1)
	s_add_co_i32 s8, s8, s12
	s_wait_kmcnt 0x0
	s_cmp_lt_i32 s8, s2
	s_cselect_b32 s8, -1, 0
	s_add_co_i32 s17, s17, s13
	s_cmp_lt_i32 s17, s5
	s_cselect_b32 s9, -1, 0
	s_delay_alu instid0(SALU_CYCLE_1) | instskip(NEXT) | instid1(SALU_CYCLE_1)
	s_and_b32 s8, s8, s9
	s_and_not1_b32 vcc_lo, exec_lo, s8
	s_cbranch_vccnz .LBB11_6
; %bb.1:
	s_load_b128 s[8:11], s[0:1], 0x0
	s_wait_xcnt 0x0
	s_mul_i32 s0, s7, s2
	s_mul_i32 s15, s15, s5
	s_add_co_i32 s0, s0, s12
	s_add_co_i32 s1, s17, s15
	s_mul_i32 s0, s0, s3
	s_mul_i32 s2, s3, s16
	s_add_co_i32 s0, s1, s0
	s_mulk_i32 s2, 0x90
	s_mulk_i32 s0, 0x48
	s_mul_i32 s7, s6, s14
	v_add3_u32 v4, s0, s2, v0
	s_lshl_b32 s5, s12, 3
	s_add_co_i32 s15, s7, s6
	s_add_co_i32 s0, s5, s13
	s_lshl_b32 s1, s15, 4
	v_ashrrev_i32_e32 v5, 31, v4
	s_add_co_i32 s0, s0, s1
	s_add_co_i32 s2, s15, -2
	s_add_co_i32 s0, s0, -16
	s_wait_kmcnt 0x0
	global_load_b32 v3, v4, s[8:9] scale_offset
	s_ashr_i32 s1, s0, 31
	s_delay_alu instid0(SALU_CYCLE_1)
	s_lshl_b64 s[0:1], s[0:1], 3
	s_cmp_lt_i32 s2, s7
	s_add_nc_u64 s[0:1], s[10:11], s[0:1]
	s_load_b32 s16, s[0:1], 0x4
	s_cbranch_scc1 .LBB11_4
; %bb.2:
	s_wait_xcnt 0x0
	s_load_b32 s0, s[0:1], 0x0
	s_add_co_i32 s14, s14, 1
	s_mulk_i32 s12, 0x240
	s_wait_xcnt 0x0
	s_mul_i32 s1, s6, s14
	s_lshl_b32 s2, s4, 6
	s_lshl_b32 s6, s1, 4
	s_mulk_i32 s1, 0x480
	s_add_co_i32 s6, s13, s6
	s_mulk_i32 s13, 0x48
	s_lshl_b32 s4, s4, 4
	s_add_co_i32 s12, s13, s12
	s_ashr_i32 s3, s2, 31
	s_add_co_i32 s12, s12, s1
	s_add_co_i32 s1, s6, s4
	v_add3_u32 v0, s12, v0, 0xfffff700
	s_wait_kmcnt 0x0
	v_mov_b32_e32 v2, s16
	s_lshl_b64 s[2:3], s[2:3], 2
	s_add_co_i32 s4, s1, s5
	s_add_nc_u64 s[2:3], s[10:11], s[2:3]
	s_add_co_i32 s1, s15, -1
	s_sub_co_i32 s4, s4, 32
.LBB11_3:                               ; =>This Inner Loop Header: Depth=1
	global_load_b32 v7, v0, s[2:3] scale_offset
	s_ashr_i32 s5, s4, 31
	v_max_num_f32_e64 v1, s0, s0
	s_lshl_b64 s[12:13], s[4:5], 3
	s_delay_alu instid0(SALU_CYCLE_1) | instskip(SKIP_1) | instid1(VALU_DEP_1)
	s_add_nc_u64 s[12:13], s[10:11], s[12:13]
	s_load_b64 s[12:13], s[12:13], 0x0
	v_readfirstlane_b32 s5, v1
	v_add_nc_u32_e32 v0, 0xfffffb80, v0
	s_wait_kmcnt 0x0
	v_max_num_f32_e64 v1, s12, s12
	s_delay_alu instid0(VALU_DEP_1) | instskip(SKIP_1) | instid1(SALU_CYCLE_3)
	v_readfirstlane_b32 s6, v1
	s_max_num_f32 s5, s5, s6
	s_sub_f32 s0, s0, s5
	s_sub_f32 s6, s12, s5
	s_delay_alu instid0(SALU_CYCLE_2) | instskip(NEXT) | instid1(SALU_CYCLE_2)
	s_mul_f32 s12, s0, 0x3fb8aa3b
	s_mul_f32 s14, s6, 0x3fb8aa3b
	s_delay_alu instid0(SALU_CYCLE_2)
	s_xor_b32 s15, s12, 0x80000000
	s_rndne_f32 s16, s12
	s_fmamk_f32 s15, s0, 0x3fb8aa3b, s15
	s_cmp_nlt_f32 s0, 0xc2ce8ed0
	s_rndne_f32 s17, s14
	s_sub_f32 s12, s12, s16
	s_fmamk_f32 s15, s0, 0x32a5705f, s15
	s_cselect_b32 vcc_lo, -1, 0
	s_cmp_ngt_f32 s0, 0x42b17218
	s_delay_alu instid0(SALU_CYCLE_1) | instskip(SKIP_2) | instid1(SALU_CYCLE_1)
	s_add_f32 s12, s12, s15
	s_cvt_i32_f32 s15, s16
	s_sub_f32 s16, s14, s17
	v_s_exp_f32 s12, s12
	v_nop
	s_delay_alu instid0(TRANS32_DEP_1) | instskip(SKIP_1) | instid1(VALU_DEP_1)
	v_ldexp_f32 v1, s12, s15
	s_cvt_i32_f32 s12, s17
	v_cndmask_b32_e32 v1, 0, v1, vcc_lo
	s_cselect_b32 vcc_lo, -1, 0
	s_cmp_ge_f32 s0, 0xc1a00000
	s_delay_alu instid0(VALU_DEP_1)
	v_cndmask_b32_e32 v1, 0x7f800000, v1, vcc_lo
	s_cselect_b32 vcc_lo, -1, 0
	s_xor_b32 s0, s14, 0x80000000
	s_cmp_nlt_f32 s6, 0xc2ce8ed0
	s_fmamk_f32 s0, s6, 0x3fb8aa3b, s0
	v_cndmask_b32_e32 v10, 0, v1, vcc_lo
	s_delay_alu instid0(SALU_CYCLE_2) | instskip(NEXT) | instid1(SALU_CYCLE_3)
	s_fmamk_f32 s0, s6, 0x32a5705f, s0
	s_add_f32 s0, s16, s0
	s_delay_alu instid0(SALU_CYCLE_3) | instskip(SKIP_1) | instid1(TRANS32_DEP_1)
	v_s_exp_f32 s0, s0
	v_nop
	v_ldexp_f32 v6, s0, s12
	s_cselect_b32 s0, -1, 0
	s_cmp_ngt_f32 s6, 0x42b17218
	s_delay_alu instid0(VALU_DEP_1) | instskip(SKIP_2) | instid1(VALU_DEP_1)
	v_cndmask_b32_e64 v6, 0, v6, s0
	s_cselect_b32 s0, -1, 0
	s_cmp_ge_f32 s6, 0xc1a00000
	v_cndmask_b32_e64 v8, 0x7f800000, v6, s0
	s_cselect_b32 s0, -1, 0
	v_mov_b32_e32 v6, s13
	s_add_co_i32 s1, s1, -1
	s_add_co_i32 s4, s4, -16
	v_cndmask_b32_e64 v8, 0, v8, s0
	s_cmp_le_i32 s1, s7
	s_mov_b32 s0, s5
	s_wait_loadcnt 0x0
	s_delay_alu instid0(VALU_DEP_1) | instskip(NEXT) | instid1(VALU_DEP_1)
	v_pk_mul_f32 v[6:7], v[6:7], v[8:9] op_sel_hi:[1,0]
	v_pk_fma_f32 v[2:3], v[2:3], v[10:11], v[6:7] op_sel_hi:[1,0,1]
	s_cbranch_scc0 .LBB11_3
	s_branch .LBB11_5
.LBB11_4:
	s_wait_kmcnt 0x0
	v_mov_b32_e32 v2, s16
.LBB11_5:
	v_lshl_add_u64 v[0:1], v[4:5], 2, s[8:9]
	s_wait_loadcnt 0x0
	s_delay_alu instid0(VALU_DEP_2) | instskip(NEXT) | instid1(VALU_DEP_1)
	v_div_scale_f32 v4, null, v2, v2, v3
	v_rcp_f32_e32 v5, v4
	v_nop
	s_delay_alu instid0(TRANS32_DEP_1) | instskip(NEXT) | instid1(VALU_DEP_1)
	v_fma_f32 v6, -v4, v5, 1.0
	v_fmac_f32_e32 v5, v6, v5
	v_div_scale_f32 v6, vcc_lo, v3, v2, v3
	s_delay_alu instid0(VALU_DEP_1) | instskip(NEXT) | instid1(VALU_DEP_1)
	v_mul_f32_e32 v7, v6, v5
	v_fma_f32 v8, -v4, v7, v6
	s_delay_alu instid0(VALU_DEP_1) | instskip(NEXT) | instid1(VALU_DEP_1)
	v_fmac_f32_e32 v7, v8, v5
	v_fma_f32 v4, -v4, v7, v6
	s_delay_alu instid0(VALU_DEP_1) | instskip(NEXT) | instid1(VALU_DEP_1)
	v_div_fmas_f32 v4, v4, v5, v7
	v_div_fixup_f32 v2, v4, v2, v3
	global_store_b32 v[0:1], v2, off
.LBB11_6:
	s_endpgm
	.section	.rodata,"a",@progbits
	.p2align	6, 0x0
	.amdhsa_kernel _ZL33flash_attn_stream_k_fixup_uniformILi72ELi2ELi8EEvPfPK15HIP_vector_typeIfLj2EEiiiiiiS1_IjLj3EES5_S5_
		.amdhsa_group_segment_fixed_size 0
		.amdhsa_private_segment_fixed_size 0
		.amdhsa_kernarg_size 76
		.amdhsa_user_sgpr_count 2
		.amdhsa_user_sgpr_dispatch_ptr 0
		.amdhsa_user_sgpr_queue_ptr 0
		.amdhsa_user_sgpr_kernarg_segment_ptr 1
		.amdhsa_user_sgpr_dispatch_id 0
		.amdhsa_user_sgpr_kernarg_preload_length 0
		.amdhsa_user_sgpr_kernarg_preload_offset 0
		.amdhsa_user_sgpr_private_segment_size 0
		.amdhsa_wavefront_size32 1
		.amdhsa_uses_dynamic_stack 0
		.amdhsa_enable_private_segment 0
		.amdhsa_system_sgpr_workgroup_id_x 1
		.amdhsa_system_sgpr_workgroup_id_y 1
		.amdhsa_system_sgpr_workgroup_id_z 1
		.amdhsa_system_sgpr_workgroup_info 0
		.amdhsa_system_vgpr_workitem_id 0
		.amdhsa_next_free_vgpr 12
		.amdhsa_next_free_sgpr 21
		.amdhsa_named_barrier_count 0
		.amdhsa_reserve_vcc 1
		.amdhsa_float_round_mode_32 0
		.amdhsa_float_round_mode_16_64 0
		.amdhsa_float_denorm_mode_32 3
		.amdhsa_float_denorm_mode_16_64 3
		.amdhsa_fp16_overflow 0
		.amdhsa_memory_ordered 1
		.amdhsa_forward_progress 1
		.amdhsa_inst_pref_size 9
		.amdhsa_round_robin_scheduling 0
		.amdhsa_exception_fp_ieee_invalid_op 0
		.amdhsa_exception_fp_denorm_src 0
		.amdhsa_exception_fp_ieee_div_zero 0
		.amdhsa_exception_fp_ieee_overflow 0
		.amdhsa_exception_fp_ieee_underflow 0
		.amdhsa_exception_fp_ieee_inexact 0
		.amdhsa_exception_int_div_zero 0
	.end_amdhsa_kernel
	.section	.text._ZL33flash_attn_stream_k_fixup_uniformILi72ELi2ELi8EEvPfPK15HIP_vector_typeIfLj2EEiiiiiiS1_IjLj3EES5_S5_,"axG",@progbits,_ZL33flash_attn_stream_k_fixup_uniformILi72ELi2ELi8EEvPfPK15HIP_vector_typeIfLj2EEiiiiiiS1_IjLj3EES5_S5_,comdat
.Lfunc_end11:
	.size	_ZL33flash_attn_stream_k_fixup_uniformILi72ELi2ELi8EEvPfPK15HIP_vector_typeIfLj2EEiiiiiiS1_IjLj3EES5_S5_, .Lfunc_end11-_ZL33flash_attn_stream_k_fixup_uniformILi72ELi2ELi8EEvPfPK15HIP_vector_typeIfLj2EEiiiiiiS1_IjLj3EES5_S5_
                                        ; -- End function
	.set _ZL33flash_attn_stream_k_fixup_uniformILi72ELi2ELi8EEvPfPK15HIP_vector_typeIfLj2EEiiiiiiS1_IjLj3EES5_S5_.num_vgpr, 12
	.set _ZL33flash_attn_stream_k_fixup_uniformILi72ELi2ELi8EEvPfPK15HIP_vector_typeIfLj2EEiiiiiiS1_IjLj3EES5_S5_.num_agpr, 0
	.set _ZL33flash_attn_stream_k_fixup_uniformILi72ELi2ELi8EEvPfPK15HIP_vector_typeIfLj2EEiiiiiiS1_IjLj3EES5_S5_.numbered_sgpr, 21
	.set _ZL33flash_attn_stream_k_fixup_uniformILi72ELi2ELi8EEvPfPK15HIP_vector_typeIfLj2EEiiiiiiS1_IjLj3EES5_S5_.num_named_barrier, 0
	.set _ZL33flash_attn_stream_k_fixup_uniformILi72ELi2ELi8EEvPfPK15HIP_vector_typeIfLj2EEiiiiiiS1_IjLj3EES5_S5_.private_seg_size, 0
	.set _ZL33flash_attn_stream_k_fixup_uniformILi72ELi2ELi8EEvPfPK15HIP_vector_typeIfLj2EEiiiiiiS1_IjLj3EES5_S5_.uses_vcc, 1
	.set _ZL33flash_attn_stream_k_fixup_uniformILi72ELi2ELi8EEvPfPK15HIP_vector_typeIfLj2EEiiiiiiS1_IjLj3EES5_S5_.uses_flat_scratch, 0
	.set _ZL33flash_attn_stream_k_fixup_uniformILi72ELi2ELi8EEvPfPK15HIP_vector_typeIfLj2EEiiiiiiS1_IjLj3EES5_S5_.has_dyn_sized_stack, 0
	.set _ZL33flash_attn_stream_k_fixup_uniformILi72ELi2ELi8EEvPfPK15HIP_vector_typeIfLj2EEiiiiiiS1_IjLj3EES5_S5_.has_recursion, 0
	.set _ZL33flash_attn_stream_k_fixup_uniformILi72ELi2ELi8EEvPfPK15HIP_vector_typeIfLj2EEiiiiiiS1_IjLj3EES5_S5_.has_indirect_call, 0
	.section	.AMDGPU.csdata,"",@progbits
; Kernel info:
; codeLenInByte = 1084
; TotalNumSgprs: 23
; NumVgprs: 12
; ScratchSize: 0
; MemoryBound: 0
; FloatMode: 240
; IeeeMode: 1
; LDSByteSize: 0 bytes/workgroup (compile time only)
; SGPRBlocks: 0
; VGPRBlocks: 0
; NumSGPRsForWavesPerEU: 23
; NumVGPRsForWavesPerEU: 12
; NamedBarCnt: 0
; Occupancy: 16
; WaveLimiterHint : 0
; COMPUTE_PGM_RSRC2:SCRATCH_EN: 0
; COMPUTE_PGM_RSRC2:USER_SGPR: 2
; COMPUTE_PGM_RSRC2:TRAP_HANDLER: 0
; COMPUTE_PGM_RSRC2:TGID_X_EN: 1
; COMPUTE_PGM_RSRC2:TGID_Y_EN: 1
; COMPUTE_PGM_RSRC2:TGID_Z_EN: 1
; COMPUTE_PGM_RSRC2:TIDIG_COMP_CNT: 0
	.section	.text._ZL33flash_attn_stream_k_fixup_generalILi72ELi2ELi8EEvPfPK15HIP_vector_typeIfLj2EEiiiiS1_IjLj3EES5_S5_S5_,"axG",@progbits,_ZL33flash_attn_stream_k_fixup_generalILi72ELi2ELi8EEvPfPK15HIP_vector_typeIfLj2EEiiiiS1_IjLj3EES5_S5_S5_,comdat
	.globl	_ZL33flash_attn_stream_k_fixup_generalILi72ELi2ELi8EEvPfPK15HIP_vector_typeIfLj2EEiiiiS1_IjLj3EES5_S5_S5_ ; -- Begin function _ZL33flash_attn_stream_k_fixup_generalILi72ELi2ELi8EEvPfPK15HIP_vector_typeIfLj2EEiiiiS1_IjLj3EES5_S5_S5_
	.p2align	8
	.type	_ZL33flash_attn_stream_k_fixup_generalILi72ELi2ELi8EEvPfPK15HIP_vector_typeIfLj2EEiiiiS1_IjLj3EES5_S5_S5_,@function
_ZL33flash_attn_stream_k_fixup_generalILi72ELi2ELi8EEvPfPK15HIP_vector_typeIfLj2EEiiiiS1_IjLj3EES5_S5_S5_: ; @_ZL33flash_attn_stream_k_fixup_generalILi72ELi2ELi8EEvPfPK15HIP_vector_typeIfLj2EEiiiiS1_IjLj3EES5_S5_S5_
; %bb.0:
	s_clause 0x1
	s_load_b128 s[4:7], s[0:1], 0x10
	s_load_b32 s16, s[0:1], 0x50
	s_bfe_u32 s2, ttmp6, 0x4000c
	s_and_b32 s3, ttmp6, 15
	s_add_co_i32 s2, s2, 1
	s_getreg_b32 s15, hwreg(HW_REG_IB_STS2, 6, 4)
	s_mul_i32 s2, ttmp9, s2
	s_mov_b32 s17, 0
	s_add_co_i32 s3, s3, s2
	s_cmp_eq_u32 s15, 0
	s_cselect_b32 s2, ttmp9, s3
	s_delay_alu instid0(SALU_CYCLE_1) | instskip(SKIP_3) | instid1(SALU_CYCLE_1)
	s_ashr_i32 s3, s2, 31
	s_wait_kmcnt 0x0
	s_ashr_i32 s19, s7, 31
	s_mov_b32 s18, s7
	s_mul_u64 s[8:9], s[18:19], s[2:3]
	s_delay_alu instid0(SALU_CYCLE_1) | instskip(NEXT) | instid1(SALU_CYCLE_1)
	s_and_b64 s[10:11], s[8:9], 0xffffffff00000000
	s_cmp_lg_u64 s[10:11], 0
	s_cbranch_scc0 .LBB12_21
; %bb.1:
	s_add_nc_u64 s[10:11], s[16:17], 0
	s_mov_b32 s23, s17
	s_xor_b64 s[10:11], s[10:11], 0
	s_mov_b32 s27, s17
	s_cvt_f32_u32 s3, s10
	s_cvt_f32_u32 s7, s11
	s_sub_nc_u64 s[20:21], 0, s[10:11]
	s_delay_alu instid0(SALU_CYCLE_2) | instskip(NEXT) | instid1(SALU_CYCLE_3)
	s_fmamk_f32 s3, s7, 0x4f800000, s3
	v_s_rcp_f32 s3, s3
	s_delay_alu instid0(TRANS32_DEP_1) | instskip(NEXT) | instid1(SALU_CYCLE_3)
	s_mul_f32 s3, s3, 0x5f7ffffc
	s_mul_f32 s7, s3, 0x2f800000
	s_delay_alu instid0(SALU_CYCLE_3) | instskip(NEXT) | instid1(SALU_CYCLE_3)
	s_trunc_f32 s7, s7
	s_fmamk_f32 s3, s7, 0xcf800000, s3
	s_cvt_u32_f32 s13, s7
	s_delay_alu instid0(SALU_CYCLE_2) | instskip(NEXT) | instid1(SALU_CYCLE_3)
	s_cvt_u32_f32 s12, s3
	s_mul_u64 s[24:25], s[20:21], s[12:13]
	s_delay_alu instid0(SALU_CYCLE_1)
	s_mul_hi_u32 s29, s12, s25
	s_mul_i32 s28, s12, s25
	s_mul_hi_u32 s22, s12, s24
	s_mul_i32 s7, s13, s24
	s_add_nc_u64 s[22:23], s[22:23], s[28:29]
	s_mul_hi_u32 s3, s13, s24
	s_mul_hi_u32 s14, s13, s25
	s_add_co_u32 s7, s22, s7
	s_add_co_ci_u32 s26, s23, s3
	s_mul_i32 s24, s13, s25
	s_add_co_ci_u32 s25, s14, 0
	s_delay_alu instid0(SALU_CYCLE_1) | instskip(SKIP_3) | instid1(SALU_CYCLE_1)
	s_add_nc_u64 s[22:23], s[26:27], s[24:25]
	s_mov_b32 s25, s17
	s_add_co_u32 s12, s12, s22
	s_cselect_b32 s3, -1, 0
	s_cmp_lg_u32 s3, 0
	s_add_co_ci_u32 s13, s13, s23
	s_mov_b32 s23, s17
	s_mul_u64 s[20:21], s[20:21], s[12:13]
	s_delay_alu instid0(SALU_CYCLE_1)
	s_mul_hi_u32 s27, s12, s21
	s_mul_i32 s26, s12, s21
	s_mul_hi_u32 s22, s12, s20
	s_mul_i32 s7, s13, s20
	s_add_nc_u64 s[22:23], s[22:23], s[26:27]
	s_mul_hi_u32 s3, s13, s20
	s_mul_hi_u32 s14, s13, s21
	s_add_co_u32 s7, s22, s7
	s_add_co_ci_u32 s24, s23, s3
	s_mul_i32 s20, s13, s21
	s_add_co_ci_u32 s21, s14, 0
	s_mov_b32 s23, s17
	s_add_nc_u64 s[20:21], s[24:25], s[20:21]
	s_delay_alu instid0(SALU_CYCLE_1) | instskip(SKIP_1) | instid1(SALU_CYCLE_1)
	s_add_co_u32 s3, s12, s20
	s_cselect_b32 s7, -1, 0
	s_cmp_lg_u32 s7, 0
	s_add_co_ci_u32 s7, s13, s21
	s_ashr_i32 s12, s9, 31
	s_delay_alu instid0(SALU_CYCLE_1) | instskip(NEXT) | instid1(SALU_CYCLE_1)
	s_mov_b32 s13, s12
	s_add_nc_u64 s[20:21], s[8:9], s[12:13]
	s_delay_alu instid0(SALU_CYCLE_1) | instskip(NEXT) | instid1(SALU_CYCLE_1)
	s_xor_b64 s[20:21], s[20:21], s[12:13]
	s_mul_hi_u32 s27, s20, s7
	s_mul_i32 s26, s20, s7
	s_mul_hi_u32 s22, s20, s3
	s_mul_hi_u32 s14, s21, s3
	s_mul_i32 s3, s21, s3
	s_add_nc_u64 s[22:23], s[22:23], s[26:27]
	s_mul_hi_u32 s9, s21, s7
	s_add_co_u32 s3, s22, s3
	s_add_co_ci_u32 s24, s23, s14
	s_mul_i32 s26, s21, s7
	s_add_co_ci_u32 s27, s9, 0
	s_delay_alu instid0(SALU_CYCLE_1) | instskip(NEXT) | instid1(SALU_CYCLE_1)
	s_add_nc_u64 s[22:23], s[24:25], s[26:27]
	s_and_b64 s[24:25], s[22:23], 0xffffffff00000000
	s_delay_alu instid0(SALU_CYCLE_1) | instskip(NEXT) | instid1(SALU_CYCLE_1)
	s_or_b32 s24, s24, s22
	s_mul_u64 s[22:23], s[10:11], s[24:25]
	s_add_nc_u64 s[26:27], s[24:25], 1
	s_sub_co_u32 s3, s20, s22
	s_cselect_b32 s7, -1, 0
	s_sub_co_i32 s9, s21, s23
	s_cmp_lg_u32 s7, 0
	s_add_nc_u64 s[28:29], s[24:25], 2
	s_sub_co_ci_u32 s9, s9, s11
	s_sub_co_u32 s14, s3, s10
	s_cselect_b32 s20, -1, 0
	s_delay_alu instid0(SALU_CYCLE_1) | instskip(SKIP_1) | instid1(SALU_CYCLE_1)
	s_cmp_lg_u32 s20, 0
	s_sub_co_ci_u32 s9, s9, 0
	s_cmp_ge_u32 s9, s11
	s_cselect_b32 s20, -1, 0
	s_cmp_ge_u32 s14, s10
	s_cselect_b32 s14, -1, 0
	s_cmp_eq_u32 s9, s11
	s_cselect_b32 s9, s14, s20
	s_delay_alu instid0(SALU_CYCLE_1) | instskip(SKIP_4) | instid1(SALU_CYCLE_1)
	s_cmp_lg_u32 s9, 0
	s_cselect_b32 s9, s28, s26
	s_cselect_b32 s14, s29, s27
	s_cmp_lg_u32 s7, 0
	s_sub_co_ci_u32 s7, s21, s23
	s_cmp_ge_u32 s7, s11
	s_cselect_b32 s20, -1, 0
	s_cmp_ge_u32 s3, s10
	s_cselect_b32 s3, -1, 0
	s_cmp_eq_u32 s7, s11
	s_cselect_b32 s3, s3, s20
	s_delay_alu instid0(SALU_CYCLE_1) | instskip(SKIP_4) | instid1(SALU_CYCLE_1)
	s_cmp_lg_u32 s3, 0
	s_mov_b32 s3, s17
	s_cselect_b32 s11, s14, s25
	s_cselect_b32 s10, s9, s24
	s_xor_b64 s[12:13], s[12:13], 0
	s_xor_b64 s[10:11], s[10:11], s[12:13]
	s_delay_alu instid0(SALU_CYCLE_1)
	s_sub_nc_u64 s[20:21], s[10:11], s[12:13]
	s_and_not1_b32 vcc_lo, exec_lo, s3
	s_cbranch_vccnz .LBB12_3
.LBB12_2:
	v_cvt_f32_u32_e32 v1, s16
	s_sub_co_i32 s7, 0, s16
	s_mov_b32 s21, 0
	s_delay_alu instid0(VALU_DEP_1) | instskip(SKIP_1) | instid1(TRANS32_DEP_1)
	v_rcp_iflag_f32_e32 v1, v1
	v_nop
	v_mul_f32_e32 v1, 0x4f7ffffe, v1
	s_delay_alu instid0(VALU_DEP_1) | instskip(NEXT) | instid1(VALU_DEP_1)
	v_cvt_u32_f32_e32 v1, v1
	v_readfirstlane_b32 s3, v1
	s_mul_i32 s7, s7, s3
	s_delay_alu instid0(SALU_CYCLE_1) | instskip(NEXT) | instid1(SALU_CYCLE_1)
	s_mul_hi_u32 s7, s3, s7
	s_add_co_i32 s3, s3, s7
	s_delay_alu instid0(SALU_CYCLE_1) | instskip(NEXT) | instid1(SALU_CYCLE_1)
	s_mul_hi_u32 s3, s8, s3
	s_mul_i32 s7, s3, s16
	s_delay_alu instid0(SALU_CYCLE_1)
	s_sub_co_i32 s7, s8, s7
	s_add_co_i32 s8, s3, 1
	s_sub_co_i32 s9, s7, s16
	s_cmp_ge_u32 s7, s16
	s_cselect_b32 s3, s8, s3
	s_cselect_b32 s7, s9, s7
	s_add_co_i32 s8, s3, 1
	s_cmp_ge_u32 s7, s16
	s_cselect_b32 s20, s8, s3
.LBB12_3:
	s_add_co_i32 s8, s2, 1
	s_delay_alu instid0(SALU_CYCLE_1) | instskip(NEXT) | instid1(SALU_CYCLE_1)
	s_ashr_i32 s9, s8, 31
	s_mul_u64 s[8:9], s[18:19], s[8:9]
	s_delay_alu instid0(SALU_CYCLE_1) | instskip(NEXT) | instid1(SALU_CYCLE_1)
	s_and_b64 s[10:11], s[8:9], 0xffffffff00000000
	s_cmp_lg_u64 s[10:11], 0
	s_cbranch_scc0 .LBB12_22
; %bb.4:
	s_add_nc_u64 s[10:11], s[16:17], 0
	s_delay_alu instid0(SALU_CYCLE_1) | instskip(SKIP_4) | instid1(SALU_CYCLE_2)
	s_xor_b64 s[12:13], s[10:11], 0
	s_mov_b32 s11, 0
	s_cvt_f32_u32 s3, s12
	s_cvt_f32_u32 s7, s13
	s_sub_nc_u64 s[24:25], 0, s[12:13]
	s_fmamk_f32 s3, s7, 0x4f800000, s3
	s_delay_alu instid0(SALU_CYCLE_3) | instskip(NEXT) | instid1(TRANS32_DEP_1)
	v_s_rcp_f32 s3, s3
	s_mul_f32 s3, s3, 0x5f7ffffc
	s_delay_alu instid0(SALU_CYCLE_3) | instskip(NEXT) | instid1(SALU_CYCLE_3)
	s_mul_f32 s7, s3, 0x2f800000
	s_trunc_f32 s7, s7
	s_delay_alu instid0(SALU_CYCLE_3) | instskip(SKIP_1) | instid1(SALU_CYCLE_2)
	s_fmamk_f32 s3, s7, 0xcf800000, s3
	s_cvt_u32_f32 s23, s7
	s_cvt_u32_f32 s22, s3
	s_delay_alu instid0(SALU_CYCLE_3) | instskip(NEXT) | instid1(SALU_CYCLE_1)
	s_mul_u64 s[26:27], s[24:25], s[22:23]
	s_mul_hi_u32 s29, s22, s27
	s_mul_i32 s28, s22, s27
	s_mul_hi_u32 s10, s22, s26
	s_mul_i32 s7, s23, s26
	s_add_nc_u64 s[28:29], s[10:11], s[28:29]
	s_mul_hi_u32 s3, s23, s26
	s_mul_hi_u32 s14, s23, s27
	s_add_co_u32 s7, s28, s7
	s_add_co_ci_u32 s10, s29, s3
	s_mul_i32 s26, s23, s27
	s_add_co_ci_u32 s27, s14, 0
	s_delay_alu instid0(SALU_CYCLE_1) | instskip(NEXT) | instid1(SALU_CYCLE_1)
	s_add_nc_u64 s[26:27], s[10:11], s[26:27]
	s_add_co_u32 s22, s22, s26
	s_cselect_b32 s3, -1, 0
	s_delay_alu instid0(SALU_CYCLE_1) | instskip(SKIP_1) | instid1(SALU_CYCLE_1)
	s_cmp_lg_u32 s3, 0
	s_add_co_ci_u32 s23, s23, s27
	s_mul_u64 s[24:25], s[24:25], s[22:23]
	s_delay_alu instid0(SALU_CYCLE_1)
	s_mul_hi_u32 s27, s22, s25
	s_mul_i32 s26, s22, s25
	s_mul_hi_u32 s10, s22, s24
	s_mul_i32 s7, s23, s24
	s_add_nc_u64 s[26:27], s[10:11], s[26:27]
	s_mul_hi_u32 s3, s23, s24
	s_mul_hi_u32 s14, s23, s25
	s_add_co_u32 s7, s26, s7
	s_add_co_ci_u32 s10, s27, s3
	s_mul_i32 s24, s23, s25
	s_add_co_ci_u32 s25, s14, 0
	s_delay_alu instid0(SALU_CYCLE_1) | instskip(NEXT) | instid1(SALU_CYCLE_1)
	s_add_nc_u64 s[24:25], s[10:11], s[24:25]
	s_add_co_u32 s3, s22, s24
	s_cselect_b32 s7, -1, 0
	s_delay_alu instid0(SALU_CYCLE_1) | instskip(SKIP_2) | instid1(SALU_CYCLE_1)
	s_cmp_lg_u32 s7, 0
	s_add_co_ci_u32 s7, s23, s25
	s_ashr_i32 s22, s9, 31
	s_mov_b32 s23, s22
	s_delay_alu instid0(SALU_CYCLE_1) | instskip(NEXT) | instid1(SALU_CYCLE_1)
	s_add_nc_u64 s[24:25], s[8:9], s[22:23]
	s_xor_b64 s[24:25], s[24:25], s[22:23]
	s_delay_alu instid0(SALU_CYCLE_1)
	s_mul_hi_u32 s27, s24, s7
	s_mul_i32 s26, s24, s7
	s_mul_hi_u32 s10, s24, s3
	s_mul_hi_u32 s14, s25, s3
	s_mul_i32 s3, s25, s3
	s_add_nc_u64 s[26:27], s[10:11], s[26:27]
	s_mul_hi_u32 s9, s25, s7
	s_add_co_u32 s3, s26, s3
	s_add_co_ci_u32 s10, s27, s14
	s_mul_i32 s28, s25, s7
	s_add_co_ci_u32 s29, s9, 0
	s_delay_alu instid0(SALU_CYCLE_1) | instskip(NEXT) | instid1(SALU_CYCLE_1)
	s_add_nc_u64 s[26:27], s[10:11], s[28:29]
	s_and_b64 s[28:29], s[26:27], 0xffffffff00000000
	s_delay_alu instid0(SALU_CYCLE_1) | instskip(NEXT) | instid1(SALU_CYCLE_1)
	s_or_b32 s28, s28, s26
	s_mul_u64 s[26:27], s[12:13], s[28:29]
	s_add_nc_u64 s[30:31], s[28:29], 1
	s_sub_co_u32 s3, s24, s26
	s_cselect_b32 s7, -1, 0
	s_sub_co_i32 s9, s25, s27
	s_cmp_lg_u32 s7, 0
	s_add_nc_u64 s[34:35], s[28:29], 2
	s_sub_co_ci_u32 s9, s9, s13
	s_sub_co_u32 s10, s3, s12
	s_cselect_b32 s14, -1, 0
	s_delay_alu instid0(SALU_CYCLE_1) | instskip(SKIP_1) | instid1(SALU_CYCLE_1)
	s_cmp_lg_u32 s14, 0
	s_sub_co_ci_u32 s9, s9, 0
	s_cmp_ge_u32 s9, s13
	s_cselect_b32 s14, -1, 0
	s_cmp_ge_u32 s10, s12
	s_cselect_b32 s10, -1, 0
	s_cmp_eq_u32 s9, s13
	s_cselect_b32 s9, s10, s14
	s_delay_alu instid0(SALU_CYCLE_1) | instskip(SKIP_4) | instid1(SALU_CYCLE_1)
	s_cmp_lg_u32 s9, 0
	s_cselect_b32 s9, s34, s30
	s_cselect_b32 s10, s35, s31
	s_cmp_lg_u32 s7, 0
	s_sub_co_ci_u32 s7, s25, s27
	s_cmp_ge_u32 s7, s13
	s_cselect_b32 s14, -1, 0
	s_cmp_ge_u32 s3, s12
	s_cselect_b32 s3, -1, 0
	s_cmp_eq_u32 s7, s13
	s_cselect_b32 s3, s3, s14
	s_delay_alu instid0(SALU_CYCLE_1) | instskip(SKIP_3) | instid1(SALU_CYCLE_1)
	s_cmp_lg_u32 s3, 0
	s_cselect_b32 s13, s10, s29
	s_cselect_b32 s12, s9, s28
	s_xor_b64 s[22:23], s[22:23], 0
	s_xor_b64 s[12:13], s[12:13], s[22:23]
	s_delay_alu instid0(SALU_CYCLE_1)
	s_sub_nc_u64 s[24:25], s[12:13], s[22:23]
	s_load_b96 s[12:14], s[0:1], 0x44
	s_cbranch_execnz .LBB12_6
.LBB12_5:
	v_cvt_f32_u32_e32 v1, s16
	s_sub_co_i32 s7, 0, s16
	s_delay_alu instid0(VALU_DEP_1) | instskip(SKIP_1) | instid1(TRANS32_DEP_1)
	v_rcp_iflag_f32_e32 v1, v1
	v_nop
	v_mul_f32_e32 v1, 0x4f7ffffe, v1
	s_delay_alu instid0(VALU_DEP_1) | instskip(NEXT) | instid1(VALU_DEP_1)
	v_cvt_u32_f32_e32 v1, v1
	v_readfirstlane_b32 s3, v1
	s_mul_i32 s7, s7, s3
	s_delay_alu instid0(SALU_CYCLE_1) | instskip(NEXT) | instid1(SALU_CYCLE_1)
	s_mul_hi_u32 s7, s3, s7
	s_add_co_i32 s3, s3, s7
	s_delay_alu instid0(SALU_CYCLE_1) | instskip(NEXT) | instid1(SALU_CYCLE_1)
	s_mul_hi_u32 s3, s8, s3
	s_mul_i32 s7, s3, s16
	s_delay_alu instid0(SALU_CYCLE_1)
	s_sub_co_i32 s7, s8, s7
	s_add_co_i32 s8, s3, 1
	s_sub_co_i32 s9, s7, s16
	s_cmp_ge_u32 s7, s16
	s_cselect_b32 s3, s8, s3
	s_cselect_b32 s7, s9, s7
	s_add_co_i32 s8, s3, 1
	s_cmp_ge_u32 s7, s16
	s_cselect_b32 s24, s8, s3
.LBB12_6:
	s_delay_alu instid0(SALU_CYCLE_1)
	s_cmp_eq_u32 s20, s24
	s_mov_b64 s[8:9], 0xffffffff
	s_cselect_b32 s3, -1, 0
	s_and_b64 s[8:9], s[20:21], s[8:9]
	s_mov_b32 s23, 0
	s_wait_kmcnt 0x0
	s_mov_b32 s22, s12
	s_mov_b32 s25, s23
	s_mul_u64 s[10:11], s[8:9], s[22:23]
	s_delay_alu instid0(SALU_CYCLE_1) | instskip(SKIP_2) | instid1(SALU_CYCLE_1)
	s_add_co_i32 s7, s11, s20
	s_mul_u64 s[10:11], s[24:25], s[22:23]
	s_lshr_b32 s12, s7, s13
	s_mul_i32 s7, s12, s14
	s_delay_alu instid0(SALU_CYCLE_1) | instskip(SKIP_2) | instid1(SALU_CYCLE_1)
	s_cmp_eq_u32 s7, s20
	s_cselect_b32 s7, -1, 0
	s_add_co_i32 s10, s11, s24
	s_lshr_b32 s10, s10, s13
	s_delay_alu instid0(SALU_CYCLE_1)
	s_cmp_eq_u32 s12, s10
	s_mul_i32 s10, s10, s14
	s_cselect_b32 s11, -1, 0
	s_cmp_lg_u32 s10, s24
	s_cselect_b32 s10, -1, 0
	s_or_b32 s3, s3, s7
	s_and_b32 s10, s11, s10
	s_delay_alu instid0(SALU_CYCLE_1) | instskip(NEXT) | instid1(SALU_CYCLE_1)
	s_or_b32 s3, s3, s10
	s_and_b32 vcc_lo, exec_lo, s3
	s_cbranch_vccnz .LBB12_24
; %bb.7:
	s_load_b256 s[24:31], s[0:1], 0x20
	s_bfe_u32 s7, ttmp6, 0x40014
	s_bfe_u32 s33, ttmp6, 0x40010
	s_lshr_b32 s3, ttmp7, 16
	s_add_co_i32 s7, s7, 1
	s_and_b32 s21, ttmp7, 0xffff
	s_add_co_i32 s33, s33, 1
	s_bfe_u32 s10, ttmp6, 0x40008
	s_mul_i32 s7, s3, s7
	s_bfe_u32 s34, ttmp6, 0x40004
	s_mul_i32 s33, s21, s33
	s_mov_b32 s11, s23
	s_add_co_i32 s35, s10, s7
	s_add_co_i32 s34, s34, s33
	s_cmp_eq_u32 s15, 0
	s_cselect_b32 s7, s21, s34
	s_cselect_b32 s3, s3, s35
	s_wait_kmcnt 0x0
	s_mov_b32 s10, s24
	s_delay_alu instid0(SALU_CYCLE_1) | instskip(NEXT) | instid1(SALU_CYCLE_1)
	s_mul_u64 s[8:9], s[8:9], s[10:11]
	s_add_co_i32 s8, s9, s20
	s_delay_alu instid0(SALU_CYCLE_1) | instskip(SKIP_2) | instid1(SALU_CYCLE_1)
	s_lshr_b32 s15, s8, s25
	s_load_b32 s8, s[0:1], 0x40
	s_mul_i32 s9, s15, s26
	s_sub_co_i32 s9, s20, s9
	s_delay_alu instid0(SALU_CYCLE_1) | instskip(NEXT) | instid1(SALU_CYCLE_1)
	s_mul_hi_u32 s10, s9, s27
	s_add_co_i32 s10, s9, s10
	s_delay_alu instid0(SALU_CYCLE_1) | instskip(NEXT) | instid1(SALU_CYCLE_1)
	s_lshr_b32 s21, s10, s28
	s_mul_i32 s10, s21, s29
	s_delay_alu instid0(SALU_CYCLE_1) | instskip(NEXT) | instid1(SALU_CYCLE_1)
	s_sub_co_i32 s10, s9, s10
	s_mul_hi_u32 s9, s10, s30
	s_delay_alu instid0(SALU_CYCLE_1) | instskip(NEXT) | instid1(SALU_CYCLE_1)
	s_add_co_i32 s9, s10, s9
	s_lshr_b32 s25, s9, s31
	s_mov_b32 s9, s23
	s_wait_kmcnt 0x0
	s_mul_i32 s8, s25, s8
	s_lshl_b32 s25, s25, 3
	s_sub_co_i32 s8, s10, s8
	s_delay_alu instid0(SALU_CYCLE_1) | instskip(NEXT) | instid1(SALU_CYCLE_1)
	s_mul_u64 s[10:11], s[8:9], s[22:23]
	s_add_co_i32 s8, s8, s11
	s_delay_alu instid0(SALU_CYCLE_1) | instskip(NEXT) | instid1(SALU_CYCLE_1)
	s_lshr_b32 s24, s8, s13
	s_lshl_b32 s8, s24, 1
	s_delay_alu instid0(SALU_CYCLE_1) | instskip(NEXT) | instid1(SALU_CYCLE_1)
	s_add_co_i32 s8, s8, s7
	s_cmp_lt_i32 s8, s4
	s_cselect_b32 s8, -1, 0
	s_add_co_i32 s25, s25, s3
	s_delay_alu instid0(SALU_CYCLE_1) | instskip(SKIP_1) | instid1(SALU_CYCLE_1)
	s_cmp_lt_i32 s25, s6
	s_cselect_b32 s9, -1, 0
	s_and_b32 s8, s8, s9
	s_delay_alu instid0(SALU_CYCLE_1)
	s_and_not1_b32 vcc_lo, exec_lo, s8
	s_cbranch_vccnz .LBB12_24
; %bb.8:
	s_load_b128 s[8:11], s[0:1], 0x0
	s_wait_xcnt 0x0
	s_mul_i32 s0, s15, s4
	s_mul_i32 s21, s21, s6
	s_add_co_i32 s0, s0, s7
	s_add_co_i32 s1, s25, s21
	s_mul_i32 s0, s0, s5
	s_mul_i32 s4, s5, s24
	s_add_co_i32 s0, s1, s0
	s_mulk_i32 s4, 0x90
	s_mulk_i32 s0, 0x48
	s_lshl_b32 s15, s7, 3
	v_add3_u32 v2, s4, s0, v0
	s_add_nc_u64 s[0:1], s[16:17], 0
	s_add_co_i32 s15, s15, s3
	s_xor_b64 s[6:7], s[0:1], 0
	s_lshl_b32 s0, s2, 4
	s_cvt_f32_u32 s3, s6
	s_cvt_f32_u32 s4, s7
	s_add_co_i32 s0, s15, s0
	v_cvt_f32_u32_e32 v4, s16
	s_wait_kmcnt 0x0
	global_load_b32 v1, v2, s[8:9] scale_offset
	s_fmamk_f32 s3, s4, 0x4f800000, s3
	s_ashr_i32 s1, s0, 31
	s_lshl_b32 s24, s16, 6
	s_lshl_b64 s[0:1], s[0:1], 3
	v_s_rcp_f32 s3, s3
	s_add_nc_u64 s[0:1], s[10:11], s[0:1]
	v_rcp_iflag_f32_e32 v4, v4
	s_load_b64 s[28:29], s[0:1], 0x0
	s_mov_b32 s25, 0
	v_mad_u32 v6, 0x48, s15, v0
	v_ashrrev_i32_e32 v3, 31, v2
	s_wait_xcnt 0x0
	s_lshl_b64 s[0:1], s[24:25], 2
	s_mul_f32 s3, s3, 0x5f7ffffc
	v_mul_f32_e32 v4, 0x4f7ffffe, v4
	s_add_nc_u64 s[26:27], s[10:11], s[0:1]
	v_lshl_add_u64 v[2:3], v[2:3], 2, s[8:9]
	s_mul_f32 s4, s3, 0x2f800000
	s_mov_b64 s[8:9], 0xffffffff
	v_cvt_u32_f32_e32 v7, v4
	s_add_co_i32 s36, s2, -1
	s_trunc_f32 s4, s4
	s_sub_nc_u64 s[34:35], 0, s[6:7]
	s_delay_alu instid0(SALU_CYCLE_2)
	s_fmamk_f32 s0, s4, 0xcf800000, s3
	s_cvt_u32_f32 s31, s4
	s_wait_kmcnt 0x0
	v_mov_b32_e32 v0, s29
	s_cvt_u32_f32 s30, s0
.LBB12_9:                               ; =>This Inner Loop Header: Depth=1
	s_ashr_i32 s37, s36, 31
                                        ; implicit-def: $sgpr40_sgpr41
	s_delay_alu instid0(SALU_CYCLE_1) | instskip(NEXT) | instid1(SALU_CYCLE_1)
	s_mul_u64 s[0:1], s[36:37], s[18:19]
	s_and_b64 s[2:3], s[0:1], 0xffffffff00000000
	s_delay_alu instid0(SALU_CYCLE_1)
	s_cmp_lg_u64 s[2:3], 0
	s_mov_b32 s2, -1
	s_cbranch_scc0 .LBB12_11
; %bb.10:                               ;   in Loop: Header=BB12_9 Depth=1
	s_mul_u64 s[2:3], s[34:35], s[30:31]
	s_delay_alu instid0(SALU_CYCLE_1)
	s_mul_hi_u32 s5, s30, s3
	s_mul_i32 s4, s30, s3
	s_mul_hi_u32 s24, s30, s2
	s_mul_hi_u32 s17, s31, s2
	s_add_nc_u64 s[4:5], s[24:25], s[4:5]
	s_mul_i32 s2, s31, s2
	s_mul_hi_u32 s21, s31, s3
	s_add_co_u32 s2, s4, s2
	s_add_co_ci_u32 s24, s5, s17
	s_add_co_ci_u32 s5, s21, 0
	s_mul_i32 s4, s31, s3
	s_delay_alu instid0(SALU_CYCLE_1) | instskip(NEXT) | instid1(SALU_CYCLE_1)
	s_add_nc_u64 s[2:3], s[24:25], s[4:5]
	s_add_co_u32 s2, s30, s2
	s_cselect_b32 s4, -1, 0
	s_delay_alu instid0(SALU_CYCLE_1) | instskip(SKIP_1) | instid1(SALU_CYCLE_1)
	s_cmp_lg_u32 s4, 0
	s_add_co_ci_u32 s3, s31, s3
	s_mul_u64 s[4:5], s[34:35], s[2:3]
	s_delay_alu instid0(SALU_CYCLE_1)
	s_mul_hi_u32 s39, s2, s5
	s_mul_i32 s38, s2, s5
	s_mul_hi_u32 s24, s2, s4
	s_mul_hi_u32 s17, s3, s4
	s_mul_i32 s4, s3, s4
	s_add_nc_u64 s[38:39], s[24:25], s[38:39]
	s_mul_hi_u32 s21, s3, s5
	s_add_co_u32 s4, s38, s4
	s_add_co_ci_u32 s24, s39, s17
	s_mul_i32 s4, s3, s5
	s_add_co_ci_u32 s5, s21, 0
	s_delay_alu instid0(SALU_CYCLE_1) | instskip(NEXT) | instid1(SALU_CYCLE_1)
	s_add_nc_u64 s[4:5], s[24:25], s[4:5]
	s_add_co_u32 s17, s2, s4
	s_cselect_b32 s2, -1, 0
	s_delay_alu instid0(SALU_CYCLE_1) | instskip(SKIP_2) | instid1(SALU_CYCLE_1)
	s_cmp_lg_u32 s2, 0
	s_add_co_ci_u32 s21, s3, s5
	s_ashr_i32 s2, s1, 31
	s_mov_b32 s3, s2
	s_delay_alu instid0(SALU_CYCLE_1) | instskip(NEXT) | instid1(SALU_CYCLE_1)
	s_add_nc_u64 s[4:5], s[0:1], s[2:3]
	s_xor_b64 s[4:5], s[4:5], s[2:3]
	s_delay_alu instid0(SALU_CYCLE_1)
	s_mul_hi_u32 s39, s4, s21
	s_mul_i32 s38, s4, s21
	s_mul_hi_u32 s24, s4, s17
	s_mul_hi_u32 s29, s5, s17
	s_mul_i32 s17, s5, s17
	s_add_nc_u64 s[38:39], s[24:25], s[38:39]
	s_mul_hi_u32 s1, s5, s21
	s_add_co_u32 s17, s38, s17
	s_add_co_ci_u32 s24, s39, s29
	s_mul_i32 s40, s5, s21
	s_add_co_ci_u32 s41, s1, 0
	s_delay_alu instid0(SALU_CYCLE_1) | instskip(NEXT) | instid1(SALU_CYCLE_1)
	s_add_nc_u64 s[38:39], s[24:25], s[40:41]
	s_and_b64 s[40:41], s[38:39], 0xffffffff00000000
	s_delay_alu instid0(SALU_CYCLE_1) | instskip(NEXT) | instid1(SALU_CYCLE_1)
	s_or_b32 s40, s40, s38
	s_mul_u64 s[38:39], s[6:7], s[40:41]
	s_add_nc_u64 s[42:43], s[40:41], 1
	s_sub_co_u32 s1, s4, s38
	s_cselect_b32 s4, -1, 0
	s_sub_co_i32 s17, s5, s39
	s_cmp_lg_u32 s4, 0
	s_add_nc_u64 s[44:45], s[40:41], 2
	s_sub_co_ci_u32 s17, s17, s7
	s_sub_co_u32 s21, s1, s6
	s_cselect_b32 s24, -1, 0
	s_delay_alu instid0(SALU_CYCLE_1) | instskip(SKIP_1) | instid1(SALU_CYCLE_1)
	s_cmp_lg_u32 s24, 0
	s_sub_co_ci_u32 s17, s17, 0
	s_cmp_ge_u32 s17, s7
	s_cselect_b32 s24, -1, 0
	s_cmp_ge_u32 s21, s6
	s_cselect_b32 s21, -1, 0
	s_cmp_eq_u32 s17, s7
	s_cselect_b32 s17, s21, s24
	s_delay_alu instid0(SALU_CYCLE_1) | instskip(SKIP_4) | instid1(SALU_CYCLE_1)
	s_cmp_lg_u32 s17, 0
	s_cselect_b32 s17, s44, s42
	s_cselect_b32 s21, s45, s43
	s_cmp_lg_u32 s4, 0
	s_sub_co_ci_u32 s4, s5, s39
	s_cmp_ge_u32 s4, s7
	s_cselect_b32 s5, -1, 0
	s_cmp_ge_u32 s1, s6
	s_cselect_b32 s1, -1, 0
	s_cmp_eq_u32 s4, s7
	s_cselect_b32 s1, s1, s5
	s_delay_alu instid0(SALU_CYCLE_1) | instskip(SKIP_3) | instid1(SALU_CYCLE_1)
	s_cmp_lg_u32 s1, 0
	s_cselect_b32 s5, s21, s41
	s_cselect_b32 s4, s17, s40
	s_xor_b64 s[2:3], s[2:3], 0
	s_xor_b64 s[4:5], s[4:5], s[2:3]
	s_delay_alu instid0(SALU_CYCLE_1)
	s_sub_nc_u64 s[40:41], s[4:5], s[2:3]
	s_mov_b32 s2, 0
.LBB12_11:                              ;   in Loop: Header=BB12_9 Depth=1
	s_delay_alu instid0(SALU_CYCLE_1)
	s_and_not1_b32 vcc_lo, exec_lo, s2
	s_cbranch_vccnz .LBB12_13
; %bb.12:                               ;   in Loop: Header=BB12_9 Depth=1
	v_readfirstlane_b32 s1, v7
	s_sub_co_i32 s2, 0, s16
	s_delay_alu instid0(SALU_CYCLE_1) | instskip(NEXT) | instid1(SALU_CYCLE_1)
	s_mul_i32 s2, s2, s1
	s_mul_hi_u32 s2, s1, s2
	s_delay_alu instid0(SALU_CYCLE_1) | instskip(NEXT) | instid1(SALU_CYCLE_1)
	s_add_co_i32 s1, s1, s2
	s_mul_hi_u32 s1, s0, s1
	s_delay_alu instid0(SALU_CYCLE_1) | instskip(NEXT) | instid1(SALU_CYCLE_1)
	s_mul_i32 s2, s1, s16
	s_sub_co_i32 s0, s0, s2
	s_add_co_i32 s2, s1, 1
	s_sub_co_i32 s3, s0, s16
	s_cmp_ge_u32 s0, s16
	s_cselect_b32 s1, s2, s1
	s_cselect_b32 s0, s3, s0
	s_add_co_i32 s2, s1, 1
	s_cmp_ge_u32 s0, s16
	s_cselect_b32 s24, s2, s1
	s_delay_alu instid0(SALU_CYCLE_1)
	s_mov_b64 s[40:41], s[24:25]
.LBB12_13:                              ;   in Loop: Header=BB12_9 Depth=1
	s_delay_alu instid0(SALU_CYCLE_1)
	s_cmp_lg_u32 s20, s40
	s_mov_b32 s0, -1
                                        ; implicit-def: $vgpr4_vgpr5
                                        ; implicit-def: $sgpr24
                                        ; implicit-def: $sgpr17
                                        ; implicit-def: $sgpr21
                                        ; implicit-def: $sgpr29
	s_cbranch_scc0 .LBB12_18
; %bb.14:                               ;   in Loop: Header=BB12_9 Depth=1
	s_add_co_i32 s0, s36, s16
	v_max_num_f32_e64 v4, s28, s28
	s_lshl_b32 s0, s0, 4
	s_mov_b32 s29, s20
	s_add_co_i32 s0, s0, s15
	s_load_b64 s[38:39], s[10:11], s0 offset:0x0 scale_offset
	s_wait_xcnt 0x0
	v_readfirstlane_b32 s0, v4
	s_wait_kmcnt 0x0
	v_max_num_f32_e64 v5, s38, s38
	s_delay_alu instid0(VALU_DEP_1) | instskip(SKIP_1) | instid1(SALU_CYCLE_3)
	v_readfirstlane_b32 s1, v5
	s_max_num_f32 s17, s0, s1
	s_sub_f32 s33, s28, s17
	s_sub_f32 s37, s38, s17
	s_delay_alu instid0(SALU_CYCLE_2)
	s_cmp_nlt_f32 s33, 0xc2ce8ed0
	s_cselect_b32 s1, -1, 0
	s_cmp_ngt_f32 s33, 0x42b17218
	s_cselect_b32 s2, -1, 0
	s_cmp_ge_f32 s33, 0xc1a00000
	s_cselect_b32 s0, -1, 0
	s_cmp_nlt_f32 s37, 0xc2ce8ed0
	s_cselect_b32 s3, -1, 0
	s_cmp_ngt_f32 s37, 0x42b17218
	s_cselect_b32 s4, -1, 0
	s_cmp_ge_f32 s37, 0xc1a00000
	s_cselect_b32 s5, -1, 0
	s_and_b64 s[42:43], s[40:41], s[8:9]
	s_delay_alu instid0(SALU_CYCLE_1) | instskip(NEXT) | instid1(SALU_CYCLE_1)
	s_mul_u64 s[42:43], s[42:43], s[22:23]
	s_add_co_i32 s21, s43, s40
	s_delay_alu instid0(SALU_CYCLE_1) | instskip(NEXT) | instid1(SALU_CYCLE_1)
	s_lshr_b32 s21, s21, s13
	s_mul_i32 s24, s21, s14
	s_delay_alu instid0(SALU_CYCLE_1) | instskip(SKIP_3) | instid1(SALU_CYCLE_1)
	s_cmp_eq_u32 s24, s40
	s_cselect_b32 s24, -1, 0
	s_cmp_lt_u32 s21, s12
	s_cselect_b32 s21, -1, 0
	s_or_b32 s21, s21, s24
	s_mov_b32 s24, -1
	s_and_b32 vcc_lo, exec_lo, s21
	s_mov_b32 s21, s36
	s_cbranch_vccnz .LBB12_16
; %bb.15:                               ;   in Loop: Header=BB12_9 Depth=1
	s_add_co_i32 s21, s36, -1
	s_mov_b32 s24, 0
	s_mov_b32 s29, s40
.LBB12_16:                              ;   in Loop: Header=BB12_9 Depth=1
	v_mad_u32 v4, 0x480, s36, v6
	s_mul_f32 s40, s33, 0x3fb8aa3b
	s_mul_f32 s38, s37, 0x3fb8aa3b
	s_delay_alu instid0(SALU_CYCLE_2)
	s_xor_b32 s42, s40, 0x80000000
	s_rndne_f32 s44, s40
	s_fmamk_f32 s42, s33, 0x3fb8aa3b, s42
	s_xor_b32 s41, s38, 0x80000000
	s_rndne_f32 s43, s38
	s_sub_f32 s40, s40, s44
	global_load_b32 v5, v4, s[26:27] scale_offset
	s_fmamk_f32 s33, s33, 0x32a5705f, s42
	s_fmamk_f32 s41, s37, 0x3fb8aa3b, s41
	s_sub_f32 s38, s38, s43
	s_delay_alu instid0(SALU_CYCLE_1) | instskip(NEXT) | instid1(SALU_CYCLE_1)
	s_add_f32 s33, s40, s33
	s_fmamk_f32 s37, s37, 0x32a5705f, s41
	s_cvt_i32_f32 s40, s44
	s_delay_alu instid0(SALU_CYCLE_1) | instskip(NEXT) | instid1(SALU_CYCLE_1)
	v_s_exp_f32 s33, s33
	s_add_f32 s37, s38, s37
	s_cvt_i32_f32 s38, s43
	s_delay_alu instid0(SALU_CYCLE_2) | instskip(NEXT) | instid1(TRANS32_DEP_2)
	v_s_exp_f32 s37, s37
	v_ldexp_f32 v8, s33, s40
	s_wait_xcnt 0x0
	s_delay_alu instid0(TRANS32_DEP_1) | instskip(NEXT) | instid1(VALU_DEP_2)
	v_ldexp_f32 v4, s37, s38
	v_cndmask_b32_e64 v8, 0, v8, s1
	s_delay_alu instid0(VALU_DEP_1) | instskip(NEXT) | instid1(VALU_DEP_1)
	v_cndmask_b32_e64 v9, 0x7f800000, v8, s2
	v_dual_cndmask_b32 v4, 0, v4, s3 :: v_dual_cndmask_b32 v10, 0, v9, s0
	s_delay_alu instid0(VALU_DEP_1) | instskip(NEXT) | instid1(VALU_DEP_1)
	v_cndmask_b32_e64 v4, 0x7f800000, v4, s4
	v_dual_cndmask_b32 v8, 0, v4, s5 :: v_dual_mov_b32 v4, s39
	s_wait_loadcnt 0x0
	s_delay_alu instid0(VALU_DEP_1) | instskip(NEXT) | instid1(VALU_DEP_1)
	v_pk_mul_f32 v[4:5], v[4:5], v[8:9] op_sel_hi:[1,0]
	v_pk_fma_f32 v[4:5], v[0:1], v[10:11], v[4:5] op_sel_hi:[1,0,1]
	s_cbranch_execz .LBB12_19
.LBB12_17:                              ;   in Loop: Header=BB12_9 Depth=1
	s_and_not1_b32 vcc_lo, exec_lo, s24
	s_cbranch_vccnz .LBB12_20
	s_branch .LBB12_23
.LBB12_18:                              ;   in Loop: Header=BB12_9 Depth=1
	s_and_not1_b32 vcc_lo, exec_lo, s0
	s_cbranch_vccnz .LBB12_17
.LBB12_19:                              ;   in Loop: Header=BB12_9 Depth=1
	s_wait_loadcnt 0x0
	v_mov_b64_e32 v[4:5], v[0:1]
	s_add_co_i32 s21, s36, -1
	s_mov_b32 s29, s20
	s_mov_b32 s17, s28
	s_cbranch_execz .LBB12_23
.LBB12_20:                              ;   in Loop: Header=BB12_9 Depth=1
	s_wait_loadcnt 0x0
	s_delay_alu instid0(VALU_DEP_1)
	v_mov_b64_e32 v[0:1], v[4:5]
	s_mov_b32 s20, s29
	s_mov_b32 s36, s21
	;; [unrolled: 1-line block ×3, first 2 shown]
	s_branch .LBB12_9
.LBB12_21:
                                        ; implicit-def: $sgpr20_sgpr21
	s_branch .LBB12_2
.LBB12_22:
                                        ; implicit-def: $sgpr24_sgpr25
	s_load_b96 s[12:14], s[0:1], 0x44
	s_branch .LBB12_5
.LBB12_23:
	s_delay_alu instid0(VALU_DEP_1) | instskip(SKIP_1) | instid1(VALU_DEP_1)
	v_div_scale_f32 v0, null, v4, v4, v5
	s_wait_loadcnt 0x0
	v_rcp_f32_e32 v1, v0
	v_nop
	s_delay_alu instid0(TRANS32_DEP_1) | instskip(NEXT) | instid1(VALU_DEP_1)
	v_fma_f32 v6, -v0, v1, 1.0
	v_fmac_f32_e32 v1, v6, v1
	v_div_scale_f32 v6, vcc_lo, v5, v4, v5
	s_delay_alu instid0(VALU_DEP_1) | instskip(NEXT) | instid1(VALU_DEP_1)
	v_mul_f32_e32 v7, v6, v1
	v_fma_f32 v8, -v0, v7, v6
	s_delay_alu instid0(VALU_DEP_1) | instskip(NEXT) | instid1(VALU_DEP_1)
	v_fmac_f32_e32 v7, v8, v1
	v_fma_f32 v0, -v0, v7, v6
	s_delay_alu instid0(VALU_DEP_1) | instskip(NEXT) | instid1(VALU_DEP_1)
	v_div_fmas_f32 v0, v0, v1, v7
	v_div_fixup_f32 v0, v0, v4, v5
	global_store_b32 v[2:3], v0, off
.LBB12_24:
	s_endpgm
	.section	.rodata,"a",@progbits
	.p2align	6, 0x0
	.amdhsa_kernel _ZL33flash_attn_stream_k_fixup_generalILi72ELi2ELi8EEvPfPK15HIP_vector_typeIfLj2EEiiiiS1_IjLj3EES5_S5_S5_
		.amdhsa_group_segment_fixed_size 0
		.amdhsa_private_segment_fixed_size 0
		.amdhsa_kernarg_size 336
		.amdhsa_user_sgpr_count 2
		.amdhsa_user_sgpr_dispatch_ptr 0
		.amdhsa_user_sgpr_queue_ptr 0
		.amdhsa_user_sgpr_kernarg_segment_ptr 1
		.amdhsa_user_sgpr_dispatch_id 0
		.amdhsa_user_sgpr_kernarg_preload_length 0
		.amdhsa_user_sgpr_kernarg_preload_offset 0
		.amdhsa_user_sgpr_private_segment_size 0
		.amdhsa_wavefront_size32 1
		.amdhsa_uses_dynamic_stack 0
		.amdhsa_enable_private_segment 0
		.amdhsa_system_sgpr_workgroup_id_x 1
		.amdhsa_system_sgpr_workgroup_id_y 1
		.amdhsa_system_sgpr_workgroup_id_z 1
		.amdhsa_system_sgpr_workgroup_info 0
		.amdhsa_system_vgpr_workitem_id 0
		.amdhsa_next_free_vgpr 12
		.amdhsa_next_free_sgpr 46
		.amdhsa_named_barrier_count 0
		.amdhsa_reserve_vcc 1
		.amdhsa_float_round_mode_32 0
		.amdhsa_float_round_mode_16_64 0
		.amdhsa_float_denorm_mode_32 3
		.amdhsa_float_denorm_mode_16_64 3
		.amdhsa_fp16_overflow 0
		.amdhsa_memory_ordered 1
		.amdhsa_forward_progress 1
		.amdhsa_inst_pref_size 27
		.amdhsa_round_robin_scheduling 0
		.amdhsa_exception_fp_ieee_invalid_op 0
		.amdhsa_exception_fp_denorm_src 0
		.amdhsa_exception_fp_ieee_div_zero 0
		.amdhsa_exception_fp_ieee_overflow 0
		.amdhsa_exception_fp_ieee_underflow 0
		.amdhsa_exception_fp_ieee_inexact 0
		.amdhsa_exception_int_div_zero 0
	.end_amdhsa_kernel
	.section	.text._ZL33flash_attn_stream_k_fixup_generalILi72ELi2ELi8EEvPfPK15HIP_vector_typeIfLj2EEiiiiS1_IjLj3EES5_S5_S5_,"axG",@progbits,_ZL33flash_attn_stream_k_fixup_generalILi72ELi2ELi8EEvPfPK15HIP_vector_typeIfLj2EEiiiiS1_IjLj3EES5_S5_S5_,comdat
.Lfunc_end12:
	.size	_ZL33flash_attn_stream_k_fixup_generalILi72ELi2ELi8EEvPfPK15HIP_vector_typeIfLj2EEiiiiS1_IjLj3EES5_S5_S5_, .Lfunc_end12-_ZL33flash_attn_stream_k_fixup_generalILi72ELi2ELi8EEvPfPK15HIP_vector_typeIfLj2EEiiiiS1_IjLj3EES5_S5_S5_
                                        ; -- End function
	.set _ZL33flash_attn_stream_k_fixup_generalILi72ELi2ELi8EEvPfPK15HIP_vector_typeIfLj2EEiiiiS1_IjLj3EES5_S5_S5_.num_vgpr, 12
	.set _ZL33flash_attn_stream_k_fixup_generalILi72ELi2ELi8EEvPfPK15HIP_vector_typeIfLj2EEiiiiS1_IjLj3EES5_S5_S5_.num_agpr, 0
	.set _ZL33flash_attn_stream_k_fixup_generalILi72ELi2ELi8EEvPfPK15HIP_vector_typeIfLj2EEiiiiS1_IjLj3EES5_S5_S5_.numbered_sgpr, 46
	.set _ZL33flash_attn_stream_k_fixup_generalILi72ELi2ELi8EEvPfPK15HIP_vector_typeIfLj2EEiiiiS1_IjLj3EES5_S5_S5_.num_named_barrier, 0
	.set _ZL33flash_attn_stream_k_fixup_generalILi72ELi2ELi8EEvPfPK15HIP_vector_typeIfLj2EEiiiiS1_IjLj3EES5_S5_S5_.private_seg_size, 0
	.set _ZL33flash_attn_stream_k_fixup_generalILi72ELi2ELi8EEvPfPK15HIP_vector_typeIfLj2EEiiiiS1_IjLj3EES5_S5_S5_.uses_vcc, 1
	.set _ZL33flash_attn_stream_k_fixup_generalILi72ELi2ELi8EEvPfPK15HIP_vector_typeIfLj2EEiiiiS1_IjLj3EES5_S5_S5_.uses_flat_scratch, 0
	.set _ZL33flash_attn_stream_k_fixup_generalILi72ELi2ELi8EEvPfPK15HIP_vector_typeIfLj2EEiiiiS1_IjLj3EES5_S5_S5_.has_dyn_sized_stack, 0
	.set _ZL33flash_attn_stream_k_fixup_generalILi72ELi2ELi8EEvPfPK15HIP_vector_typeIfLj2EEiiiiS1_IjLj3EES5_S5_S5_.has_recursion, 0
	.set _ZL33flash_attn_stream_k_fixup_generalILi72ELi2ELi8EEvPfPK15HIP_vector_typeIfLj2EEiiiiS1_IjLj3EES5_S5_S5_.has_indirect_call, 0
	.section	.AMDGPU.csdata,"",@progbits
; Kernel info:
; codeLenInByte = 3352
; TotalNumSgprs: 48
; NumVgprs: 12
; ScratchSize: 0
; MemoryBound: 0
; FloatMode: 240
; IeeeMode: 1
; LDSByteSize: 0 bytes/workgroup (compile time only)
; SGPRBlocks: 0
; VGPRBlocks: 0
; NumSGPRsForWavesPerEU: 48
; NumVGPRsForWavesPerEU: 12
; NamedBarCnt: 0
; Occupancy: 16
; WaveLimiterHint : 0
; COMPUTE_PGM_RSRC2:SCRATCH_EN: 0
; COMPUTE_PGM_RSRC2:USER_SGPR: 2
; COMPUTE_PGM_RSRC2:TRAP_HANDLER: 0
; COMPUTE_PGM_RSRC2:TGID_X_EN: 1
; COMPUTE_PGM_RSRC2:TGID_Y_EN: 1
; COMPUTE_PGM_RSRC2:TGID_Z_EN: 1
; COMPUTE_PGM_RSRC2:TIDIG_COMP_CNT: 0
	.section	.text._ZL15flash_attn_tileILi72ELi72ELi1ELi8ELb0EEvPKcS1_S1_S1_S1_PKiPfP15HIP_vector_typeIfLj2EEffffjfiS5_IjLj3EEiiiiiiiiiiiliiliiiiil,"axG",@progbits,_ZL15flash_attn_tileILi72ELi72ELi1ELi8ELb0EEvPKcS1_S1_S1_S1_PKiPfP15HIP_vector_typeIfLj2EEffffjfiS5_IjLj3EEiiiiiiiiiiiliiliiiiil,comdat
	.globl	_ZL15flash_attn_tileILi72ELi72ELi1ELi8ELb0EEvPKcS1_S1_S1_S1_PKiPfP15HIP_vector_typeIfLj2EEffffjfiS5_IjLj3EEiiiiiiiiiiiliiliiiiil ; -- Begin function _ZL15flash_attn_tileILi72ELi72ELi1ELi8ELb0EEvPKcS1_S1_S1_S1_PKiPfP15HIP_vector_typeIfLj2EEffffjfiS5_IjLj3EEiiiiiiiiiiiliiliiiiil
	.p2align	8
	.type	_ZL15flash_attn_tileILi72ELi72ELi1ELi8ELb0EEvPKcS1_S1_S1_S1_PKiPfP15HIP_vector_typeIfLj2EEffffjfiS5_IjLj3EEiiiiiiiiiiiliiliiiiil,@function
_ZL15flash_attn_tileILi72ELi72ELi1ELi8ELb0EEvPKcS1_S1_S1_S1_PKiPfP15HIP_vector_typeIfLj2EEffffjfiS5_IjLj3EEiiiiiiiiiiiliiliiiiil: ; @_ZL15flash_attn_tileILi72ELi72ELi1ELi8ELb0EEvPKcS1_S1_S1_S1_PKiPfP15HIP_vector_typeIfLj2EEffffjfiS5_IjLj3EEiiiiiiiiiiiliiliiiiil
; %bb.0:
	s_clause 0x1
	s_load_b128 s[20:23], s[0:1], 0x5c
	s_load_b64 s[30:31], s[0:1], 0x80
	s_bfe_u32 s5, ttmp6, 0x40014
	s_lshr_b32 s4, ttmp7, 16
	s_add_co_i32 s5, s5, 1
	s_bfe_u32 s6, ttmp6, 0x40008
	s_mul_i32 s5, s4, s5
	s_getreg_b32 s24, hwreg(HW_REG_IB_STS2, 6, 4)
	s_add_co_i32 s6, s6, s5
	s_mov_b32 s37, 0
	s_mov_b64 s[34:35], 0
	s_wait_kmcnt 0x0
	s_ashr_i32 s2, s23, 31
	s_delay_alu instid0(SALU_CYCLE_1) | instskip(NEXT) | instid1(SALU_CYCLE_1)
	s_lshr_b32 s2, s2, 29
	s_add_co_i32 s2, s23, s2
	s_delay_alu instid0(SALU_CYCLE_1) | instskip(NEXT) | instid1(SALU_CYCLE_1)
	s_ashr_i32 s2, s2, 3
	s_cvt_f32_u32 s3, s2
	s_sub_co_i32 s7, 0, s2
	s_delay_alu instid0(SALU_CYCLE_2) | instskip(SKIP_1) | instid1(TRANS32_DEP_1)
	v_rcp_iflag_f32_e32 v1, s3
	v_nop
	v_readfirstlane_b32 s3, v1
	s_mul_f32 s3, s3, 0x4f7ffffe
	s_delay_alu instid0(SALU_CYCLE_3) | instskip(NEXT) | instid1(SALU_CYCLE_3)
	s_cvt_u32_f32 s3, s3
	s_mul_i32 s7, s7, s3
	s_delay_alu instid0(SALU_CYCLE_1) | instskip(NEXT) | instid1(SALU_CYCLE_1)
	s_mul_hi_u32 s7, s3, s7
	s_add_co_i32 s3, s3, s7
	s_cmp_eq_u32 s24, 0
	s_cselect_b32 s4, s4, s6
	s_delay_alu instid0(SALU_CYCLE_1) | instskip(NEXT) | instid1(SALU_CYCLE_1)
	s_mul_hi_u32 s3, s4, s3
	s_mul_i32 s5, s3, s2
	s_add_co_i32 s6, s3, 1
	s_sub_co_i32 s5, s4, s5
	s_delay_alu instid0(SALU_CYCLE_1)
	s_sub_co_i32 s7, s5, s2
	s_cmp_ge_u32 s5, s2
	s_cselect_b32 s3, s6, s3
	s_cselect_b32 s5, s7, s5
	s_add_co_i32 s6, s3, 1
	s_cmp_ge_u32 s5, s2
	s_cselect_b32 s28, s6, s3
	s_abs_i32 s2, s31
	s_abs_i32 s6, s23
	s_cvt_f32_u32 s3, s2
	s_sub_co_i32 s5, 0, s2
	s_lshl_b32 s25, s4, 3
	s_xor_b32 s4, s23, s31
	v_rcp_iflag_f32_e32 v1, s3
	s_ashr_i32 s26, s4, 31
	v_nop
	s_delay_alu instid0(TRANS32_DEP_1) | instskip(SKIP_1) | instid1(SALU_CYCLE_3)
	v_readfirstlane_b32 s3, v1
	s_mul_f32 s3, s3, 0x4f7ffffe
	s_cvt_u32_f32 s3, s3
	s_delay_alu instid0(SALU_CYCLE_3) | instskip(NEXT) | instid1(SALU_CYCLE_1)
	s_mul_i32 s5, s5, s3
	s_mul_hi_u32 s5, s3, s5
	s_delay_alu instid0(SALU_CYCLE_1) | instskip(NEXT) | instid1(SALU_CYCLE_1)
	s_add_co_i32 s3, s3, s5
	s_mul_hi_u32 s3, s6, s3
	s_delay_alu instid0(SALU_CYCLE_1) | instskip(NEXT) | instid1(SALU_CYCLE_1)
	s_mul_i32 s5, s3, s2
	s_sub_co_i32 s4, s6, s5
	s_add_co_i32 s5, s3, 1
	s_sub_co_i32 s6, s4, s2
	s_cmp_ge_u32 s4, s2
	s_cselect_b32 s3, s5, s3
	s_cselect_b32 s4, s6, s4
	s_add_co_i32 s5, s3, 1
	s_cmp_ge_u32 s4, s2
	s_cselect_b32 s2, s5, s3
	s_load_b512 s[4:19], s[0:1], 0x0
	s_xor_b32 s27, s2, s26
	s_load_b64 s[2:3], s[0:1], 0xb8
	s_sub_co_i32 s29, s27, s26
	s_delay_alu instid0(SALU_CYCLE_1) | instskip(NEXT) | instid1(SALU_CYCLE_1)
	s_abs_i32 s39, s29
	s_cvt_f32_u32 s26, s39
	s_delay_alu instid0(SALU_CYCLE_3) | instskip(SKIP_2) | instid1(TRANS32_DEP_1)
	v_rcp_iflag_f32_e32 v1, s26
	s_mul_i32 s26, s28, s23
	v_nop
	v_readfirstlane_b32 s36, v1
	s_wait_kmcnt 0x0
	s_cmp_eq_u64 s[10:11], 0
	s_cbranch_scc1 .LBB13_2
; %bb.1:
	s_abs_i32 s2, s2
	s_abs_i32 s33, s28
	s_cvt_f32_u32 s27, s2
	s_sub_co_i32 s31, 0, s2
	s_load_b64 s[34:35], s[0:1], 0xc8
	s_delay_alu instid0(SALU_CYCLE_1) | instskip(SKIP_1) | instid1(TRANS32_DEP_1)
	v_rcp_iflag_f32_e32 v1, s27
	v_nop
	v_readfirstlane_b32 s27, v1
	s_mul_f32 s27, s27, 0x4f7ffffe
	s_delay_alu instid0(SALU_CYCLE_3) | instskip(NEXT) | instid1(SALU_CYCLE_3)
	s_cvt_u32_f32 s27, s27
	s_mul_i32 s31, s31, s27
	s_delay_alu instid0(SALU_CYCLE_1) | instskip(NEXT) | instid1(SALU_CYCLE_1)
	s_mul_hi_u32 s31, s27, s31
	s_add_co_i32 s27, s27, s31
	s_ashr_i32 s31, s28, 31
	s_mul_hi_u32 s27, s33, s27
	s_delay_alu instid0(SALU_CYCLE_1) | instskip(NEXT) | instid1(SALU_CYCLE_1)
	s_mul_i32 s27, s27, s2
	s_sub_co_i32 s27, s33, s27
	s_delay_alu instid0(SALU_CYCLE_1) | instskip(SKIP_2) | instid1(SALU_CYCLE_1)
	s_sub_co_i32 s33, s27, s2
	s_cmp_ge_u32 s27, s2
	s_cselect_b32 s27, s33, s27
	s_sub_co_i32 s33, s27, s2
	s_cmp_ge_u32 s27, s2
	s_cselect_b32 s2, s33, s27
	s_delay_alu instid0(SALU_CYCLE_1) | instskip(NEXT) | instid1(SALU_CYCLE_1)
	s_xor_b32 s2, s2, s31
	s_sub_co_i32 s40, s2, s31
	s_delay_alu instid0(SALU_CYCLE_1) | instskip(SKIP_2) | instid1(SALU_CYCLE_1)
	s_ashr_i32 s41, s40, 31
	s_wait_kmcnt 0x0
	s_mul_u64 s[34:35], s[34:35], s[40:41]
	s_add_nc_u64 s[34:35], s[10:11], s[34:35]
.LBB13_2:
	s_bfe_u32 s2, ttmp6, 0x4000c
	v_and_b32_e32 v14, 0x3ff, v0
	v_bfe_u32 v5, v0, 10, 10
	s_add_co_i32 s2, s2, 1
	s_and_b32 s10, ttmp6, 15
	s_mul_i32 s2, ttmp9, s2
	s_movk_i32 s11, 0x90
	s_sub_co_i32 s33, s25, s26
	s_add_co_i32 s10, s10, s2
	v_cmp_gt_u32_e64 s2, 18, v14
	v_mad_u32_u24 v13, v5, s11, 0x14e0
	v_dual_lshlrev_b32 v17, 3, v14 :: v_dual_bitop2_b32 v0, 7, v5 bitop3:0x40
	v_lshrrev_b32_e32 v15, 3, v5
	s_cmp_eq_u32 s24, 0
	s_cselect_b32 s31, ttmp9, s10
	s_and_saveexec_b32 s10, s2
	s_cbranch_execz .LBB13_4
; %bb.3:
	v_add_nc_u32_e32 v2, s31, v15
	s_load_b96 s[40:42], s[0:1], 0x70
	v_lshlrev_b32_e32 v8, 4, v14
	s_delay_alu instid0(VALU_DEP_2) | instskip(NEXT) | instid1(VALU_DEP_1)
	v_mul_hi_u32 v1, s20, v2
	v_add_nc_u32_e32 v1, v2, v1
	s_delay_alu instid0(VALU_DEP_1)
	v_lshrrev_b32_e32 v1, s21, v1
	s_wait_kmcnt 0x0
	s_ashr_i32 s27, s41, 31
	s_mov_b32 s26, s41
	s_mul_i32 s44, s33, s41
	s_lshr_b64 s[26:27], s[26:27], 2
	v_mul_lo_u32 v4, v1, s22
	v_mov_b32_e32 v1, 0
	s_ashr_i32 s41, s40, 31
	s_ashr_i32 s45, s44, 31
	s_delay_alu instid0(VALU_DEP_1) | instskip(SKIP_2) | instid1(VALU_DEP_4)
	v_dual_mov_b32 v3, v1 :: v_dual_mov_b32 v9, v1
	v_mul_u64_e32 v[6:7], s[26:27], v[0:1]
	s_lshr_b64 s[26:27], s[40:41], 2
	v_sub_nc_u32_e32 v2, v2, v4
	s_delay_alu instid0(VALU_DEP_1) | instskip(SKIP_1) | instid1(SALU_CYCLE_1)
	v_mul_u64_e32 v[2:3], s[26:27], v[2:3]
	s_mul_i32 s26, s28, s42
	s_ashr_i32 s27, s26, 31
	s_delay_alu instid0(SALU_CYCLE_1) | instskip(NEXT) | instid1(SALU_CYCLE_1)
	s_add_nc_u64 s[4:5], s[4:5], s[26:27]
	s_add_nc_u64 s[4:5], s[4:5], s[44:45]
	s_delay_alu instid0(VALU_DEP_3) | instid1(SALU_CYCLE_1)
	v_lshl_add_u64 v[6:7], v[6:7], 2, s[4:5]
	s_load_b32 s4, s[0:1], 0x40
	s_delay_alu instid0(VALU_DEP_1) | instskip(NEXT) | instid1(VALU_DEP_1)
	v_lshl_add_u64 v[2:3], v[2:3], 2, v[6:7]
	v_add_nc_u64_e32 v[2:3], v[2:3], v[8:9]
	global_load_b128 v[6:9], v[2:3], off
	s_wait_loadcnt 0x0
	s_wait_kmcnt 0x0
	v_fma_mixlo_f16 v1, s4, v6, 0
	v_mov_b32_e32 v6, v9
	s_delay_alu instid0(VALU_DEP_2) | instskip(NEXT) | instid1(VALU_DEP_2)
	v_and_b32_e32 v1, 0xffff, v1
	v_pk_mul_f32 v[2:3], s[4:5], v[6:7] op_sel_hi:[0,1]
	s_delay_alu instid0(VALU_DEP_1) | instskip(SKIP_1) | instid1(VALU_DEP_2)
	v_cvt_pk_f16_f32 v2, v2, v3
	v_fma_mixlo_f16 v3, s4, v8, 0
	v_and_b32_e32 v4, 0xffff0000, v2
	s_delay_alu instid0(VALU_DEP_2) | instskip(NEXT) | instid1(VALU_DEP_2)
	v_and_b32_e32 v3, 0xffff, v3
	v_dual_lshlrev_b32 v2, 16, v2 :: v_dual_bitop2_b32 v1, v4, v1 bitop3:0x54
	v_add_nc_u32_e32 v4, v13, v17
	s_delay_alu instid0(VALU_DEP_2) | instskip(NEXT) | instid1(VALU_DEP_3)
	v_or3_b32 v3, v2, v3, 0
	v_or3_b32 v2, 0, 0, v1
	ds_store_b64 v4, v[2:3]
.LBB13_4:
	s_or_b32 exec_lo, exec_lo, s10
	s_cmp_eq_u64 s[14:15], 0
	s_wait_dscnt 0x0
	s_barrier_signal -1
	s_barrier_wait -1
	s_cbranch_scc1 .LBB13_6
; %bb.5:
	s_load_b32 s4, s[0:1], 0xd0
	s_wait_kmcnt 0x0
	s_mul_i32 s4, s4, s28
	s_delay_alu instid0(SALU_CYCLE_1)
	s_add_co_i32 s4, s4, s31
	s_load_b32 s30, s[14:15], s4 offset:0x0 scale_offset
.LBB13_6:
	s_wait_xcnt 0x0
	s_bfe_u32 s4, ttmp6, 0x40010
	s_and_b32 s5, ttmp7, 0xffff
	s_add_co_i32 s4, s4, 1
	s_bfe_u32 s10, ttmp6, 0x40004
	s_mul_i32 s4, s5, s4
	v_mbcnt_lo_u32_b32 v1, -1, 0
	s_add_co_i32 s10, s10, s4
	s_cmp_eq_u32 s24, 0
	s_cselect_b32 s38, s5, s10
	s_mov_b32 s5, 0
	s_lshl_b32 s4, s38, 5
	s_wait_kmcnt 0x0
	s_cmp_lt_i32 s4, s30
	s_cbranch_scc1 .LBB13_9
; %bb.7:
	v_mbcnt_lo_u32_b32 v2, -1, 0
	s_delay_alu instid0(VALU_DEP_1)
	v_dual_mov_b32 v18, 32 :: v_dual_bitop2_b32 v23, 16, v2 bitop3:0x14
	v_xor_b32_e32 v22, 8, v2
	v_xor_b32_e32 v21, 4, v2
	v_xor_b32_e32 v20, 2, v2
	v_xor_b32_e32 v19, 1, v2
	v_lshlrev_b32_e32 v16, 2, v14
	s_and_not1_b32 vcc_lo, exec_lo, s5
	s_cbranch_vccz .LBB13_10
; %bb.8:
	v_dual_mov_b32 v32, 0 :: v_dual_mov_b32 v34, 0
	v_dual_mov_b32 v12, 0xfeffffff :: v_dual_mov_b32 v33, 0
	s_branch .LBB13_18
.LBB13_9:
                                        ; implicit-def: $vgpr2
                                        ; implicit-def: $vgpr18
                                        ; implicit-def: $vgpr23
                                        ; implicit-def: $vgpr22
                                        ; implicit-def: $vgpr21
                                        ; implicit-def: $vgpr20
                                        ; implicit-def: $vgpr19
	v_lshlrev_b32_e32 v16, 2, v14
.LBB13_10:
	v_dual_add_nc_u32 v9, s31, v15 :: v_dual_lshrrev_b32 v3, 3, v14
	s_clause 0x1
	s_load_b64 s[14:15], s[0:1], 0x8c
	s_load_b128 s[24:27], s[0:1], 0x98
	s_mul_f32 s5, s36, 0x4f7ffffe
	s_sub_co_i32 s10, 0, s39
	v_mul_hi_u32 v2, s20, v9
	v_lshl_add_u32 v12, v5, 2, v3
	s_cvt_u32_f32 s5, s5
	s_abs_i32 s36, s33
	s_mov_b32 s11, s37
	s_load_b64 s[40:41], s[0:1], 0xa8
	s_mul_i32 s10, s10, s5
	s_ashr_i32 s42, s33, 31
	s_mul_hi_u32 s10, s5, s10
	s_ashr_i32 s43, s29, 31
	s_add_co_i32 s10, s5, s10
	v_dual_add_nc_u32 v2, v9, v2 :: v_dual_bitop2_b32 v6, 28, v16 bitop3:0x40
	s_mul_u64 s[10:11], s[36:37], s[10:11]
	s_ashr_i32 s3, s3, 1
	s_mul_i32 s5, s11, s39
	s_delay_alu instid0(VALU_DEP_1) | instskip(SKIP_3) | instid1(VALU_DEP_1)
	v_dual_lshrrev_b32 v3, s21, v2 :: v_dual_mov_b32 v7, 0
	s_sub_co_i32 s5, s36, s5
	s_ashr_i32 s29, s28, 31
	s_xor_b32 s37, s42, s43
	v_mul_lo_u32 v18, v3, s22
	s_wait_kmcnt 0x0
	s_ashr_i32 s10, s26, 2
	s_ashr_i32 s14, s14, 2
	s_add_co_i32 s26, s11, 1
	s_sub_co_i32 s36, s5, s39
	v_lshl_add_u32 v11, v5, 5, v14
	s_cmp_ge_u32 s5, s39
	v_mul_lo_u32 v2, s14, v12
	s_cselect_b32 s11, s26, s11
	s_cselect_b32 s5, s36, s5
	s_add_co_i32 s26, s11, 1
	v_mul_lo_u32 v4, s14, v11
	v_mul_lo_u32 v8, s10, v11
	;; [unrolled: 1-line block ×3, first 2 shown]
	v_dual_mov_b32 v18, 32 :: v_dual_sub_nc_u32 v9, v9, v18
	s_cmp_ge_u32 s5, s39
	v_lshlrev_b32_e32 v19, 2, v6
	s_cselect_b32 s5, s26, s11
	s_delay_alu instid0(VALU_DEP_2)
	v_mad_u32 v28, v9, s3, v14
	s_xor_b32 s5, s5, s37
	s_mul_u64 s[24:25], s[24:25], s[28:29]
	s_sub_co_i32 s5, s5, s37
	s_movk_i32 s3, 0x90
	s_mul_i32 s36, s5, s15
	s_mul_i32 s20, s5, s27
	s_movk_i32 s5, 0x80
	s_add_nc_u64 s[6:7], s[6:7], s[24:25]
	s_mul_u64 s[24:25], s[40:41], s[28:29]
	v_cmp_gt_u32_e32 vcc_lo, 32, v11
	v_dual_ashrrev_i32 v3, 31, v2 :: v_dual_ashrrev_i32 v9, 31, v8
	v_mul_u32_u24_e32 v25, 0xa0, v14
	v_lshl_add_u32 v26, v5, 6, 0x1960
	v_ashrrev_i32_e32 v5, 31, v4
	v_mad_u32_u24 v24, 0xa0, v12, v19
	v_mad_u32_u24 v27, 0xa0, v11, s5
	v_mad_u32_u24 v29, v11, s3, 0x80
	v_dual_ashrrev_i32 v11, 31, v10 :: v_dual_bitop2_b32 v23, 16, v1 bitop3:0x14
	v_mad_u32_u24 v30, 0x90, v12, v19
	v_dual_mov_b32 v35, 0xfeffffff :: v_dual_lshlrev_b32 v6, 2, v6
	v_dual_mov_b32 v33, v7 :: v_dual_bitop2_b32 v22, 8, v1 bitop3:0x14
	v_dual_mov_b32 v32, v7 :: v_dual_bitop2_b32 v21, 4, v1 bitop3:0x14
	;; [unrolled: 1-line block ×3, first 2 shown]
	v_xor_b32_e32 v19, 1, v1
	s_ashr_i32 s37, s36, 31
	s_add_nc_u64 s[8:9], s[8:9], s[24:25]
	s_ashr_i32 s21, s20, 31
	s_add_nc_u64 s[6:7], s[6:7], s[36:37]
	s_add_nc_u64 s[8:9], s[8:9], s[20:21]
	s_ashr_i32 s15, s14, 31
	s_ashr_i32 s11, s10, 31
	s_add_nc_u64 s[20:21], s[0:1], 0xd0
.LBB13_11:                              ; =>This Inner Loop Header: Depth=1
	s_ashr_i32 s5, s4, 31
	s_delay_alu instid0(SALU_CYCLE_1) | instskip(NEXT) | instid1(SALU_CYCLE_1)
	s_mul_u64 s[24:25], s[4:5], s[14:15]
	s_lshl_b64 s[24:25], s[24:25], 2
	s_delay_alu instid0(SALU_CYCLE_1)
	s_add_nc_u64 s[24:25], s[6:7], s[24:25]
	s_and_saveexec_b32 s3, vcc_lo
	s_cbranch_execz .LBB13_13
; %bb.12:                               ;   in Loop: Header=BB13_11 Depth=1
	v_lshl_add_u64 v[36:37], v[4:5], 2, s[24:25]
	global_load_b128 v[36:39], v[36:37], off offset:128
	s_wait_loadcnt 0x0
	ds_store_b128 v27, v[36:39]
.LBB13_13:                              ;   in Loop: Header=BB13_11 Depth=1
	s_or_b32 exec_lo, exec_lo, s3
	v_lshl_add_u64 v[36:37], v[2:3], 2, s[24:25]
	v_dual_mov_b32 v34, 0 :: v_dual_add_nc_u32 v12, s4, v28
	v_cmp_gt_i32_e64 s3, 32, v23
	s_mul_u64 s[24:25], s[4:5], s[10:11]
	v_add_nc_u64_e32 v[36:37], v[36:37], v[6:7]
	s_lshl_b64 s[24:25], s[24:25], 2
	s_delay_alu instid0(SALU_CYCLE_1)
	s_add_nc_u64 s[24:25], s[8:9], s[24:25]
	global_load_b128 v[36:39], v[36:37], off
	s_wait_loadcnt 0x0
	ds_store_b128 v24, v[36:39]
	s_wait_dscnt 0x0
	s_barrier_signal -1
	s_barrier_wait -1
	ds_load_b128 v[36:39], v25
	ds_load_b128 v[40:43], v13
	s_wait_dscnt 0x0
	;;#ASMSTART
	v_dot2_f32_f16 v34, v36, v40, v34
	;;#ASMEND
	;;#ASMSTART
	v_dot2_f32_f16 v34, v37, v41, v34
	;;#ASMEND
	;;#ASMSTART
	v_dot2_f32_f16 v34, v38, v42, v34
	;;#ASMEND
	;;#ASMSTART
	v_dot2_f32_f16 v34, v39, v43, v34
	;;#ASMEND
	ds_load_b128 v[36:39], v25 offset:16
	ds_load_b128 v[40:43], v13 offset:16
	s_wait_dscnt 0x0
	;;#ASMSTART
	v_dot2_f32_f16 v34, v36, v40, v34
	;;#ASMEND
	;;#ASMSTART
	v_dot2_f32_f16 v34, v37, v41, v34
	;;#ASMEND
	;;#ASMSTART
	v_dot2_f32_f16 v34, v38, v42, v34
	;;#ASMEND
	;;#ASMSTART
	v_dot2_f32_f16 v34, v39, v43, v34
	;;#ASMEND
	ds_load_b128 v[36:39], v25 offset:32
	ds_load_b128 v[40:43], v13 offset:32
	;; [unrolled: 15-line block ×8, first 2 shown]
	s_wait_dscnt 0x0
	;;#ASMSTART
	v_dot2_f32_f16 v34, v36, v40, v34
	;;#ASMEND
	;;#ASMSTART
	v_dot2_f32_f16 v34, v37, v41, v34
	;;#ASMEND
	;; [unrolled: 3-line block ×4, first 2 shown]
	global_load_u16 v12, v12, s[34:35] scale_offset
	s_wait_loadcnt 0x0
	s_barrier_signal -1
	s_barrier_wait -1
	s_wait_xcnt 0x0
	v_cvt_f32_f16_e32 v12, v12
	s_delay_alu instid0(VALU_DEP_1) | instskip(SKIP_2) | instid1(VALU_DEP_3)
	v_dual_add_f32 v34, v34, v12 :: v_dual_cndmask_b32 v12, v1, v23, s3
	v_max_num_f32_e32 v36, v35, v35
	v_cmp_gt_i32_e64 s3, 32, v22
	v_dual_add_f32 v37, 0x40051340, v34 :: v_dual_lshlrev_b32 v12, 2, v12
	s_delay_alu instid0(VALU_DEP_1) | instskip(SKIP_4) | instid1(VALU_DEP_2)
	v_max_num_f32_e32 v36, v36, v37
	ds_bpermute_b32 v12, v12, v36
	v_cndmask_b32_e64 v37, v1, v22, s3
	v_cmp_gt_i32_e64 s3, 32, v21
	s_wait_dscnt 0x0
	v_dual_max_num_f32 v12, v12, v12 :: v_dual_lshlrev_b32 v37, 2, v37
	s_delay_alu instid0(VALU_DEP_1) | instskip(SKIP_4) | instid1(VALU_DEP_2)
	v_max_num_f32_e32 v12, v36, v12
	ds_bpermute_b32 v36, v37, v12
	v_cndmask_b32_e64 v37, v1, v21, s3
	v_cmp_gt_i32_e64 s3, 32, v20
	s_wait_dscnt 0x0
	v_dual_max_num_f32 v36, v36, v36 :: v_dual_lshlrev_b32 v37, 2, v37
	;; [unrolled: 7-line block ×3, first 2 shown]
	s_delay_alu instid0(VALU_DEP_1) | instskip(SKIP_3) | instid1(VALU_DEP_1)
	v_max_num_f32_e32 v12, v12, v36
	ds_bpermute_b32 v36, v37, v12
	v_cndmask_b32_e64 v37, v1, v19, s3
	s_wait_dscnt 0x0
	v_dual_max_num_f32 v36, v36, v36 :: v_dual_lshlrev_b32 v37, 2, v37
	s_delay_alu instid0(VALU_DEP_1) | instskip(SKIP_3) | instid1(VALU_DEP_1)
	v_max_num_f32_e32 v12, v12, v36
	ds_bpermute_b32 v36, v37, v12
	s_wait_dscnt 0x0
	v_max_num_f32_e32 v36, v36, v36
	v_max_num_f32_e32 v12, v12, v36
	s_delay_alu instid0(VALU_DEP_1) | instskip(NEXT) | instid1(VALU_DEP_1)
	v_sub_f32_e32 v34, v34, v12
	v_mul_f32_e32 v36, 0x3fb8aa3b, v34
	s_delay_alu instid0(VALU_DEP_1) | instskip(SKIP_1) | instid1(VALU_DEP_2)
	v_fma_f32 v37, 0x3fb8aa3b, v34, -v36
	v_rndne_f32_e32 v38, v36
	v_fmac_f32_e32 v37, 0x32a5705f, v34
	s_delay_alu instid0(VALU_DEP_2) | instskip(NEXT) | instid1(VALU_DEP_1)
	v_sub_f32_e32 v36, v36, v38
	v_add_f32_e32 v36, v36, v37
	v_cvt_i32_f32_e32 v37, v38
	v_cmp_ngt_f32_e64 s3, 0xc2ce8ed0, v34
	s_delay_alu instid0(VALU_DEP_3) | instskip(SKIP_1) | instid1(TRANS32_DEP_1)
	v_exp_f32_e32 v36, v36
	v_nop
	v_ldexp_f32 v36, v36, v37
	v_lshl_add_u32 v37, v14, 1, v26
	s_delay_alu instid0(VALU_DEP_2) | instskip(SKIP_1) | instid1(VALU_DEP_1)
	v_cndmask_b32_e64 v36, 0, v36, s3
	v_cmp_nlt_f32_e64 s3, 0x42b17218, v34
	v_cndmask_b32_e64 v34, 0x7f800000, v36, s3
	s_delay_alu instid0(VALU_DEP_1)
	v_cvt_f16_f32_e32 v36, v34
	ds_store_b16 v37, v36
	s_and_saveexec_b32 s3, vcc_lo
	s_cbranch_execz .LBB13_15
; %bb.14:                               ;   in Loop: Header=BB13_11 Depth=1
	v_lshl_add_u64 v[36:37], v[8:9], 2, s[24:25]
	global_load_b128 v[36:39], v[36:37], off offset:128
	s_wait_loadcnt 0x0
	ds_store_b128 v29, v[36:39]
.LBB13_15:                              ;   in Loop: Header=BB13_11 Depth=1
	s_or_b32 exec_lo, exec_lo, s3
	v_lshl_add_u64 v[36:37], v[10:11], 2, s[24:25]
	v_dual_sub_f32 v35, v35, v12 :: v_dual_add_nc_u32 v60, 0x800, v17
	s_delay_alu instid0(VALU_DEP_2)
	v_add_nc_u64_e32 v[36:37], v[36:37], v[6:7]
	global_load_b128 v[36:39], v[36:37], off
	s_wait_loadcnt 0x0
	ds_store_b128 v30, v[36:39]
	s_wait_dscnt 0x0
	s_barrier_signal -1
	s_barrier_wait -1
	ds_load_b128 v[36:39], v26
	v_mul_f32_e32 v40, 0x3fb8aa3b, v35
	s_delay_alu instid0(VALU_DEP_1) | instskip(SKIP_1) | instid1(VALU_DEP_1)
	v_fma_f32 v41, 0x3fb8aa3b, v35, -v40
	v_rndne_f32_e32 v42, v40
	v_dual_sub_f32 v40, v40, v42 :: v_dual_fmac_f32 v41, 0x32a5705f, v35
	v_cmp_ngt_f32_e64 s3, 0xc2ce8ed0, v35
	s_delay_alu instid0(VALU_DEP_2) | instskip(SKIP_1) | instid1(VALU_DEP_2)
	v_add_f32_e32 v40, v40, v41
	v_cvt_i32_f32_e32 v41, v42
	v_exp_f32_e32 v40, v40
	v_nop
	s_delay_alu instid0(TRANS32_DEP_1) | instskip(NEXT) | instid1(VALU_DEP_1)
	v_ldexp_f32 v40, v40, v41
	v_cndmask_b32_e64 v44, 0, v40, s3
	ds_load_2addr_b64 v[40:43], v17 offset1:18
	v_cmp_nlt_f32_e64 s3, 0x42b17218, v35
	s_delay_alu instid0(VALU_DEP_1)
	v_cndmask_b32_e64 v35, 0x7f800000, v44, s3
	ds_load_b128 v[44:47], v26 offset:16
	s_wait_dscnt 0x2
	v_and_b32_e32 v52, 0xffff, v36
	v_lshrrev_b32_e32 v36, 16, v36
	v_and_b32_e32 v57, 0xffff, v37
	v_cvt_f16_f32_e32 v48, v35
	v_lshrrev_b32_e32 v37, 16, v37
	v_mul_u32_u24_e32 v52, 0x10001, v52
	v_mul_u32_u24_e32 v36, 0x10001, v36
	v_dual_fmac_f32 v34, v31, v35 :: v_dual_add_nc_u32 v61, 0xc00, v17
	v_and_b32_e32 v53, 0xffff, v48
	ds_load_2addr_b64 v[48:51], v17 offset0:36 offset1:54
	v_mul_u32_u24_e32 v37, 0x10001, v37
	s_wait_dscnt 0x2
	v_pk_mul_f16 v40, v40, v52
	v_pk_mul_f16 v41, v41, v52
	v_mul_u32_u24_e32 v56, 0x10001, v53
	ds_load_2addr_b64 v[52:55], v17 offset0:72 offset1:90
	v_pk_fma_f16 v33, v33, v56, v40
	v_pk_fma_f16 v32, v32, v56, v41
	v_mul_u32_u24_e32 v56, 0x10001, v57
	s_wait_dscnt 0x2
	v_and_b32_e32 v57, 0xffff, v45
	v_lshrrev_b32_e32 v45, 16, v45
	v_pk_fma_f16 v33, v42, v36, v33
	v_pk_fma_f16 v32, v43, v36, v32
	ds_load_2addr_b64 v[40:43], v17 offset0:108 offset1:126
	v_and_b32_e32 v36, 0xffff, v38
	v_lshrrev_b32_e32 v38, 16, v38
	v_mul_u32_u24_e32 v57, 0x10001, v57
	s_wait_dscnt 0x2
	v_pk_fma_f16 v33, v48, v56, v33
	v_pk_fma_f16 v32, v49, v56, v32
	v_mul_u32_u24_e32 v36, 0x10001, v36
	v_mul_u32_u24_e32 v38, 0x10001, v38
	v_add_nc_u32_e32 v56, 0x400, v17
	v_pk_fma_f16 v33, v50, v37, v33
	v_pk_fma_f16 v32, v51, v37, v32
	ds_load_2addr_b64 v[48:51], v17 offset0:144 offset1:162
	v_and_b32_e32 v37, 0xffff, v39
	v_mul_u32_u24_e32 v45, 0x10001, v45
	s_wait_dscnt 0x2
	v_pk_fma_f16 v33, v52, v36, v33
	v_pk_fma_f16 v32, v53, v36, v32
	v_lshrrev_b32_e32 v52, 16, v39
	v_mul_u32_u24_e32 v53, 0x10001, v37
	s_delay_alu instid0(VALU_DEP_4) | instskip(NEXT) | instid1(VALU_DEP_4)
	v_pk_fma_f16 v33, v54, v38, v33
	v_pk_fma_f16 v32, v55, v38, v32
	ds_load_2addr_b64 v[36:39], v17 offset0:180 offset1:198
	v_and_b32_e32 v54, 0xffff, v44
	v_mul_u32_u24_e32 v52, 0x10001, v52
	s_wait_dscnt 0x2
	v_pk_fma_f16 v33, v40, v53, v33
	v_pk_fma_f16 v32, v41, v53, v32
	v_lshrrev_b32_e32 v44, 16, v44
	v_mul_u32_u24_e32 v53, 0x10001, v54
	s_delay_alu instid0(VALU_DEP_4) | instskip(NEXT) | instid1(VALU_DEP_4)
	v_pk_fma_f16 v33, v42, v52, v33
	v_pk_fma_f16 v32, v43, v52, v32
	ds_load_2addr_b64 v[40:43], v17 offset0:216 offset1:234
	v_mul_u32_u24_e32 v44, 0x10001, v44
	s_wait_dscnt 0x2
	v_pk_fma_f16 v33, v48, v53, v33
	v_pk_fma_f16 v32, v49, v53, v32
	ds_load_b128 v[52:55], v26 offset:32
	v_pk_fma_f16 v33, v50, v44, v33
	v_pk_fma_f16 v32, v51, v44, v32
	ds_load_2addr_b64 v[48:51], v56 offset0:124 offset1:142
	v_and_b32_e32 v44, 0xffff, v46
	v_lshrrev_b32_e32 v46, 16, v46
	s_wait_dscnt 0x3
	v_pk_fma_f16 v33, v36, v57, v33
	v_pk_fma_f16 v32, v37, v57, v32
	ds_load_b128 v[56:59], v26 offset:48
	v_mul_u32_u24_e32 v44, 0x10001, v44
	v_pk_fma_f16 v33, v38, v45, v33
	v_pk_fma_f16 v32, v39, v45, v32
	ds_load_2addr_b64 v[36:39], v60 offset0:32 offset1:50
	v_and_b32_e32 v45, 0xffff, v47
	s_wait_dscnt 0x4
	v_pk_fma_f16 v33, v40, v44, v33
	v_pk_fma_f16 v32, v41, v44, v32
	v_lshrrev_b32_e32 v44, 16, v47
	v_mul_u32_u24_e32 v46, 0x10001, v46
	v_mul_u32_u24_e32 v45, 0x10001, v45
	s_wait_dscnt 0x3
	v_and_b32_e32 v64, 0xffff, v55
	v_mul_u32_u24_e32 v44, 0x10001, v44
	v_pk_fma_f16 v33, v42, v46, v33
	v_pk_fma_f16 v32, v43, v46, v32
	ds_load_2addr_b64 v[40:43], v60 offset0:68 offset1:86
	v_and_b32_e32 v46, 0xffff, v52
	s_wait_dscnt 0x3
	v_pk_fma_f16 v33, v48, v45, v33
	v_pk_fma_f16 v32, v49, v45, v32
	v_lshrrev_b32_e32 v48, 16, v52
	v_mul_u32_u24_e32 v49, 0x10001, v46
	v_add_nc_u32_e32 v52, 0x1000, v17
	v_pk_fma_f16 v33, v50, v44, v33
	v_pk_fma_f16 v32, v51, v44, v32
	ds_load_2addr_b64 v[44:47], v60 offset0:104 offset1:122
	v_and_b32_e32 v50, 0xffff, v53
	s_wait_dscnt 0x2
	v_pk_fma_f16 v33, v36, v49, v33
	v_pk_fma_f16 v32, v37, v49, v32
	v_lshrrev_b32_e32 v49, 16, v53
	v_mul_u32_u24_e32 v48, 0x10001, v48
	v_mul_u32_u24_e32 v50, 0x10001, v50
	v_and_b32_e32 v53, 0xffff, v54
	v_lshrrev_b32_e32 v54, 16, v54
	v_mul_u32_u24_e32 v62, 0x10001, v49
	v_pk_fma_f16 v33, v38, v48, v33
	v_pk_fma_f16 v32, v39, v48, v32
	ds_load_2addr_b64 v[36:39], v60 offset0:140 offset1:158
	v_mul_u32_u24_e32 v53, 0x10001, v53
	s_wait_dscnt 0x2
	v_pk_fma_f16 v33, v40, v50, v33
	v_pk_fma_f16 v32, v41, v50, v32
	ds_load_2addr_b64 v[48:51], v60 offset0:176 offset1:194
	v_pk_fma_f16 v33, v42, v62, v33
	v_pk_fma_f16 v32, v43, v62, v32
	ds_load_2addr_b64 v[40:43], v60 offset0:212 offset1:230
	ds_load_2addr_b64 v[60:63], v61 offset0:120 offset1:138
	s_wait_dscnt 0x4
	v_pk_fma_f16 v33, v44, v53, v33
	v_pk_fma_f16 v32, v45, v53, v32
	v_lshrrev_b32_e32 v53, 16, v55
	v_mul_u32_u24_e32 v54, 0x10001, v54
	v_mul_u32_u24_e32 v55, 0x10001, v64
	s_delay_alu instid0(VALU_DEP_3) | instskip(NEXT) | instid1(VALU_DEP_3)
	v_mul_u32_u24_e32 v53, 0x10001, v53
	v_pk_fma_f16 v33, v46, v54, v33
	v_pk_fma_f16 v32, v47, v54, v32
	ds_load_2addr_b64 v[44:47], v52 offset0:28 offset1:46
	v_and_b32_e32 v52, 0xffff, v56
	s_wait_dscnt 0x0
	v_pk_fma_f16 v33, v36, v55, v33
	v_pk_fma_f16 v32, v37, v55, v32
	v_lshrrev_b32_e32 v36, 16, v56
	v_mul_u32_u24_e32 v37, 0x10001, v52
	s_barrier_signal -1
	v_pk_fma_f16 v33, v38, v53, v33
	v_pk_fma_f16 v32, v39, v53, v32
	v_and_b32_e32 v38, 0xffff, v57
	s_barrier_wait -1
	s_delay_alu instid0(VALU_DEP_3) | instskip(NEXT) | instid1(VALU_DEP_3)
	v_pk_fma_f16 v33, v48, v37, v33
	v_pk_fma_f16 v32, v49, v37, v32
	v_lshrrev_b32_e32 v37, 16, v57
	v_mul_u32_u24_e32 v36, 0x10001, v36
	v_mul_u32_u24_e32 v38, 0x10001, v38
	s_load_b32 s3, s[20:21], 0x4
	s_delay_alu instid0(VALU_DEP_3) | instskip(NEXT) | instid1(VALU_DEP_3)
	v_mul_u32_u24_e32 v37, 0x10001, v37
	v_pk_fma_f16 v33, v50, v36, v33
	v_pk_fma_f16 v32, v51, v36, v32
	v_and_b32_e32 v36, 0xffff, v58
	s_delay_alu instid0(VALU_DEP_3) | instskip(NEXT) | instid1(VALU_DEP_3)
	v_pk_fma_f16 v33, v40, v38, v33
	v_pk_fma_f16 v32, v41, v38, v32
	v_lshrrev_b32_e32 v38, 16, v58
	s_delay_alu instid0(VALU_DEP_4) | instskip(NEXT) | instid1(VALU_DEP_4)
	v_mul_u32_u24_e32 v36, 0x10001, v36
	v_pk_fma_f16 v33, v42, v37, v33
	s_delay_alu instid0(VALU_DEP_4) | instskip(SKIP_1) | instid1(VALU_DEP_3)
	v_pk_fma_f16 v32, v43, v37, v32
	v_and_b32_e32 v37, 0xffff, v59
	v_pk_fma_f16 v33, v60, v36, v33
	s_delay_alu instid0(VALU_DEP_3)
	v_pk_fma_f16 v32, v61, v36, v32
	v_lshrrev_b32_e32 v36, 16, v59
	v_mul_u32_u24_e32 v38, 0x10001, v38
	v_mul_u32_u24_e32 v37, 0x10001, v37
	s_wait_kmcnt 0x0
	s_lshl_b32 s3, s3, 5
	v_mul_u32_u24_e32 v36, 0x10001, v36
	v_pk_fma_f16 v33, v62, v38, v33
	v_pk_fma_f16 v32, v63, v38, v32
	s_add_co_i32 s4, s3, s4
	s_delay_alu instid0(SALU_CYCLE_1) | instskip(NEXT) | instid1(VALU_DEP_2)
	s_cmp_ge_i32 s4, s30
	v_pk_fma_f16 v33, v44, v37, v33
	s_delay_alu instid0(VALU_DEP_2) | instskip(NEXT) | instid1(VALU_DEP_2)
	v_pk_fma_f16 v32, v45, v37, v32
	v_pk_fma_f16 v33, v46, v36, v33
	s_delay_alu instid0(VALU_DEP_2)
	v_pk_fma_f16 v32, v47, v36, v32
	s_cbranch_scc1 .LBB13_17
; %bb.16:                               ;   in Loop: Header=BB13_11 Depth=1
	v_dual_mov_b32 v35, v12 :: v_dual_mov_b32 v31, v34
	s_branch .LBB13_11
.LBB13_17:
	v_mov_b32_e32 v2, v1
.LBB13_18:
	v_cmp_lt_i32_e32 vcc_lo, v23, v18
	s_cmp_lg_u64 s[12:13], 0
	s_cselect_b32 s3, -1, 0
	s_cmp_eq_u32 s38, 0
	v_cndmask_b32_e32 v1, v2, v23, vcc_lo
	v_cmp_lt_i32_e32 vcc_lo, v22, v18
	s_cselect_b32 s4, -1, 0
	s_delay_alu instid0(SALU_CYCLE_1) | instskip(NEXT) | instid1(VALU_DEP_2)
	s_and_b32 s3, s4, s3
	v_dual_cndmask_b32 v3, v2, v22, vcc_lo :: v_dual_lshlrev_b32 v1, 2, v1
	v_cmp_lt_i32_e32 vcc_lo, v21, v18
	s_delay_alu instid0(VALU_DEP_2) | instskip(SKIP_4) | instid1(VALU_DEP_2)
	v_lshlrev_b32_e32 v3, 2, v3
	ds_bpermute_b32 v1, v1, v34
	v_cndmask_b32_e32 v4, v2, v21, vcc_lo
	v_cmp_lt_i32_e32 vcc_lo, v20, v18
	s_wait_dscnt 0x0
	v_dual_add_f32 v1, v34, v1 :: v_dual_lshlrev_b32 v4, 2, v4
	ds_bpermute_b32 v3, v3, v1
	s_wait_dscnt 0x0
	v_add_f32_e32 v1, v1, v3
	ds_bpermute_b32 v3, v4, v1
	v_cndmask_b32_e32 v4, v2, v20, vcc_lo
	v_cmp_lt_i32_e32 vcc_lo, v19, v18
	v_cndmask_b32_e32 v2, v2, v19, vcc_lo
	s_and_b32 vcc_lo, exec_lo, s3
	s_wait_dscnt 0x0
	v_dual_add_f32 v1, v1, v3 :: v_dual_lshlrev_b32 v4, 2, v4
	ds_bpermute_b32 v3, v4, v1
	s_wait_dscnt 0x0
	v_dual_add_f32 v1, v1, v3 :: v_dual_lshlrev_b32 v2, 2, v2
	ds_bpermute_b32 v3, v2, v1
	s_wait_dscnt 0x0
	v_dual_add_f32 v13, v1, v3 :: v_dual_add_nc_u32 v2, s33, v0
	s_cbranch_vccz .LBB13_20
; %bb.19:
	global_load_b32 v1, v2, s[12:13] scale_offset
	s_wait_loadcnt 0x0
	v_dual_max_num_f32 v0, v12, v12 :: v_dual_max_num_f32 v3, v1, v1
	s_delay_alu instid0(VALU_DEP_1) | instskip(NEXT) | instid1(VALU_DEP_1)
	v_max_num_f32_e32 v0, v0, v3
	v_sub_f32_e32 v1, v1, v0
	s_delay_alu instid0(VALU_DEP_1) | instskip(NEXT) | instid1(VALU_DEP_1)
	v_mul_f32_e32 v7, 0x3fb8aa3b, v1
	v_fma_f32 v8, 0x3fb8aa3b, v1, -v7
	v_sub_f32_e32 v3, v12, v0
	v_rndne_f32_e32 v9, v7
	s_delay_alu instid0(VALU_DEP_3) | instskip(NEXT) | instid1(VALU_DEP_3)
	v_fmac_f32_e32 v8, 0x32a5705f, v1
	v_mul_f32_e32 v4, 0x3fb8aa3b, v3
	v_cmp_ngt_f32_e32 vcc_lo, 0xc2ce8ed0, v3
	s_delay_alu instid0(VALU_DEP_2) | instskip(SKIP_1) | instid1(VALU_DEP_1)
	v_fma_f32 v5, 0x3fb8aa3b, v3, -v4
	v_rndne_f32_e32 v6, v4
	v_dual_fmac_f32 v5, 0x32a5705f, v3 :: v_dual_sub_f32 v4, v4, v6
	v_cvt_i32_f32_e32 v6, v6
	s_delay_alu instid0(VALU_DEP_2) | instskip(SKIP_1) | instid1(VALU_DEP_1)
	v_add_f32_e32 v4, v4, v5
	v_sub_f32_e32 v5, v7, v9
	v_add_f32_e32 v5, v5, v8
	s_delay_alu instid0(VALU_DEP_3) | instskip(NEXT) | instid1(VALU_DEP_1)
	v_exp_f32_e32 v4, v4
	v_exp_f32_e32 v5, v5
	s_delay_alu instid0(TRANS32_DEP_2) | instskip(SKIP_1) | instid1(VALU_DEP_2)
	v_ldexp_f32 v4, v4, v6
	v_cvt_i32_f32_e32 v6, v9
	v_cndmask_b32_e32 v4, 0, v4, vcc_lo
	v_cmp_nlt_f32_e32 vcc_lo, 0x42b17218, v3
	s_delay_alu instid0(VALU_DEP_2)
	v_cndmask_b32_e32 v3, 0x7f800000, v4, vcc_lo
	s_delay_alu instid0(TRANS32_DEP_1) | instid1(VALU_DEP_4)
	v_ldexp_f32 v4, v5, v6
	v_cmp_ngt_f32_e32 vcc_lo, 0xc2ce8ed0, v1
	s_delay_alu instid0(VALU_DEP_3) | instskip(NEXT) | instid1(VALU_DEP_3)
	v_cvt_f16_f32_e32 v5, v3
	v_cndmask_b32_e32 v4, 0, v4, vcc_lo
	v_cmp_nlt_f32_e32 vcc_lo, 0x42b17218, v1
	s_delay_alu instid0(VALU_DEP_3) | instskip(NEXT) | instid1(VALU_DEP_3)
	v_and_b32_e32 v5, 0xffff, v5
	v_cndmask_b32_e32 v1, 0x7f800000, v4, vcc_lo
	s_delay_alu instid0(VALU_DEP_2) | instskip(NEXT) | instid1(VALU_DEP_2)
	v_mul_u32_u24_e32 v4, 0x10001, v5
	v_fmac_f32_e32 v1, v13, v3
	s_delay_alu instid0(VALU_DEP_2) | instskip(SKIP_1) | instid1(VALU_DEP_3)
	v_pk_mul_f16 v33, v33, v4
	v_pk_mul_f16 v32, v32, v4
	v_mov_b64_e32 v[12:13], v[0:1]
	s_branch .LBB13_21
.LBB13_20:
	s_delay_alu instid0(VALU_DEP_1)
	v_mov_b32_e32 v1, v13
.LBB13_21:
	s_load_b32 s0, s[0:1], 0xd4
	s_wait_xcnt 0x0
	s_mul_i32 s1, s28, s22
	s_delay_alu instid0(SALU_CYCLE_1) | instskip(NEXT) | instid1(VALU_DEP_1)
	v_add3_u32 v0, s1, s31, v15
	v_mad_u32 v0, v0, s23, v2
	s_wait_kmcnt 0x0
	s_delay_alu instid0(VALU_DEP_1)
	v_mad_u32 v0, s0, v0, s38
	s_cmp_lg_u32 s0, 1
	s_cselect_b32 s0, -1, 0
	s_and_saveexec_b32 s1, s2
	s_cbranch_execz .LBB13_23
; %bb.22:
	v_div_scale_f32 v2, null, v1, v1, 1.0
	v_div_scale_f32 v5, vcc_lo, 1.0, v1, 1.0
	v_lshrrev_b32_e32 v7, 16, v32
	s_delay_alu instid0(VALU_DEP_3) | instskip(NEXT) | instid1(VALU_DEP_1)
	v_rcp_f32_e32 v3, v2
	v_cvt_f32_f16_e32 v7, v7
	s_delay_alu instid0(TRANS32_DEP_1) | instskip(NEXT) | instid1(VALU_DEP_1)
	v_fma_f32 v4, -v2, v3, 1.0
	v_fmac_f32_e32 v3, v4, v3
	s_delay_alu instid0(VALU_DEP_1) | instskip(NEXT) | instid1(VALU_DEP_1)
	v_mul_f32_e32 v4, v5, v3
	v_fma_f32 v6, -v2, v4, v5
	s_delay_alu instid0(VALU_DEP_1) | instskip(SKIP_1) | instid1(VALU_DEP_2)
	v_fmac_f32_e32 v4, v6, v3
	v_cvt_f32_f16_e32 v6, v32
	v_dual_fma_f32 v2, -v2, v4, v5 :: v_dual_lshrrev_b32 v5, 16, v33
	s_delay_alu instid0(VALU_DEP_1) | instskip(SKIP_2) | instid1(VALU_DEP_4)
	v_div_fmas_f32 v4, v2, v3, v4
	v_mad_u32 v2, 0x48, v0, v16
	v_mov_b32_e32 v3, 0
	v_cvt_f32_f16_e32 v5, v5
	s_delay_alu instid0(VALU_DEP_4) | instskip(SKIP_1) | instid1(VALU_DEP_2)
	v_div_fixup_f32 v1, v4, v1, 1.0
	v_cvt_f32_f16_e32 v4, v33
	v_cndmask_b32_e64 v8, v1, 1.0, s0
	v_lshl_add_u64 v[10:11], v[2:3], 2, s[16:17]
	s_delay_alu instid0(VALU_DEP_2)
	v_pk_mul_f32 v[2:3], v[8:9], v[4:5] op_sel_hi:[0,1]
	v_pk_mul_f32 v[4:5], v[8:9], v[6:7] op_sel_hi:[0,1]
	global_store_b128 v[10:11], v[2:5], off
.LBB13_23:
	s_wait_xcnt 0x0
	s_or_b32 exec_lo, exec_lo, s1
	v_cmp_eq_u32_e32 vcc_lo, 0, v14
	s_and_b32 s0, vcc_lo, s0
	s_delay_alu instid0(SALU_CYCLE_1)
	s_and_saveexec_b32 s1, s0
	s_cbranch_execz .LBB13_25
; %bb.24:
	global_store_b64 v0, v[12:13], s[18:19] scale_offset
.LBB13_25:
	s_sendmsg sendmsg(MSG_DEALLOC_VGPRS)
	s_endpgm
	.section	.rodata,"a",@progbits
	.p2align	6, 0x0
	.amdhsa_kernel _ZL15flash_attn_tileILi72ELi72ELi1ELi8ELb0EEvPKcS1_S1_S1_S1_PKiPfP15HIP_vector_typeIfLj2EEffffjfiS5_IjLj3EEiiiiiiiiiiiliiliiiiil
		.amdhsa_group_segment_fixed_size 7008
		.amdhsa_private_segment_fixed_size 0
		.amdhsa_kernarg_size 464
		.amdhsa_user_sgpr_count 2
		.amdhsa_user_sgpr_dispatch_ptr 0
		.amdhsa_user_sgpr_queue_ptr 0
		.amdhsa_user_sgpr_kernarg_segment_ptr 1
		.amdhsa_user_sgpr_dispatch_id 0
		.amdhsa_user_sgpr_kernarg_preload_length 0
		.amdhsa_user_sgpr_kernarg_preload_offset 0
		.amdhsa_user_sgpr_private_segment_size 0
		.amdhsa_wavefront_size32 1
		.amdhsa_uses_dynamic_stack 0
		.amdhsa_enable_private_segment 0
		.amdhsa_system_sgpr_workgroup_id_x 1
		.amdhsa_system_sgpr_workgroup_id_y 1
		.amdhsa_system_sgpr_workgroup_id_z 1
		.amdhsa_system_sgpr_workgroup_info 0
		.amdhsa_system_vgpr_workitem_id 1
		.amdhsa_next_free_vgpr 65
		.amdhsa_next_free_sgpr 46
		.amdhsa_named_barrier_count 0
		.amdhsa_reserve_vcc 1
		.amdhsa_float_round_mode_32 0
		.amdhsa_float_round_mode_16_64 0
		.amdhsa_float_denorm_mode_32 3
		.amdhsa_float_denorm_mode_16_64 3
		.amdhsa_fp16_overflow 0
		.amdhsa_memory_ordered 1
		.amdhsa_forward_progress 1
		.amdhsa_inst_pref_size 38
		.amdhsa_round_robin_scheduling 0
		.amdhsa_exception_fp_ieee_invalid_op 0
		.amdhsa_exception_fp_denorm_src 0
		.amdhsa_exception_fp_ieee_div_zero 0
		.amdhsa_exception_fp_ieee_overflow 0
		.amdhsa_exception_fp_ieee_underflow 0
		.amdhsa_exception_fp_ieee_inexact 0
		.amdhsa_exception_int_div_zero 0
	.end_amdhsa_kernel
	.section	.text._ZL15flash_attn_tileILi72ELi72ELi1ELi8ELb0EEvPKcS1_S1_S1_S1_PKiPfP15HIP_vector_typeIfLj2EEffffjfiS5_IjLj3EEiiiiiiiiiiiliiliiiiil,"axG",@progbits,_ZL15flash_attn_tileILi72ELi72ELi1ELi8ELb0EEvPKcS1_S1_S1_S1_PKiPfP15HIP_vector_typeIfLj2EEffffjfiS5_IjLj3EEiiiiiiiiiiiliiliiiiil,comdat
.Lfunc_end13:
	.size	_ZL15flash_attn_tileILi72ELi72ELi1ELi8ELb0EEvPKcS1_S1_S1_S1_PKiPfP15HIP_vector_typeIfLj2EEffffjfiS5_IjLj3EEiiiiiiiiiiiliiliiiiil, .Lfunc_end13-_ZL15flash_attn_tileILi72ELi72ELi1ELi8ELb0EEvPKcS1_S1_S1_S1_PKiPfP15HIP_vector_typeIfLj2EEffffjfiS5_IjLj3EEiiiiiiiiiiiliiliiiiil
                                        ; -- End function
	.set _ZL15flash_attn_tileILi72ELi72ELi1ELi8ELb0EEvPKcS1_S1_S1_S1_PKiPfP15HIP_vector_typeIfLj2EEffffjfiS5_IjLj3EEiiiiiiiiiiiliiliiiiil.num_vgpr, 65
	.set _ZL15flash_attn_tileILi72ELi72ELi1ELi8ELb0EEvPKcS1_S1_S1_S1_PKiPfP15HIP_vector_typeIfLj2EEffffjfiS5_IjLj3EEiiiiiiiiiiiliiliiiiil.num_agpr, 0
	.set _ZL15flash_attn_tileILi72ELi72ELi1ELi8ELb0EEvPKcS1_S1_S1_S1_PKiPfP15HIP_vector_typeIfLj2EEffffjfiS5_IjLj3EEiiiiiiiiiiiliiliiiiil.numbered_sgpr, 46
	.set _ZL15flash_attn_tileILi72ELi72ELi1ELi8ELb0EEvPKcS1_S1_S1_S1_PKiPfP15HIP_vector_typeIfLj2EEffffjfiS5_IjLj3EEiiiiiiiiiiiliiliiiiil.num_named_barrier, 0
	.set _ZL15flash_attn_tileILi72ELi72ELi1ELi8ELb0EEvPKcS1_S1_S1_S1_PKiPfP15HIP_vector_typeIfLj2EEffffjfiS5_IjLj3EEiiiiiiiiiiiliiliiiiil.private_seg_size, 0
	.set _ZL15flash_attn_tileILi72ELi72ELi1ELi8ELb0EEvPKcS1_S1_S1_S1_PKiPfP15HIP_vector_typeIfLj2EEffffjfiS5_IjLj3EEiiiiiiiiiiiliiliiiiil.uses_vcc, 1
	.set _ZL15flash_attn_tileILi72ELi72ELi1ELi8ELb0EEvPKcS1_S1_S1_S1_PKiPfP15HIP_vector_typeIfLj2EEffffjfiS5_IjLj3EEiiiiiiiiiiiliiliiiiil.uses_flat_scratch, 0
	.set _ZL15flash_attn_tileILi72ELi72ELi1ELi8ELb0EEvPKcS1_S1_S1_S1_PKiPfP15HIP_vector_typeIfLj2EEffffjfiS5_IjLj3EEiiiiiiiiiiiliiliiiiil.has_dyn_sized_stack, 0
	.set _ZL15flash_attn_tileILi72ELi72ELi1ELi8ELb0EEvPKcS1_S1_S1_S1_PKiPfP15HIP_vector_typeIfLj2EEffffjfiS5_IjLj3EEiiiiiiiiiiiliiliiiiil.has_recursion, 0
	.set _ZL15flash_attn_tileILi72ELi72ELi1ELi8ELb0EEvPKcS1_S1_S1_S1_PKiPfP15HIP_vector_typeIfLj2EEffffjfiS5_IjLj3EEiiiiiiiiiiiliiliiiiil.has_indirect_call, 0
	.section	.AMDGPU.csdata,"",@progbits
; Kernel info:
; codeLenInByte = 4792
; TotalNumSgprs: 48
; NumVgprs: 65
; ScratchSize: 0
; MemoryBound: 0
; FloatMode: 240
; IeeeMode: 1
; LDSByteSize: 7008 bytes/workgroup (compile time only)
; SGPRBlocks: 0
; VGPRBlocks: 4
; NumSGPRsForWavesPerEU: 48
; NumVGPRsForWavesPerEU: 65
; NamedBarCnt: 0
; Occupancy: 12
; WaveLimiterHint : 1
; COMPUTE_PGM_RSRC2:SCRATCH_EN: 0
; COMPUTE_PGM_RSRC2:USER_SGPR: 2
; COMPUTE_PGM_RSRC2:TRAP_HANDLER: 0
; COMPUTE_PGM_RSRC2:TGID_X_EN: 1
; COMPUTE_PGM_RSRC2:TGID_Y_EN: 1
; COMPUTE_PGM_RSRC2:TGID_Z_EN: 1
; COMPUTE_PGM_RSRC2:TIDIG_COMP_CNT: 1
	.section	.text._ZL25flash_attn_mask_to_KV_maxILi1EEvPK7__half2Piiii,"axG",@progbits,_ZL25flash_attn_mask_to_KV_maxILi1EEvPK7__half2Piiii,comdat
	.globl	_ZL25flash_attn_mask_to_KV_maxILi1EEvPK7__half2Piiii ; -- Begin function _ZL25flash_attn_mask_to_KV_maxILi1EEvPK7__half2Piiii
	.p2align	8
	.type	_ZL25flash_attn_mask_to_KV_maxILi1EEvPK7__half2Piiii,@function
_ZL25flash_attn_mask_to_KV_maxILi1EEvPK7__half2Piiii: ; @_ZL25flash_attn_mask_to_KV_maxILi1EEvPK7__half2Piiii
; %bb.0:
	s_load_b128 s[4:7], s[0:1], 0x0
	s_mov_b32 s2, exec_lo
	v_cmpx_gt_u32_e32 32, v0
; %bb.1:
	v_dual_mov_b32 v2, 1 :: v_dual_lshlrev_b32 v1, 2, v0
	ds_store_b32 v1, v2
; %bb.2:
	s_or_b32 exec_lo, exec_lo, s2
	s_clause 0x1
	s_load_b96 s[8:10], s[0:1], 0x10
	s_load_b32 s11, s[0:1], 0x20
	s_wait_xcnt 0x0
	s_bfe_u32 s1, ttmp6, 0x4000c
	s_bfe_u32 s2, ttmp6, 0x40010
	s_add_co_i32 s1, s1, 1
	s_add_co_i32 s2, s2, 1
	s_and_b32 s0, ttmp6, 15
	s_bfe_u32 s3, ttmp6, 0x40004
	s_mul_i32 s1, ttmp9, s1
	s_mul_i32 s2, ttmp7, s2
	s_getreg_b32 s12, hwreg(HW_REG_IB_STS2, 6, 4)
	s_add_co_i32 s0, s0, s1
	s_add_co_i32 s3, s3, s2
	s_cmp_eq_u32 s12, 0
	v_dual_lshrrev_b32 v1, 3, v0 :: v_dual_bitop2_b32 v2, 31, v0 bitop3:0x40
	s_cselect_b32 s1, ttmp7, s3
	s_cselect_b32 s12, ttmp9, s0
	s_wait_dscnt 0x0
	s_barrier_signal -1
	s_wait_kmcnt 0x0
	s_mul_i32 s0, s10, s1
	s_mul_i32 s2, s9, s12
	s_barrier_wait -1
	s_add_co_i32 s2, s0, s2
	v_cmp_eq_u32_e64 s0, 0, v2
	s_ashr_i32 s3, s2, 31
	v_lshlrev_b32_e32 v2, 2, v2
	s_lshl_b64 s[2:3], s[2:3], 2
	s_delay_alu instid0(SALU_CYCLE_1)
	s_add_nc_u64 s[2:3], s[4:5], s[2:3]
	s_lshl_b32 s5, s8, 8
	s_branch .LBB14_4
.LBB14_3:                               ;   in Loop: Header=BB14_4 Depth=1
	s_or_b32 exec_lo, exec_lo, s9
	s_wait_dscnt 0x0
	s_barrier_signal -1
	s_barrier_wait -1
	ds_load_b32 v3, v2
	s_wait_dscnt 0x0
	s_barrier_signal -1
	s_barrier_wait -1
	v_cmp_ne_u32_e32 vcc_lo, 0, v3
	s_cmp_lg_u32 vcc_lo, exec_lo
	s_cselect_b32 s8, -1, 0
	s_delay_alu instid0(SALU_CYCLE_1)
	s_and_b32 vcc_lo, exec_lo, s8
	s_cbranch_vccnz .LBB14_8
.LBB14_4:                               ; =>This Inner Loop Header: Depth=1
	s_mov_b32 s4, s5
	s_addk_co_i32 s5, 0xff00
	s_delay_alu instid0(SALU_CYCLE_1)
	s_cmp_lt_i32 s5, 0
	s_cbranch_scc1 .LBB14_7
; %bb.5:                                ;   in Loop: Header=BB14_4 Depth=1
	s_lshr_b32 s9, s5, 1
	s_mov_b32 s8, exec_lo
	v_add_nc_u32_e32 v3, s9, v0
	global_load_b32 v3, v3, s[2:3] scale_offset
	s_wait_loadcnt 0x0
	v_lshrrev_b32_e32 v4, 16, v3
	v_cmp_class_f16_e64 s9, v3, 0x204
	s_delay_alu instid0(VALU_DEP_2) | instskip(SKIP_1) | instid1(SALU_CYCLE_1)
	v_cmp_class_f16_e64 s10, v4, 0x204
	s_and_b32 s9, s9, s10
	v_cndmask_b32_e64 v3, 0, 1, s9
	s_delay_alu instid0(VALU_DEP_1)
	v_cmp_ne_u32_e32 vcc_lo, 0, v3
	s_and_saveexec_b32 s9, s0
	s_cbranch_execz .LBB14_3
; %bb.6:                                ;   in Loop: Header=BB14_4 Depth=1
	s_cmp_eq_u32 vcc_lo, s8
	s_cselect_b32 s8, -1, 0
	s_delay_alu instid0(SALU_CYCLE_1)
	v_cndmask_b32_e64 v3, 0, 1, s8
	ds_store_b32 v1, v3
	s_branch .LBB14_3
.LBB14_7:                               ;   in Loop: Header=BB14_4 Depth=1
	s_cbranch_execz .LBB14_4
.LBB14_8:
	s_mov_b32 s0, exec_lo
	v_cmpx_eq_u32_e32 0, v0
	s_cbranch_execz .LBB14_10
; %bb.9:
	s_mul_i32 s0, s11, s1
	v_mov_b32_e32 v1, s4
	s_add_co_i32 s0, s0, s12
	s_delay_alu instid0(SALU_CYCLE_1)
	v_mov_b32_e32 v0, s0
	global_store_b32 v0, v1, s[6:7] scale_offset
.LBB14_10:
	s_endpgm
	.section	.rodata,"a",@progbits
	.p2align	6, 0x0
	.amdhsa_kernel _ZL25flash_attn_mask_to_KV_maxILi1EEvPK7__half2Piiii
		.amdhsa_group_segment_fixed_size 128
		.amdhsa_private_segment_fixed_size 0
		.amdhsa_kernarg_size 288
		.amdhsa_user_sgpr_count 2
		.amdhsa_user_sgpr_dispatch_ptr 0
		.amdhsa_user_sgpr_queue_ptr 0
		.amdhsa_user_sgpr_kernarg_segment_ptr 1
		.amdhsa_user_sgpr_dispatch_id 0
		.amdhsa_user_sgpr_kernarg_preload_length 0
		.amdhsa_user_sgpr_kernarg_preload_offset 0
		.amdhsa_user_sgpr_private_segment_size 0
		.amdhsa_wavefront_size32 1
		.amdhsa_uses_dynamic_stack 0
		.amdhsa_enable_private_segment 0
		.amdhsa_system_sgpr_workgroup_id_x 1
		.amdhsa_system_sgpr_workgroup_id_y 1
		.amdhsa_system_sgpr_workgroup_id_z 0
		.amdhsa_system_sgpr_workgroup_info 0
		.amdhsa_system_vgpr_workitem_id 0
		.amdhsa_next_free_vgpr 5
		.amdhsa_next_free_sgpr 13
		.amdhsa_named_barrier_count 0
		.amdhsa_reserve_vcc 1
		.amdhsa_float_round_mode_32 0
		.amdhsa_float_round_mode_16_64 0
		.amdhsa_float_denorm_mode_32 3
		.amdhsa_float_denorm_mode_16_64 3
		.amdhsa_fp16_overflow 0
		.amdhsa_memory_ordered 1
		.amdhsa_forward_progress 1
		.amdhsa_inst_pref_size 4
		.amdhsa_round_robin_scheduling 0
		.amdhsa_exception_fp_ieee_invalid_op 0
		.amdhsa_exception_fp_denorm_src 0
		.amdhsa_exception_fp_ieee_div_zero 0
		.amdhsa_exception_fp_ieee_overflow 0
		.amdhsa_exception_fp_ieee_underflow 0
		.amdhsa_exception_fp_ieee_inexact 0
		.amdhsa_exception_int_div_zero 0
	.end_amdhsa_kernel
	.section	.text._ZL25flash_attn_mask_to_KV_maxILi1EEvPK7__half2Piiii,"axG",@progbits,_ZL25flash_attn_mask_to_KV_maxILi1EEvPK7__half2Piiii,comdat
.Lfunc_end14:
	.size	_ZL25flash_attn_mask_to_KV_maxILi1EEvPK7__half2Piiii, .Lfunc_end14-_ZL25flash_attn_mask_to_KV_maxILi1EEvPK7__half2Piiii
                                        ; -- End function
	.set _ZL25flash_attn_mask_to_KV_maxILi1EEvPK7__half2Piiii.num_vgpr, 5
	.set _ZL25flash_attn_mask_to_KV_maxILi1EEvPK7__half2Piiii.num_agpr, 0
	.set _ZL25flash_attn_mask_to_KV_maxILi1EEvPK7__half2Piiii.numbered_sgpr, 13
	.set _ZL25flash_attn_mask_to_KV_maxILi1EEvPK7__half2Piiii.num_named_barrier, 0
	.set _ZL25flash_attn_mask_to_KV_maxILi1EEvPK7__half2Piiii.private_seg_size, 0
	.set _ZL25flash_attn_mask_to_KV_maxILi1EEvPK7__half2Piiii.uses_vcc, 1
	.set _ZL25flash_attn_mask_to_KV_maxILi1EEvPK7__half2Piiii.uses_flat_scratch, 0
	.set _ZL25flash_attn_mask_to_KV_maxILi1EEvPK7__half2Piiii.has_dyn_sized_stack, 0
	.set _ZL25flash_attn_mask_to_KV_maxILi1EEvPK7__half2Piiii.has_recursion, 0
	.set _ZL25flash_attn_mask_to_KV_maxILi1EEvPK7__half2Piiii.has_indirect_call, 0
	.section	.AMDGPU.csdata,"",@progbits
; Kernel info:
; codeLenInByte = 456
; TotalNumSgprs: 15
; NumVgprs: 5
; ScratchSize: 0
; MemoryBound: 0
; FloatMode: 240
; IeeeMode: 1
; LDSByteSize: 128 bytes/workgroup (compile time only)
; SGPRBlocks: 0
; VGPRBlocks: 0
; NumSGPRsForWavesPerEU: 15
; NumVGPRsForWavesPerEU: 5
; NamedBarCnt: 0
; Occupancy: 16
; WaveLimiterHint : 0
; COMPUTE_PGM_RSRC2:SCRATCH_EN: 0
; COMPUTE_PGM_RSRC2:USER_SGPR: 2
; COMPUTE_PGM_RSRC2:TRAP_HANDLER: 0
; COMPUTE_PGM_RSRC2:TGID_X_EN: 1
; COMPUTE_PGM_RSRC2:TGID_Y_EN: 1
; COMPUTE_PGM_RSRC2:TGID_Z_EN: 0
; COMPUTE_PGM_RSRC2:TIDIG_COMP_CNT: 0
	.section	.text._ZL33flash_attn_stream_k_fixup_uniformILi72ELi1ELi8EEvPfPK15HIP_vector_typeIfLj2EEiiiiiiS1_IjLj3EES5_S5_,"axG",@progbits,_ZL33flash_attn_stream_k_fixup_uniformILi72ELi1ELi8EEvPfPK15HIP_vector_typeIfLj2EEiiiiiiS1_IjLj3EES5_S5_,comdat
	.globl	_ZL33flash_attn_stream_k_fixup_uniformILi72ELi1ELi8EEvPfPK15HIP_vector_typeIfLj2EEiiiiiiS1_IjLj3EES5_S5_ ; -- Begin function _ZL33flash_attn_stream_k_fixup_uniformILi72ELi1ELi8EEvPfPK15HIP_vector_typeIfLj2EEiiiiiiS1_IjLj3EES5_S5_
	.p2align	8
	.type	_ZL33flash_attn_stream_k_fixup_uniformILi72ELi1ELi8EEvPfPK15HIP_vector_typeIfLj2EEiiiiiiS1_IjLj3EES5_S5_,@function
_ZL33flash_attn_stream_k_fixup_uniformILi72ELi1ELi8EEvPfPK15HIP_vector_typeIfLj2EEiiiiiiS1_IjLj3EES5_S5_: ; @_ZL33flash_attn_stream_k_fixup_uniformILi72ELi1ELi8EEvPfPK15HIP_vector_typeIfLj2EEiiiiiiS1_IjLj3EES5_S5_
; %bb.0:
	s_load_b256 s[4:11], s[0:1], 0x1c
	s_bfe_u32 s2, ttmp6, 0x40014
	s_lshr_b32 s3, ttmp7, 16
	s_add_co_i32 s2, s2, 1
	s_bfe_u32 s13, ttmp6, 0x40010
	s_mul_i32 s2, s3, s2
	s_bfe_u32 s12, ttmp6, 0x40008
	s_and_b32 s15, ttmp7, 0xffff
	s_add_co_i32 s13, s13, 1
	s_bfe_u32 s14, ttmp6, 0x4000c
	s_add_co_i32 s12, s12, s2
	s_mul_i32 s2, s15, s13
	s_bfe_u32 s13, ttmp6, 0x40004
	s_add_co_i32 s14, s14, 1
	s_add_co_i32 s13, s13, s2
	s_and_b32 s2, ttmp6, 15
	s_mul_i32 s14, ttmp9, s14
	s_getreg_b32 s20, hwreg(HW_REG_IB_STS2, 6, 4)
	s_add_co_i32 s2, s2, s14
	s_load_b128 s[16:19], s[0:1], 0x3c
	s_cmp_eq_u32 s20, 0
	s_cselect_b32 s14, ttmp9, s2
	s_cselect_b32 s13, s15, s13
	s_wait_kmcnt 0x0
	s_mul_hi_u32 s2, s7, s14
	s_cselect_b32 s12, s3, s12
	s_add_co_i32 s2, s14, s2
	s_delay_alu instid0(SALU_CYCLE_1) | instskip(NEXT) | instid1(SALU_CYCLE_1)
	s_lshr_b32 s7, s2, s8
	s_mul_i32 s2, s7, s9
	s_delay_alu instid0(SALU_CYCLE_1) | instskip(SKIP_2) | instid1(SALU_CYCLE_1)
	s_sub_co_i32 s8, s14, s2
	s_load_b64 s[2:3], s[0:1], 0x10
	s_mul_hi_u32 s9, s8, s10
	s_add_co_i32 s9, s8, s9
	s_delay_alu instid0(SALU_CYCLE_1) | instskip(NEXT) | instid1(SALU_CYCLE_1)
	s_lshr_b32 s15, s9, s11
	s_mul_i32 s9, s15, s16
	s_delay_alu instid0(SALU_CYCLE_1) | instskip(NEXT) | instid1(SALU_CYCLE_1)
	s_sub_co_i32 s8, s8, s9
	s_mul_hi_u32 s9, s8, s17
	s_delay_alu instid0(SALU_CYCLE_1) | instskip(NEXT) | instid1(SALU_CYCLE_1)
	s_add_co_i32 s9, s8, s9
	s_lshr_b32 s9, s9, s18
	s_delay_alu instid0(SALU_CYCLE_1) | instskip(SKIP_2) | instid1(SALU_CYCLE_1)
	s_mul_i32 s10, s9, s19
	s_lshl_b32 s17, s9, 3
	s_sub_co_i32 s16, s8, s10
	s_add_co_i32 s16, s16, s13
	s_wait_kmcnt 0x0
	s_cmp_lt_i32 s16, s2
	s_cselect_b32 s8, -1, 0
	s_add_co_i32 s17, s17, s12
	s_delay_alu instid0(SALU_CYCLE_1) | instskip(SKIP_1) | instid1(SALU_CYCLE_1)
	s_cmp_lt_i32 s17, s5
	s_cselect_b32 s9, -1, 0
	s_and_b32 s8, s8, s9
	s_delay_alu instid0(SALU_CYCLE_1)
	s_and_not1_b32 vcc_lo, exec_lo, s8
	s_cbranch_vccnz .LBB15_6
; %bb.1:
	s_load_b128 s[8:11], s[0:1], 0x0
	s_mul_i32 s7, s7, s2
	s_mul_i32 s15, s15, s5
	s_wait_xcnt 0x0
	s_add_co_i32 s0, s16, s7
	s_add_co_i32 s1, s17, s15
	s_mul_i32 s0, s0, s3
	s_mul_i32 s7, s6, s14
	s_add_co_i32 s1, s1, s0
	s_add_co_i32 s5, s7, s6
	v_mad_u32 v4, 0x48, s1, v0
	s_add_co_i32 s0, s13, s5
	s_add_co_i32 s2, s5, -2
	s_lshl_b32 s0, s0, 3
	s_delay_alu instid0(SALU_CYCLE_1) | instskip(NEXT) | instid1(SALU_CYCLE_1)
	s_add_co_i32 s0, s0, s12
	s_add_co_i32 s0, s0, -8
	s_delay_alu instid0(SALU_CYCLE_1) | instskip(NEXT) | instid1(SALU_CYCLE_1)
	s_ashr_i32 s1, s0, 31
	s_lshl_b64 s[0:1], s[0:1], 3
	s_wait_kmcnt 0x0
	global_load_b32 v3, v4, s[8:9] scale_offset
	s_add_nc_u64 s[0:1], s[10:11], s[0:1]
	v_ashrrev_i32_e32 v5, 31, v4
	s_load_b32 s15, s[0:1], 0x4
	s_cmp_lt_i32 s2, s7
	s_cbranch_scc1 .LBB15_4
; %bb.2:
	s_wait_xcnt 0x0
	s_load_b32 s0, s[0:1], 0x0
	s_add_co_i32 s14, s14, 1
	s_lshl_b32 s2, s4, 5
	s_wait_xcnt 0x0
	s_mul_i32 s1, s6, s14
	s_mul_i32 s6, s13, 0x240
	;; [unrolled: 1-line block ×3, first 2 shown]
	s_add_co_i32 s4, s13, s4
	s_mulk_i32 s1, 0x240
	s_add_co_i32 s6, s14, s6
	s_add_co_i32 s4, s4, s5
	;; [unrolled: 1-line block ×3, first 2 shown]
	s_ashr_i32 s3, s2, 31
	s_lshl_b32 s1, s4, 3
	v_add3_u32 v0, s6, v0, 0xfffffb80
	s_wait_kmcnt 0x0
	v_mov_b32_e32 v2, s15
	s_lshl_b64 s[2:3], s[2:3], 2
	s_add_co_i32 s4, s12, s1
	s_add_nc_u64 s[2:3], s[10:11], s[2:3]
	s_add_co_i32 s1, s5, -1
	s_add_co_i32 s4, s4, -16
.LBB15_3:                               ; =>This Inner Loop Header: Depth=1
	global_load_b32 v7, v0, s[2:3] scale_offset
	s_ashr_i32 s5, s4, 31
	v_max_num_f32_e64 v1, s0, s0
	s_lshl_b64 s[12:13], s[4:5], 3
	s_delay_alu instid0(SALU_CYCLE_1) | instskip(SKIP_1) | instid1(VALU_DEP_1)
	s_add_nc_u64 s[12:13], s[10:11], s[12:13]
	s_load_b64 s[12:13], s[12:13], 0x0
	v_readfirstlane_b32 s5, v1
	v_add_nc_u32_e32 v0, 0xfffffdc0, v0
	s_wait_kmcnt 0x0
	v_max_num_f32_e64 v1, s12, s12
	s_delay_alu instid0(VALU_DEP_1) | instskip(SKIP_1) | instid1(SALU_CYCLE_3)
	v_readfirstlane_b32 s6, v1
	s_max_num_f32 s5, s5, s6
	s_sub_f32 s0, s0, s5
	s_sub_f32 s6, s12, s5
	s_delay_alu instid0(SALU_CYCLE_2) | instskip(NEXT) | instid1(SALU_CYCLE_2)
	s_mul_f32 s12, s0, 0x3fb8aa3b
	s_mul_f32 s14, s6, 0x3fb8aa3b
	s_delay_alu instid0(SALU_CYCLE_2)
	s_xor_b32 s15, s12, 0x80000000
	s_rndne_f32 s16, s12
	s_fmamk_f32 s15, s0, 0x3fb8aa3b, s15
	s_cmp_nlt_f32 s0, 0xc2ce8ed0
	s_rndne_f32 s17, s14
	s_sub_f32 s12, s12, s16
	s_fmamk_f32 s15, s0, 0x32a5705f, s15
	s_cselect_b32 vcc_lo, -1, 0
	s_cmp_ngt_f32 s0, 0x42b17218
	s_delay_alu instid0(SALU_CYCLE_1) | instskip(SKIP_2) | instid1(SALU_CYCLE_1)
	s_add_f32 s12, s12, s15
	s_cvt_i32_f32 s15, s16
	s_sub_f32 s16, s14, s17
	v_s_exp_f32 s12, s12
	v_nop
	s_delay_alu instid0(TRANS32_DEP_1) | instskip(SKIP_1) | instid1(VALU_DEP_1)
	v_ldexp_f32 v1, s12, s15
	s_cvt_i32_f32 s12, s17
	v_cndmask_b32_e32 v1, 0, v1, vcc_lo
	s_cselect_b32 vcc_lo, -1, 0
	s_cmp_ge_f32 s0, 0xc1a00000
	s_delay_alu instid0(VALU_DEP_1)
	v_cndmask_b32_e32 v1, 0x7f800000, v1, vcc_lo
	s_cselect_b32 vcc_lo, -1, 0
	s_xor_b32 s0, s14, 0x80000000
	s_cmp_nlt_f32 s6, 0xc2ce8ed0
	s_fmamk_f32 s0, s6, 0x3fb8aa3b, s0
	v_cndmask_b32_e32 v10, 0, v1, vcc_lo
	s_delay_alu instid0(SALU_CYCLE_2) | instskip(NEXT) | instid1(SALU_CYCLE_3)
	s_fmamk_f32 s0, s6, 0x32a5705f, s0
	s_add_f32 s0, s16, s0
	s_delay_alu instid0(SALU_CYCLE_3) | instskip(SKIP_1) | instid1(TRANS32_DEP_1)
	v_s_exp_f32 s0, s0
	v_nop
	v_ldexp_f32 v6, s0, s12
	s_cselect_b32 s0, -1, 0
	s_cmp_ngt_f32 s6, 0x42b17218
	s_delay_alu instid0(VALU_DEP_1) | instskip(SKIP_2) | instid1(VALU_DEP_1)
	v_cndmask_b32_e64 v6, 0, v6, s0
	s_cselect_b32 s0, -1, 0
	s_cmp_ge_f32 s6, 0xc1a00000
	v_cndmask_b32_e64 v8, 0x7f800000, v6, s0
	s_cselect_b32 s0, -1, 0
	v_mov_b32_e32 v6, s13
	s_add_co_i32 s1, s1, -1
	s_add_co_i32 s4, s4, -8
	v_cndmask_b32_e64 v8, 0, v8, s0
	s_cmp_le_i32 s1, s7
	s_mov_b32 s0, s5
	s_wait_loadcnt 0x0
	s_delay_alu instid0(VALU_DEP_1) | instskip(NEXT) | instid1(VALU_DEP_1)
	v_pk_mul_f32 v[6:7], v[6:7], v[8:9] op_sel_hi:[1,0]
	v_pk_fma_f32 v[2:3], v[2:3], v[10:11], v[6:7] op_sel_hi:[1,0,1]
	s_cbranch_scc0 .LBB15_3
	s_branch .LBB15_5
.LBB15_4:
	s_wait_kmcnt 0x0
	v_mov_b32_e32 v2, s15
.LBB15_5:
	v_lshl_add_u64 v[0:1], v[4:5], 2, s[8:9]
	s_wait_loadcnt 0x0
	s_delay_alu instid0(VALU_DEP_2) | instskip(NEXT) | instid1(VALU_DEP_1)
	v_div_scale_f32 v4, null, v2, v2, v3
	v_rcp_f32_e32 v5, v4
	v_nop
	s_delay_alu instid0(TRANS32_DEP_1) | instskip(NEXT) | instid1(VALU_DEP_1)
	v_fma_f32 v6, -v4, v5, 1.0
	v_fmac_f32_e32 v5, v6, v5
	v_div_scale_f32 v6, vcc_lo, v3, v2, v3
	s_delay_alu instid0(VALU_DEP_1) | instskip(NEXT) | instid1(VALU_DEP_1)
	v_mul_f32_e32 v7, v6, v5
	v_fma_f32 v8, -v4, v7, v6
	s_delay_alu instid0(VALU_DEP_1) | instskip(NEXT) | instid1(VALU_DEP_1)
	v_fmac_f32_e32 v7, v8, v5
	v_fma_f32 v4, -v4, v7, v6
	s_delay_alu instid0(VALU_DEP_1) | instskip(NEXT) | instid1(VALU_DEP_1)
	v_div_fmas_f32 v4, v4, v5, v7
	v_div_fixup_f32 v2, v4, v2, v3
	global_store_b32 v[0:1], v2, off
.LBB15_6:
	s_endpgm
	.section	.rodata,"a",@progbits
	.p2align	6, 0x0
	.amdhsa_kernel _ZL33flash_attn_stream_k_fixup_uniformILi72ELi1ELi8EEvPfPK15HIP_vector_typeIfLj2EEiiiiiiS1_IjLj3EES5_S5_
		.amdhsa_group_segment_fixed_size 0
		.amdhsa_private_segment_fixed_size 0
		.amdhsa_kernarg_size 76
		.amdhsa_user_sgpr_count 2
		.amdhsa_user_sgpr_dispatch_ptr 0
		.amdhsa_user_sgpr_queue_ptr 0
		.amdhsa_user_sgpr_kernarg_segment_ptr 1
		.amdhsa_user_sgpr_dispatch_id 0
		.amdhsa_user_sgpr_kernarg_preload_length 0
		.amdhsa_user_sgpr_kernarg_preload_offset 0
		.amdhsa_user_sgpr_private_segment_size 0
		.amdhsa_wavefront_size32 1
		.amdhsa_uses_dynamic_stack 0
		.amdhsa_enable_private_segment 0
		.amdhsa_system_sgpr_workgroup_id_x 1
		.amdhsa_system_sgpr_workgroup_id_y 1
		.amdhsa_system_sgpr_workgroup_id_z 1
		.amdhsa_system_sgpr_workgroup_info 0
		.amdhsa_system_vgpr_workitem_id 0
		.amdhsa_next_free_vgpr 12
		.amdhsa_next_free_sgpr 21
		.amdhsa_named_barrier_count 0
		.amdhsa_reserve_vcc 1
		.amdhsa_float_round_mode_32 0
		.amdhsa_float_round_mode_16_64 0
		.amdhsa_float_denorm_mode_32 3
		.amdhsa_float_denorm_mode_16_64 3
		.amdhsa_fp16_overflow 0
		.amdhsa_memory_ordered 1
		.amdhsa_forward_progress 1
		.amdhsa_inst_pref_size 9
		.amdhsa_round_robin_scheduling 0
		.amdhsa_exception_fp_ieee_invalid_op 0
		.amdhsa_exception_fp_denorm_src 0
		.amdhsa_exception_fp_ieee_div_zero 0
		.amdhsa_exception_fp_ieee_overflow 0
		.amdhsa_exception_fp_ieee_underflow 0
		.amdhsa_exception_fp_ieee_inexact 0
		.amdhsa_exception_int_div_zero 0
	.end_amdhsa_kernel
	.section	.text._ZL33flash_attn_stream_k_fixup_uniformILi72ELi1ELi8EEvPfPK15HIP_vector_typeIfLj2EEiiiiiiS1_IjLj3EES5_S5_,"axG",@progbits,_ZL33flash_attn_stream_k_fixup_uniformILi72ELi1ELi8EEvPfPK15HIP_vector_typeIfLj2EEiiiiiiS1_IjLj3EES5_S5_,comdat
.Lfunc_end15:
	.size	_ZL33flash_attn_stream_k_fixup_uniformILi72ELi1ELi8EEvPfPK15HIP_vector_typeIfLj2EEiiiiiiS1_IjLj3EES5_S5_, .Lfunc_end15-_ZL33flash_attn_stream_k_fixup_uniformILi72ELi1ELi8EEvPfPK15HIP_vector_typeIfLj2EEiiiiiiS1_IjLj3EES5_S5_
                                        ; -- End function
	.set _ZL33flash_attn_stream_k_fixup_uniformILi72ELi1ELi8EEvPfPK15HIP_vector_typeIfLj2EEiiiiiiS1_IjLj3EES5_S5_.num_vgpr, 12
	.set _ZL33flash_attn_stream_k_fixup_uniformILi72ELi1ELi8EEvPfPK15HIP_vector_typeIfLj2EEiiiiiiS1_IjLj3EES5_S5_.num_agpr, 0
	.set _ZL33flash_attn_stream_k_fixup_uniformILi72ELi1ELi8EEvPfPK15HIP_vector_typeIfLj2EEiiiiiiS1_IjLj3EES5_S5_.numbered_sgpr, 21
	.set _ZL33flash_attn_stream_k_fixup_uniformILi72ELi1ELi8EEvPfPK15HIP_vector_typeIfLj2EEiiiiiiS1_IjLj3EES5_S5_.num_named_barrier, 0
	.set _ZL33flash_attn_stream_k_fixup_uniformILi72ELi1ELi8EEvPfPK15HIP_vector_typeIfLj2EEiiiiiiS1_IjLj3EES5_S5_.private_seg_size, 0
	.set _ZL33flash_attn_stream_k_fixup_uniformILi72ELi1ELi8EEvPfPK15HIP_vector_typeIfLj2EEiiiiiiS1_IjLj3EES5_S5_.uses_vcc, 1
	.set _ZL33flash_attn_stream_k_fixup_uniformILi72ELi1ELi8EEvPfPK15HIP_vector_typeIfLj2EEiiiiiiS1_IjLj3EES5_S5_.uses_flat_scratch, 0
	.set _ZL33flash_attn_stream_k_fixup_uniformILi72ELi1ELi8EEvPfPK15HIP_vector_typeIfLj2EEiiiiiiS1_IjLj3EES5_S5_.has_dyn_sized_stack, 0
	.set _ZL33flash_attn_stream_k_fixup_uniformILi72ELi1ELi8EEvPfPK15HIP_vector_typeIfLj2EEiiiiiiS1_IjLj3EES5_S5_.has_recursion, 0
	.set _ZL33flash_attn_stream_k_fixup_uniformILi72ELi1ELi8EEvPfPK15HIP_vector_typeIfLj2EEiiiiiiS1_IjLj3EES5_S5_.has_indirect_call, 0
	.section	.AMDGPU.csdata,"",@progbits
; Kernel info:
; codeLenInByte = 1076
; TotalNumSgprs: 23
; NumVgprs: 12
; ScratchSize: 0
; MemoryBound: 0
; FloatMode: 240
; IeeeMode: 1
; LDSByteSize: 0 bytes/workgroup (compile time only)
; SGPRBlocks: 0
; VGPRBlocks: 0
; NumSGPRsForWavesPerEU: 23
; NumVGPRsForWavesPerEU: 12
; NamedBarCnt: 0
; Occupancy: 16
; WaveLimiterHint : 0
; COMPUTE_PGM_RSRC2:SCRATCH_EN: 0
; COMPUTE_PGM_RSRC2:USER_SGPR: 2
; COMPUTE_PGM_RSRC2:TRAP_HANDLER: 0
; COMPUTE_PGM_RSRC2:TGID_X_EN: 1
; COMPUTE_PGM_RSRC2:TGID_Y_EN: 1
; COMPUTE_PGM_RSRC2:TGID_Z_EN: 1
; COMPUTE_PGM_RSRC2:TIDIG_COMP_CNT: 0
	.section	.text._ZL33flash_attn_stream_k_fixup_generalILi72ELi1ELi8EEvPfPK15HIP_vector_typeIfLj2EEiiiiS1_IjLj3EES5_S5_S5_,"axG",@progbits,_ZL33flash_attn_stream_k_fixup_generalILi72ELi1ELi8EEvPfPK15HIP_vector_typeIfLj2EEiiiiS1_IjLj3EES5_S5_S5_,comdat
	.globl	_ZL33flash_attn_stream_k_fixup_generalILi72ELi1ELi8EEvPfPK15HIP_vector_typeIfLj2EEiiiiS1_IjLj3EES5_S5_S5_ ; -- Begin function _ZL33flash_attn_stream_k_fixup_generalILi72ELi1ELi8EEvPfPK15HIP_vector_typeIfLj2EEiiiiS1_IjLj3EES5_S5_S5_
	.p2align	8
	.type	_ZL33flash_attn_stream_k_fixup_generalILi72ELi1ELi8EEvPfPK15HIP_vector_typeIfLj2EEiiiiS1_IjLj3EES5_S5_S5_,@function
_ZL33flash_attn_stream_k_fixup_generalILi72ELi1ELi8EEvPfPK15HIP_vector_typeIfLj2EEiiiiS1_IjLj3EES5_S5_S5_: ; @_ZL33flash_attn_stream_k_fixup_generalILi72ELi1ELi8EEvPfPK15HIP_vector_typeIfLj2EEiiiiS1_IjLj3EES5_S5_S5_
; %bb.0:
	s_clause 0x1
	s_load_b128 s[4:7], s[0:1], 0x10
	s_load_b32 s16, s[0:1], 0x50
	s_bfe_u32 s2, ttmp6, 0x4000c
	s_and_b32 s3, ttmp6, 15
	s_add_co_i32 s2, s2, 1
	s_getreg_b32 s15, hwreg(HW_REG_IB_STS2, 6, 4)
	s_mul_i32 s2, ttmp9, s2
	s_mov_b32 s17, 0
	s_add_co_i32 s3, s3, s2
	s_cmp_eq_u32 s15, 0
	s_cselect_b32 s2, ttmp9, s3
	s_delay_alu instid0(SALU_CYCLE_1) | instskip(SKIP_3) | instid1(SALU_CYCLE_1)
	s_ashr_i32 s3, s2, 31
	s_wait_kmcnt 0x0
	s_ashr_i32 s19, s7, 31
	s_mov_b32 s18, s7
	s_mul_u64 s[8:9], s[18:19], s[2:3]
	s_delay_alu instid0(SALU_CYCLE_1) | instskip(NEXT) | instid1(SALU_CYCLE_1)
	s_and_b64 s[10:11], s[8:9], 0xffffffff00000000
	s_cmp_lg_u64 s[10:11], 0
	s_cbranch_scc0 .LBB16_21
; %bb.1:
	s_add_nc_u64 s[10:11], s[16:17], 0
	s_mov_b32 s23, s17
	s_xor_b64 s[10:11], s[10:11], 0
	s_mov_b32 s27, s17
	s_cvt_f32_u32 s3, s10
	s_cvt_f32_u32 s7, s11
	s_sub_nc_u64 s[20:21], 0, s[10:11]
	s_delay_alu instid0(SALU_CYCLE_2) | instskip(NEXT) | instid1(SALU_CYCLE_3)
	s_fmamk_f32 s3, s7, 0x4f800000, s3
	v_s_rcp_f32 s3, s3
	s_delay_alu instid0(TRANS32_DEP_1) | instskip(NEXT) | instid1(SALU_CYCLE_3)
	s_mul_f32 s3, s3, 0x5f7ffffc
	s_mul_f32 s7, s3, 0x2f800000
	s_delay_alu instid0(SALU_CYCLE_3) | instskip(NEXT) | instid1(SALU_CYCLE_3)
	s_trunc_f32 s7, s7
	s_fmamk_f32 s3, s7, 0xcf800000, s3
	s_cvt_u32_f32 s13, s7
	s_delay_alu instid0(SALU_CYCLE_2) | instskip(NEXT) | instid1(SALU_CYCLE_3)
	s_cvt_u32_f32 s12, s3
	s_mul_u64 s[24:25], s[20:21], s[12:13]
	s_delay_alu instid0(SALU_CYCLE_1)
	s_mul_hi_u32 s29, s12, s25
	s_mul_i32 s28, s12, s25
	s_mul_hi_u32 s22, s12, s24
	s_mul_i32 s7, s13, s24
	s_add_nc_u64 s[22:23], s[22:23], s[28:29]
	s_mul_hi_u32 s3, s13, s24
	s_mul_hi_u32 s14, s13, s25
	s_add_co_u32 s7, s22, s7
	s_add_co_ci_u32 s26, s23, s3
	s_mul_i32 s24, s13, s25
	s_add_co_ci_u32 s25, s14, 0
	s_delay_alu instid0(SALU_CYCLE_1) | instskip(SKIP_3) | instid1(SALU_CYCLE_1)
	s_add_nc_u64 s[22:23], s[26:27], s[24:25]
	s_mov_b32 s25, s17
	s_add_co_u32 s12, s12, s22
	s_cselect_b32 s3, -1, 0
	s_cmp_lg_u32 s3, 0
	s_add_co_ci_u32 s13, s13, s23
	s_mov_b32 s23, s17
	s_mul_u64 s[20:21], s[20:21], s[12:13]
	s_delay_alu instid0(SALU_CYCLE_1)
	s_mul_hi_u32 s27, s12, s21
	s_mul_i32 s26, s12, s21
	s_mul_hi_u32 s22, s12, s20
	s_mul_i32 s7, s13, s20
	s_add_nc_u64 s[22:23], s[22:23], s[26:27]
	s_mul_hi_u32 s3, s13, s20
	s_mul_hi_u32 s14, s13, s21
	s_add_co_u32 s7, s22, s7
	s_add_co_ci_u32 s24, s23, s3
	s_mul_i32 s20, s13, s21
	s_add_co_ci_u32 s21, s14, 0
	s_mov_b32 s23, s17
	s_add_nc_u64 s[20:21], s[24:25], s[20:21]
	s_delay_alu instid0(SALU_CYCLE_1) | instskip(SKIP_1) | instid1(SALU_CYCLE_1)
	s_add_co_u32 s3, s12, s20
	s_cselect_b32 s7, -1, 0
	s_cmp_lg_u32 s7, 0
	s_add_co_ci_u32 s7, s13, s21
	s_ashr_i32 s12, s9, 31
	s_delay_alu instid0(SALU_CYCLE_1) | instskip(NEXT) | instid1(SALU_CYCLE_1)
	s_mov_b32 s13, s12
	s_add_nc_u64 s[20:21], s[8:9], s[12:13]
	s_delay_alu instid0(SALU_CYCLE_1) | instskip(NEXT) | instid1(SALU_CYCLE_1)
	s_xor_b64 s[20:21], s[20:21], s[12:13]
	s_mul_hi_u32 s27, s20, s7
	s_mul_i32 s26, s20, s7
	s_mul_hi_u32 s22, s20, s3
	s_mul_hi_u32 s14, s21, s3
	s_mul_i32 s3, s21, s3
	s_add_nc_u64 s[22:23], s[22:23], s[26:27]
	s_mul_hi_u32 s9, s21, s7
	s_add_co_u32 s3, s22, s3
	s_add_co_ci_u32 s24, s23, s14
	s_mul_i32 s26, s21, s7
	s_add_co_ci_u32 s27, s9, 0
	s_delay_alu instid0(SALU_CYCLE_1) | instskip(NEXT) | instid1(SALU_CYCLE_1)
	s_add_nc_u64 s[22:23], s[24:25], s[26:27]
	s_and_b64 s[24:25], s[22:23], 0xffffffff00000000
	s_delay_alu instid0(SALU_CYCLE_1) | instskip(NEXT) | instid1(SALU_CYCLE_1)
	s_or_b32 s24, s24, s22
	s_mul_u64 s[22:23], s[10:11], s[24:25]
	s_add_nc_u64 s[26:27], s[24:25], 1
	s_sub_co_u32 s3, s20, s22
	s_cselect_b32 s7, -1, 0
	s_sub_co_i32 s9, s21, s23
	s_cmp_lg_u32 s7, 0
	s_add_nc_u64 s[28:29], s[24:25], 2
	s_sub_co_ci_u32 s9, s9, s11
	s_sub_co_u32 s14, s3, s10
	s_cselect_b32 s20, -1, 0
	s_delay_alu instid0(SALU_CYCLE_1) | instskip(SKIP_1) | instid1(SALU_CYCLE_1)
	s_cmp_lg_u32 s20, 0
	s_sub_co_ci_u32 s9, s9, 0
	s_cmp_ge_u32 s9, s11
	s_cselect_b32 s20, -1, 0
	s_cmp_ge_u32 s14, s10
	s_cselect_b32 s14, -1, 0
	s_cmp_eq_u32 s9, s11
	s_cselect_b32 s9, s14, s20
	s_delay_alu instid0(SALU_CYCLE_1) | instskip(SKIP_4) | instid1(SALU_CYCLE_1)
	s_cmp_lg_u32 s9, 0
	s_cselect_b32 s9, s28, s26
	s_cselect_b32 s14, s29, s27
	s_cmp_lg_u32 s7, 0
	s_sub_co_ci_u32 s7, s21, s23
	s_cmp_ge_u32 s7, s11
	s_cselect_b32 s20, -1, 0
	s_cmp_ge_u32 s3, s10
	s_cselect_b32 s3, -1, 0
	s_cmp_eq_u32 s7, s11
	s_cselect_b32 s3, s3, s20
	s_delay_alu instid0(SALU_CYCLE_1) | instskip(SKIP_4) | instid1(SALU_CYCLE_1)
	s_cmp_lg_u32 s3, 0
	s_mov_b32 s3, s17
	s_cselect_b32 s11, s14, s25
	s_cselect_b32 s10, s9, s24
	s_xor_b64 s[12:13], s[12:13], 0
	s_xor_b64 s[10:11], s[10:11], s[12:13]
	s_delay_alu instid0(SALU_CYCLE_1)
	s_sub_nc_u64 s[20:21], s[10:11], s[12:13]
	s_and_not1_b32 vcc_lo, exec_lo, s3
	s_cbranch_vccnz .LBB16_3
.LBB16_2:
	v_cvt_f32_u32_e32 v1, s16
	s_sub_co_i32 s7, 0, s16
	s_mov_b32 s21, 0
	s_delay_alu instid0(VALU_DEP_1) | instskip(SKIP_1) | instid1(TRANS32_DEP_1)
	v_rcp_iflag_f32_e32 v1, v1
	v_nop
	v_mul_f32_e32 v1, 0x4f7ffffe, v1
	s_delay_alu instid0(VALU_DEP_1) | instskip(NEXT) | instid1(VALU_DEP_1)
	v_cvt_u32_f32_e32 v1, v1
	v_readfirstlane_b32 s3, v1
	s_mul_i32 s7, s7, s3
	s_delay_alu instid0(SALU_CYCLE_1) | instskip(NEXT) | instid1(SALU_CYCLE_1)
	s_mul_hi_u32 s7, s3, s7
	s_add_co_i32 s3, s3, s7
	s_delay_alu instid0(SALU_CYCLE_1) | instskip(NEXT) | instid1(SALU_CYCLE_1)
	s_mul_hi_u32 s3, s8, s3
	s_mul_i32 s7, s3, s16
	s_delay_alu instid0(SALU_CYCLE_1)
	s_sub_co_i32 s7, s8, s7
	s_add_co_i32 s8, s3, 1
	s_sub_co_i32 s9, s7, s16
	s_cmp_ge_u32 s7, s16
	s_cselect_b32 s3, s8, s3
	s_cselect_b32 s7, s9, s7
	s_add_co_i32 s8, s3, 1
	s_cmp_ge_u32 s7, s16
	s_cselect_b32 s20, s8, s3
.LBB16_3:
	s_add_co_i32 s8, s2, 1
	s_delay_alu instid0(SALU_CYCLE_1) | instskip(NEXT) | instid1(SALU_CYCLE_1)
	s_ashr_i32 s9, s8, 31
	s_mul_u64 s[8:9], s[18:19], s[8:9]
	s_delay_alu instid0(SALU_CYCLE_1) | instskip(NEXT) | instid1(SALU_CYCLE_1)
	s_and_b64 s[10:11], s[8:9], 0xffffffff00000000
	s_cmp_lg_u64 s[10:11], 0
	s_cbranch_scc0 .LBB16_22
; %bb.4:
	s_add_nc_u64 s[10:11], s[16:17], 0
	s_delay_alu instid0(SALU_CYCLE_1) | instskip(SKIP_4) | instid1(SALU_CYCLE_2)
	s_xor_b64 s[12:13], s[10:11], 0
	s_mov_b32 s11, 0
	s_cvt_f32_u32 s3, s12
	s_cvt_f32_u32 s7, s13
	s_sub_nc_u64 s[24:25], 0, s[12:13]
	s_fmamk_f32 s3, s7, 0x4f800000, s3
	s_delay_alu instid0(SALU_CYCLE_3) | instskip(NEXT) | instid1(TRANS32_DEP_1)
	v_s_rcp_f32 s3, s3
	s_mul_f32 s3, s3, 0x5f7ffffc
	s_delay_alu instid0(SALU_CYCLE_3) | instskip(NEXT) | instid1(SALU_CYCLE_3)
	s_mul_f32 s7, s3, 0x2f800000
	s_trunc_f32 s7, s7
	s_delay_alu instid0(SALU_CYCLE_3) | instskip(SKIP_1) | instid1(SALU_CYCLE_2)
	s_fmamk_f32 s3, s7, 0xcf800000, s3
	s_cvt_u32_f32 s23, s7
	s_cvt_u32_f32 s22, s3
	s_delay_alu instid0(SALU_CYCLE_3) | instskip(NEXT) | instid1(SALU_CYCLE_1)
	s_mul_u64 s[26:27], s[24:25], s[22:23]
	s_mul_hi_u32 s29, s22, s27
	s_mul_i32 s28, s22, s27
	s_mul_hi_u32 s10, s22, s26
	s_mul_i32 s7, s23, s26
	s_add_nc_u64 s[28:29], s[10:11], s[28:29]
	s_mul_hi_u32 s3, s23, s26
	s_mul_hi_u32 s14, s23, s27
	s_add_co_u32 s7, s28, s7
	s_add_co_ci_u32 s10, s29, s3
	s_mul_i32 s26, s23, s27
	s_add_co_ci_u32 s27, s14, 0
	s_delay_alu instid0(SALU_CYCLE_1) | instskip(NEXT) | instid1(SALU_CYCLE_1)
	s_add_nc_u64 s[26:27], s[10:11], s[26:27]
	s_add_co_u32 s22, s22, s26
	s_cselect_b32 s3, -1, 0
	s_delay_alu instid0(SALU_CYCLE_1) | instskip(SKIP_1) | instid1(SALU_CYCLE_1)
	s_cmp_lg_u32 s3, 0
	s_add_co_ci_u32 s23, s23, s27
	s_mul_u64 s[24:25], s[24:25], s[22:23]
	s_delay_alu instid0(SALU_CYCLE_1)
	s_mul_hi_u32 s27, s22, s25
	s_mul_i32 s26, s22, s25
	s_mul_hi_u32 s10, s22, s24
	s_mul_i32 s7, s23, s24
	s_add_nc_u64 s[26:27], s[10:11], s[26:27]
	s_mul_hi_u32 s3, s23, s24
	s_mul_hi_u32 s14, s23, s25
	s_add_co_u32 s7, s26, s7
	s_add_co_ci_u32 s10, s27, s3
	s_mul_i32 s24, s23, s25
	s_add_co_ci_u32 s25, s14, 0
	s_delay_alu instid0(SALU_CYCLE_1) | instskip(NEXT) | instid1(SALU_CYCLE_1)
	s_add_nc_u64 s[24:25], s[10:11], s[24:25]
	s_add_co_u32 s3, s22, s24
	s_cselect_b32 s7, -1, 0
	s_delay_alu instid0(SALU_CYCLE_1) | instskip(SKIP_2) | instid1(SALU_CYCLE_1)
	s_cmp_lg_u32 s7, 0
	s_add_co_ci_u32 s7, s23, s25
	s_ashr_i32 s22, s9, 31
	s_mov_b32 s23, s22
	s_delay_alu instid0(SALU_CYCLE_1) | instskip(NEXT) | instid1(SALU_CYCLE_1)
	s_add_nc_u64 s[24:25], s[8:9], s[22:23]
	s_xor_b64 s[24:25], s[24:25], s[22:23]
	s_delay_alu instid0(SALU_CYCLE_1)
	s_mul_hi_u32 s27, s24, s7
	s_mul_i32 s26, s24, s7
	s_mul_hi_u32 s10, s24, s3
	s_mul_hi_u32 s14, s25, s3
	s_mul_i32 s3, s25, s3
	s_add_nc_u64 s[26:27], s[10:11], s[26:27]
	s_mul_hi_u32 s9, s25, s7
	s_add_co_u32 s3, s26, s3
	s_add_co_ci_u32 s10, s27, s14
	s_mul_i32 s28, s25, s7
	s_add_co_ci_u32 s29, s9, 0
	s_delay_alu instid0(SALU_CYCLE_1) | instskip(NEXT) | instid1(SALU_CYCLE_1)
	s_add_nc_u64 s[26:27], s[10:11], s[28:29]
	s_and_b64 s[28:29], s[26:27], 0xffffffff00000000
	s_delay_alu instid0(SALU_CYCLE_1) | instskip(NEXT) | instid1(SALU_CYCLE_1)
	s_or_b32 s28, s28, s26
	s_mul_u64 s[26:27], s[12:13], s[28:29]
	s_add_nc_u64 s[30:31], s[28:29], 1
	s_sub_co_u32 s3, s24, s26
	s_cselect_b32 s7, -1, 0
	s_sub_co_i32 s9, s25, s27
	s_cmp_lg_u32 s7, 0
	s_add_nc_u64 s[34:35], s[28:29], 2
	s_sub_co_ci_u32 s9, s9, s13
	s_sub_co_u32 s10, s3, s12
	s_cselect_b32 s14, -1, 0
	s_delay_alu instid0(SALU_CYCLE_1) | instskip(SKIP_1) | instid1(SALU_CYCLE_1)
	s_cmp_lg_u32 s14, 0
	s_sub_co_ci_u32 s9, s9, 0
	s_cmp_ge_u32 s9, s13
	s_cselect_b32 s14, -1, 0
	s_cmp_ge_u32 s10, s12
	s_cselect_b32 s10, -1, 0
	s_cmp_eq_u32 s9, s13
	s_cselect_b32 s9, s10, s14
	s_delay_alu instid0(SALU_CYCLE_1) | instskip(SKIP_4) | instid1(SALU_CYCLE_1)
	s_cmp_lg_u32 s9, 0
	s_cselect_b32 s9, s34, s30
	s_cselect_b32 s10, s35, s31
	s_cmp_lg_u32 s7, 0
	s_sub_co_ci_u32 s7, s25, s27
	s_cmp_ge_u32 s7, s13
	s_cselect_b32 s14, -1, 0
	s_cmp_ge_u32 s3, s12
	s_cselect_b32 s3, -1, 0
	s_cmp_eq_u32 s7, s13
	s_cselect_b32 s3, s3, s14
	s_delay_alu instid0(SALU_CYCLE_1) | instskip(SKIP_3) | instid1(SALU_CYCLE_1)
	s_cmp_lg_u32 s3, 0
	s_cselect_b32 s13, s10, s29
	s_cselect_b32 s12, s9, s28
	s_xor_b64 s[22:23], s[22:23], 0
	s_xor_b64 s[12:13], s[12:13], s[22:23]
	s_delay_alu instid0(SALU_CYCLE_1)
	s_sub_nc_u64 s[24:25], s[12:13], s[22:23]
	s_load_b96 s[12:14], s[0:1], 0x44
	s_cbranch_execnz .LBB16_6
.LBB16_5:
	v_cvt_f32_u32_e32 v1, s16
	s_sub_co_i32 s7, 0, s16
	s_delay_alu instid0(VALU_DEP_1) | instskip(SKIP_1) | instid1(TRANS32_DEP_1)
	v_rcp_iflag_f32_e32 v1, v1
	v_nop
	v_mul_f32_e32 v1, 0x4f7ffffe, v1
	s_delay_alu instid0(VALU_DEP_1) | instskip(NEXT) | instid1(VALU_DEP_1)
	v_cvt_u32_f32_e32 v1, v1
	v_readfirstlane_b32 s3, v1
	s_mul_i32 s7, s7, s3
	s_delay_alu instid0(SALU_CYCLE_1) | instskip(NEXT) | instid1(SALU_CYCLE_1)
	s_mul_hi_u32 s7, s3, s7
	s_add_co_i32 s3, s3, s7
	s_delay_alu instid0(SALU_CYCLE_1) | instskip(NEXT) | instid1(SALU_CYCLE_1)
	s_mul_hi_u32 s3, s8, s3
	s_mul_i32 s7, s3, s16
	s_delay_alu instid0(SALU_CYCLE_1)
	s_sub_co_i32 s7, s8, s7
	s_add_co_i32 s8, s3, 1
	s_sub_co_i32 s9, s7, s16
	s_cmp_ge_u32 s7, s16
	s_cselect_b32 s3, s8, s3
	s_cselect_b32 s7, s9, s7
	s_add_co_i32 s8, s3, 1
	s_cmp_ge_u32 s7, s16
	s_cselect_b32 s24, s8, s3
.LBB16_6:
	s_delay_alu instid0(SALU_CYCLE_1)
	s_cmp_eq_u32 s20, s24
	s_mov_b64 s[8:9], 0xffffffff
	s_cselect_b32 s3, -1, 0
	s_and_b64 s[8:9], s[20:21], s[8:9]
	s_mov_b32 s23, 0
	s_wait_kmcnt 0x0
	s_mov_b32 s22, s12
	s_mov_b32 s25, s23
	s_mul_u64 s[10:11], s[8:9], s[22:23]
	s_delay_alu instid0(SALU_CYCLE_1) | instskip(SKIP_2) | instid1(SALU_CYCLE_1)
	s_add_co_i32 s7, s11, s20
	s_mul_u64 s[10:11], s[24:25], s[22:23]
	s_lshr_b32 s12, s7, s13
	s_mul_i32 s7, s12, s14
	s_delay_alu instid0(SALU_CYCLE_1) | instskip(SKIP_2) | instid1(SALU_CYCLE_1)
	s_cmp_eq_u32 s7, s20
	s_cselect_b32 s7, -1, 0
	s_add_co_i32 s10, s11, s24
	s_lshr_b32 s10, s10, s13
	s_delay_alu instid0(SALU_CYCLE_1)
	s_cmp_eq_u32 s12, s10
	s_mul_i32 s10, s10, s14
	s_cselect_b32 s11, -1, 0
	s_cmp_lg_u32 s10, s24
	s_cselect_b32 s10, -1, 0
	s_or_b32 s3, s3, s7
	s_and_b32 s10, s11, s10
	s_delay_alu instid0(SALU_CYCLE_1) | instskip(NEXT) | instid1(SALU_CYCLE_1)
	s_or_b32 s3, s3, s10
	s_and_b32 vcc_lo, exec_lo, s3
	s_cbranch_vccnz .LBB16_24
; %bb.7:
	s_load_b256 s[24:31], s[0:1], 0x20
	s_bfe_u32 s3, ttmp6, 0x40014
	s_bfe_u32 s33, ttmp6, 0x40010
	s_lshr_b32 s7, ttmp7, 16
	s_add_co_i32 s3, s3, 1
	s_and_b32 s21, ttmp7, 0xffff
	s_add_co_i32 s33, s33, 1
	s_bfe_u32 s10, ttmp6, 0x40008
	s_mul_i32 s3, s7, s3
	s_bfe_u32 s34, ttmp6, 0x40004
	s_mul_i32 s33, s21, s33
	s_mov_b32 s11, s23
	s_add_co_i32 s35, s10, s3
	s_add_co_i32 s34, s34, s33
	s_cmp_eq_u32 s15, 0
	s_cselect_b32 s3, s21, s34
	s_cselect_b32 s15, s7, s35
	s_wait_kmcnt 0x0
	s_mov_b32 s10, s24
	s_delay_alu instid0(SALU_CYCLE_1) | instskip(SKIP_2) | instid1(SALU_CYCLE_1)
	s_mul_u64 s[8:9], s[8:9], s[10:11]
	s_load_b32 s8, s[0:1], 0x40
	s_add_co_i32 s7, s9, s20
	s_lshr_b32 s7, s7, s25
	s_delay_alu instid0(SALU_CYCLE_1) | instskip(NEXT) | instid1(SALU_CYCLE_1)
	s_mul_i32 s9, s7, s26
	s_sub_co_i32 s9, s20, s9
	s_delay_alu instid0(SALU_CYCLE_1) | instskip(NEXT) | instid1(SALU_CYCLE_1)
	s_mul_hi_u32 s10, s9, s27
	s_add_co_i32 s10, s9, s10
	s_delay_alu instid0(SALU_CYCLE_1) | instskip(NEXT) | instid1(SALU_CYCLE_1)
	s_lshr_b32 s21, s10, s28
	s_mul_i32 s10, s21, s29
	s_delay_alu instid0(SALU_CYCLE_1) | instskip(NEXT) | instid1(SALU_CYCLE_1)
	s_sub_co_i32 s10, s9, s10
	s_mul_hi_u32 s9, s10, s30
	s_delay_alu instid0(SALU_CYCLE_1) | instskip(NEXT) | instid1(SALU_CYCLE_1)
	s_add_co_i32 s9, s10, s9
	s_lshr_b32 s25, s9, s31
	s_mov_b32 s9, s23
	s_wait_kmcnt 0x0
	s_mul_i32 s8, s25, s8
	s_lshl_b32 s25, s25, 3
	s_sub_co_i32 s8, s10, s8
	s_delay_alu instid0(SALU_CYCLE_1) | instskip(NEXT) | instid1(SALU_CYCLE_1)
	s_mul_u64 s[10:11], s[8:9], s[22:23]
	s_add_co_i32 s8, s8, s11
	s_delay_alu instid0(SALU_CYCLE_1) | instskip(NEXT) | instid1(SALU_CYCLE_1)
	s_lshr_b32 s24, s8, s13
	s_add_co_i32 s24, s24, s3
	s_delay_alu instid0(SALU_CYCLE_1) | instskip(SKIP_2) | instid1(SALU_CYCLE_1)
	s_cmp_lt_i32 s24, s4
	s_cselect_b32 s8, -1, 0
	s_add_co_i32 s25, s25, s15
	s_cmp_lt_i32 s25, s6
	s_cselect_b32 s9, -1, 0
	s_delay_alu instid0(SALU_CYCLE_1) | instskip(NEXT) | instid1(SALU_CYCLE_1)
	s_and_b32 s8, s8, s9
	s_and_not1_b32 vcc_lo, exec_lo, s8
	s_cbranch_vccnz .LBB16_24
; %bb.8:
	s_load_b128 s[8:11], s[0:1], 0x0
	s_mul_i32 s7, s7, s4
	s_mul_i32 s21, s21, s6
	s_wait_xcnt 0x0
	s_add_co_i32 s0, s24, s7
	s_add_co_i32 s1, s25, s21
	s_mul_i32 s0, s0, s5
	s_add_co_i32 s4, s3, s2
	s_add_co_i32 s1, s1, s0
	s_lshl_b32 s4, s4, 3
	v_mad_u32 v2, 0x48, s1, v0
	s_add_nc_u64 s[0:1], s[16:17], 0
	v_cvt_f32_u32_e32 v4, s16
	s_xor_b64 s[6:7], s[0:1], 0
	s_add_co_i32 s0, s4, s15
	s_cvt_f32_u32 s4, s6
	s_cvt_f32_u32 s5, s7
	s_ashr_i32 s1, s0, 31
	v_rcp_iflag_f32_e32 v4, v4
	s_lshl_b64 s[0:1], s[0:1], 3
	s_fmamk_f32 s4, s5, 0x4f800000, s4
	s_wait_kmcnt 0x0
	global_load_b32 v1, v2, s[8:9] scale_offset
	s_add_nc_u64 s[0:1], s[10:11], s[0:1]
	s_lshl_b32 s24, s16, 5
	s_load_b64 s[28:29], s[0:1], 0x0
	s_wait_xcnt 0x0
	v_s_rcp_f32 s0, s4
	s_lshl_b32 s1, s3, 3
	s_mov_b32 s25, 0
	s_add_co_i32 s4, s1, s15
	v_dual_mul_f32 v4, 0x4f7ffffe, v4 :: v_dual_ashrrev_i32 v3, 31, v2
	v_mad_u32 v6, 0x48, s4, v0
	s_add_co_i32 s36, s2, -1
	s_delay_alu instid0(TRANS32_DEP_1)
	s_mul_f32 s5, s0, 0x5f7ffffc
	s_lshl_b64 s[0:1], s[24:25], 2
	v_lshl_add_u64 v[2:3], v[2:3], 2, s[8:9]
	s_add_nc_u64 s[26:27], s[10:11], s[0:1]
	s_mul_f32 s17, s5, 0x2f800000
	v_cvt_u32_f32_e32 v7, v4
	s_mov_b64 s[8:9], 0xffffffff
	s_sub_nc_u64 s[34:35], 0, s[6:7]
	s_trunc_f32 s0, s17
	s_add_co_i32 s17, s16, s3
	s_wait_kmcnt 0x0
	v_mov_b32_e32 v0, s29
	s_fmamk_f32 s1, s0, 0xcf800000, s5
	s_cvt_u32_f32 s31, s0
	s_delay_alu instid0(SALU_CYCLE_2)
	s_cvt_u32_f32 s30, s1
.LBB16_9:                               ; =>This Inner Loop Header: Depth=1
	s_ashr_i32 s37, s36, 31
                                        ; implicit-def: $sgpr40_sgpr41
	s_delay_alu instid0(SALU_CYCLE_1) | instskip(NEXT) | instid1(SALU_CYCLE_1)
	s_mul_u64 s[0:1], s[36:37], s[18:19]
	s_and_b64 s[2:3], s[0:1], 0xffffffff00000000
	s_delay_alu instid0(SALU_CYCLE_1)
	s_cmp_lg_u64 s[2:3], 0
	s_mov_b32 s2, -1
	s_cbranch_scc0 .LBB16_11
; %bb.10:                               ;   in Loop: Header=BB16_9 Depth=1
	s_mul_u64 s[2:3], s[34:35], s[30:31]
	s_delay_alu instid0(SALU_CYCLE_1)
	s_mul_hi_u32 s5, s30, s3
	s_mul_i32 s4, s30, s3
	s_mul_hi_u32 s24, s30, s2
	s_mul_hi_u32 s21, s31, s2
	s_add_nc_u64 s[4:5], s[24:25], s[4:5]
	s_mul_i32 s2, s31, s2
	s_mul_hi_u32 s29, s31, s3
	s_add_co_u32 s2, s4, s2
	s_add_co_ci_u32 s24, s5, s21
	s_add_co_ci_u32 s5, s29, 0
	s_mul_i32 s4, s31, s3
	s_delay_alu instid0(SALU_CYCLE_1) | instskip(NEXT) | instid1(SALU_CYCLE_1)
	s_add_nc_u64 s[2:3], s[24:25], s[4:5]
	s_add_co_u32 s2, s30, s2
	s_cselect_b32 s4, -1, 0
	s_delay_alu instid0(SALU_CYCLE_1) | instskip(SKIP_1) | instid1(SALU_CYCLE_1)
	s_cmp_lg_u32 s4, 0
	s_add_co_ci_u32 s3, s31, s3
	s_mul_u64 s[4:5], s[34:35], s[2:3]
	s_delay_alu instid0(SALU_CYCLE_1)
	s_mul_hi_u32 s39, s2, s5
	s_mul_i32 s38, s2, s5
	s_mul_hi_u32 s24, s2, s4
	s_mul_hi_u32 s21, s3, s4
	s_mul_i32 s4, s3, s4
	s_add_nc_u64 s[38:39], s[24:25], s[38:39]
	s_mul_hi_u32 s29, s3, s5
	s_add_co_u32 s4, s38, s4
	s_add_co_ci_u32 s24, s39, s21
	s_mul_i32 s4, s3, s5
	s_add_co_ci_u32 s5, s29, 0
	s_delay_alu instid0(SALU_CYCLE_1) | instskip(NEXT) | instid1(SALU_CYCLE_1)
	s_add_nc_u64 s[4:5], s[24:25], s[4:5]
	s_add_co_u32 s21, s2, s4
	s_cselect_b32 s2, -1, 0
	s_delay_alu instid0(SALU_CYCLE_1) | instskip(SKIP_2) | instid1(SALU_CYCLE_1)
	s_cmp_lg_u32 s2, 0
	s_add_co_ci_u32 s29, s3, s5
	s_ashr_i32 s2, s1, 31
	s_mov_b32 s3, s2
	s_delay_alu instid0(SALU_CYCLE_1) | instskip(NEXT) | instid1(SALU_CYCLE_1)
	s_add_nc_u64 s[4:5], s[0:1], s[2:3]
	s_xor_b64 s[4:5], s[4:5], s[2:3]
	s_delay_alu instid0(SALU_CYCLE_1)
	s_mul_hi_u32 s39, s4, s29
	s_mul_i32 s38, s4, s29
	s_mul_hi_u32 s24, s4, s21
	s_mul_hi_u32 s33, s5, s21
	s_mul_i32 s21, s5, s21
	s_add_nc_u64 s[38:39], s[24:25], s[38:39]
	s_mul_hi_u32 s1, s5, s29
	s_add_co_u32 s21, s38, s21
	s_add_co_ci_u32 s24, s39, s33
	s_mul_i32 s40, s5, s29
	s_add_co_ci_u32 s41, s1, 0
	s_delay_alu instid0(SALU_CYCLE_1) | instskip(NEXT) | instid1(SALU_CYCLE_1)
	s_add_nc_u64 s[38:39], s[24:25], s[40:41]
	s_and_b64 s[40:41], s[38:39], 0xffffffff00000000
	s_delay_alu instid0(SALU_CYCLE_1) | instskip(NEXT) | instid1(SALU_CYCLE_1)
	s_or_b32 s40, s40, s38
	s_mul_u64 s[38:39], s[6:7], s[40:41]
	s_add_nc_u64 s[42:43], s[40:41], 1
	s_sub_co_u32 s1, s4, s38
	s_cselect_b32 s4, -1, 0
	s_sub_co_i32 s21, s5, s39
	s_cmp_lg_u32 s4, 0
	s_add_nc_u64 s[44:45], s[40:41], 2
	s_sub_co_ci_u32 s21, s21, s7
	s_sub_co_u32 s24, s1, s6
	s_cselect_b32 s29, -1, 0
	s_delay_alu instid0(SALU_CYCLE_1) | instskip(SKIP_1) | instid1(SALU_CYCLE_1)
	s_cmp_lg_u32 s29, 0
	s_sub_co_ci_u32 s21, s21, 0
	s_cmp_ge_u32 s21, s7
	s_cselect_b32 s29, -1, 0
	s_cmp_ge_u32 s24, s6
	s_cselect_b32 s24, -1, 0
	s_cmp_eq_u32 s21, s7
	s_cselect_b32 s21, s24, s29
	s_delay_alu instid0(SALU_CYCLE_1) | instskip(SKIP_4) | instid1(SALU_CYCLE_1)
	s_cmp_lg_u32 s21, 0
	s_cselect_b32 s21, s44, s42
	s_cselect_b32 s24, s45, s43
	s_cmp_lg_u32 s4, 0
	s_sub_co_ci_u32 s4, s5, s39
	s_cmp_ge_u32 s4, s7
	s_cselect_b32 s5, -1, 0
	s_cmp_ge_u32 s1, s6
	s_cselect_b32 s1, -1, 0
	s_cmp_eq_u32 s4, s7
	s_cselect_b32 s1, s1, s5
	s_delay_alu instid0(SALU_CYCLE_1) | instskip(SKIP_3) | instid1(SALU_CYCLE_1)
	s_cmp_lg_u32 s1, 0
	s_cselect_b32 s5, s24, s41
	s_cselect_b32 s4, s21, s40
	s_xor_b64 s[2:3], s[2:3], 0
	s_xor_b64 s[4:5], s[4:5], s[2:3]
	s_delay_alu instid0(SALU_CYCLE_1)
	s_sub_nc_u64 s[40:41], s[4:5], s[2:3]
	s_mov_b32 s2, 0
.LBB16_11:                              ;   in Loop: Header=BB16_9 Depth=1
	s_delay_alu instid0(SALU_CYCLE_1)
	s_and_not1_b32 vcc_lo, exec_lo, s2
	s_cbranch_vccnz .LBB16_13
; %bb.12:                               ;   in Loop: Header=BB16_9 Depth=1
	v_readfirstlane_b32 s1, v7
	s_sub_co_i32 s2, 0, s16
	s_delay_alu instid0(SALU_CYCLE_1) | instskip(NEXT) | instid1(SALU_CYCLE_1)
	s_mul_i32 s2, s2, s1
	s_mul_hi_u32 s2, s1, s2
	s_delay_alu instid0(SALU_CYCLE_1) | instskip(NEXT) | instid1(SALU_CYCLE_1)
	s_add_co_i32 s1, s1, s2
	s_mul_hi_u32 s1, s0, s1
	s_delay_alu instid0(SALU_CYCLE_1) | instskip(NEXT) | instid1(SALU_CYCLE_1)
	s_mul_i32 s2, s1, s16
	s_sub_co_i32 s0, s0, s2
	s_add_co_i32 s2, s1, 1
	s_sub_co_i32 s3, s0, s16
	s_cmp_ge_u32 s0, s16
	s_cselect_b32 s1, s2, s1
	s_cselect_b32 s0, s3, s0
	s_add_co_i32 s2, s1, 1
	s_cmp_ge_u32 s0, s16
	s_cselect_b32 s24, s2, s1
	s_delay_alu instid0(SALU_CYCLE_1)
	s_mov_b64 s[40:41], s[24:25]
.LBB16_13:                              ;   in Loop: Header=BB16_9 Depth=1
	s_delay_alu instid0(SALU_CYCLE_1)
	s_cmp_lg_u32 s20, s40
	s_mov_b32 s0, -1
                                        ; implicit-def: $vgpr4_vgpr5
                                        ; implicit-def: $sgpr29
                                        ; implicit-def: $sgpr21
                                        ; implicit-def: $sgpr24
                                        ; implicit-def: $sgpr33
	s_cbranch_scc0 .LBB16_18
; %bb.14:                               ;   in Loop: Header=BB16_9 Depth=1
	s_add_co_i32 s0, s17, s36
	v_max_num_f32_e64 v4, s28, s28
	s_lshl_b32 s0, s0, 3
	s_mov_b32 s33, s20
	s_add_co_i32 s0, s0, s15
	s_load_b64 s[38:39], s[10:11], s0 offset:0x0 scale_offset
	s_wait_xcnt 0x0
	v_readfirstlane_b32 s0, v4
	s_wait_kmcnt 0x0
	v_max_num_f32_e64 v5, s38, s38
	s_delay_alu instid0(VALU_DEP_1) | instskip(SKIP_1) | instid1(SALU_CYCLE_3)
	v_readfirstlane_b32 s1, v5
	s_max_num_f32 s21, s0, s1
	s_sub_f32 s37, s28, s21
	s_sub_f32 s38, s38, s21
	s_delay_alu instid0(SALU_CYCLE_2)
	s_cmp_nlt_f32 s37, 0xc2ce8ed0
	s_cselect_b32 s1, -1, 0
	s_cmp_ngt_f32 s37, 0x42b17218
	s_cselect_b32 s2, -1, 0
	s_cmp_ge_f32 s37, 0xc1a00000
	s_cselect_b32 s0, -1, 0
	s_cmp_nlt_f32 s38, 0xc2ce8ed0
	s_cselect_b32 s3, -1, 0
	s_cmp_ngt_f32 s38, 0x42b17218
	s_cselect_b32 s4, -1, 0
	s_cmp_ge_f32 s38, 0xc1a00000
	s_cselect_b32 s5, -1, 0
	s_and_b64 s[42:43], s[40:41], s[8:9]
	s_delay_alu instid0(SALU_CYCLE_1) | instskip(NEXT) | instid1(SALU_CYCLE_1)
	s_mul_u64 s[42:43], s[42:43], s[22:23]
	s_add_co_i32 s24, s43, s40
	s_delay_alu instid0(SALU_CYCLE_1) | instskip(NEXT) | instid1(SALU_CYCLE_1)
	s_lshr_b32 s24, s24, s13
	s_mul_i32 s29, s24, s14
	s_delay_alu instid0(SALU_CYCLE_1) | instskip(SKIP_3) | instid1(SALU_CYCLE_1)
	s_cmp_eq_u32 s29, s40
	s_cselect_b32 s29, -1, 0
	s_cmp_lt_u32 s24, s12
	s_cselect_b32 s24, -1, 0
	s_or_b32 s24, s24, s29
	s_mov_b32 s29, -1
	s_and_b32 vcc_lo, exec_lo, s24
	s_mov_b32 s24, s36
	s_cbranch_vccnz .LBB16_16
; %bb.15:                               ;   in Loop: Header=BB16_9 Depth=1
	s_add_co_i32 s24, s36, -1
	s_mov_b32 s29, 0
	s_mov_b32 s33, s40
.LBB16_16:                              ;   in Loop: Header=BB16_9 Depth=1
	v_mad_u32 v4, 0x240, s36, v6
	s_mul_f32 s41, s37, 0x3fb8aa3b
	s_mul_f32 s40, s38, 0x3fb8aa3b
	s_delay_alu instid0(SALU_CYCLE_2)
	s_xor_b32 s43, s41, 0x80000000
	s_rndne_f32 s45, s41
	s_fmamk_f32 s43, s37, 0x3fb8aa3b, s43
	s_xor_b32 s42, s40, 0x80000000
	s_rndne_f32 s44, s40
	s_sub_f32 s41, s41, s45
	global_load_b32 v5, v4, s[26:27] scale_offset
	s_fmamk_f32 s37, s37, 0x32a5705f, s43
	s_fmamk_f32 s42, s38, 0x3fb8aa3b, s42
	s_sub_f32 s40, s40, s44
	s_delay_alu instid0(SALU_CYCLE_1) | instskip(NEXT) | instid1(SALU_CYCLE_1)
	s_add_f32 s37, s41, s37
	s_fmamk_f32 s38, s38, 0x32a5705f, s42
	s_cvt_i32_f32 s41, s45
	s_delay_alu instid0(SALU_CYCLE_1) | instskip(NEXT) | instid1(SALU_CYCLE_1)
	v_s_exp_f32 s37, s37
	s_add_f32 s38, s40, s38
	s_cvt_i32_f32 s40, s44
	s_delay_alu instid0(SALU_CYCLE_2) | instskip(NEXT) | instid1(TRANS32_DEP_2)
	v_s_exp_f32 s38, s38
	v_ldexp_f32 v8, s37, s41
	s_wait_xcnt 0x0
	s_delay_alu instid0(TRANS32_DEP_1) | instskip(NEXT) | instid1(VALU_DEP_2)
	v_ldexp_f32 v4, s38, s40
	v_cndmask_b32_e64 v8, 0, v8, s1
	s_delay_alu instid0(VALU_DEP_1) | instskip(NEXT) | instid1(VALU_DEP_1)
	v_cndmask_b32_e64 v9, 0x7f800000, v8, s2
	v_dual_cndmask_b32 v4, 0, v4, s3 :: v_dual_cndmask_b32 v10, 0, v9, s0
	s_delay_alu instid0(VALU_DEP_1) | instskip(NEXT) | instid1(VALU_DEP_1)
	v_cndmask_b32_e64 v4, 0x7f800000, v4, s4
	v_dual_cndmask_b32 v8, 0, v4, s5 :: v_dual_mov_b32 v4, s39
	s_wait_loadcnt 0x0
	s_delay_alu instid0(VALU_DEP_1) | instskip(NEXT) | instid1(VALU_DEP_1)
	v_pk_mul_f32 v[4:5], v[4:5], v[8:9] op_sel_hi:[1,0]
	v_pk_fma_f32 v[4:5], v[0:1], v[10:11], v[4:5] op_sel_hi:[1,0,1]
	s_cbranch_execz .LBB16_19
.LBB16_17:                              ;   in Loop: Header=BB16_9 Depth=1
	s_and_not1_b32 vcc_lo, exec_lo, s29
	s_cbranch_vccnz .LBB16_20
	s_branch .LBB16_23
.LBB16_18:                              ;   in Loop: Header=BB16_9 Depth=1
	s_and_not1_b32 vcc_lo, exec_lo, s0
	s_cbranch_vccnz .LBB16_17
.LBB16_19:                              ;   in Loop: Header=BB16_9 Depth=1
	s_wait_loadcnt 0x0
	v_mov_b64_e32 v[4:5], v[0:1]
	s_add_co_i32 s24, s36, -1
	s_mov_b32 s33, s20
	s_mov_b32 s21, s28
	s_cbranch_execz .LBB16_23
.LBB16_20:                              ;   in Loop: Header=BB16_9 Depth=1
	s_wait_loadcnt 0x0
	s_delay_alu instid0(VALU_DEP_1)
	v_mov_b64_e32 v[0:1], v[4:5]
	s_mov_b32 s20, s33
	s_mov_b32 s36, s24
	;; [unrolled: 1-line block ×3, first 2 shown]
	s_branch .LBB16_9
.LBB16_21:
                                        ; implicit-def: $sgpr20_sgpr21
	s_branch .LBB16_2
.LBB16_22:
                                        ; implicit-def: $sgpr24_sgpr25
	s_load_b96 s[12:14], s[0:1], 0x44
	s_branch .LBB16_5
.LBB16_23:
	s_delay_alu instid0(VALU_DEP_1) | instskip(SKIP_1) | instid1(VALU_DEP_1)
	v_div_scale_f32 v0, null, v4, v4, v5
	s_wait_loadcnt 0x0
	v_rcp_f32_e32 v1, v0
	v_nop
	s_delay_alu instid0(TRANS32_DEP_1) | instskip(NEXT) | instid1(VALU_DEP_1)
	v_fma_f32 v6, -v0, v1, 1.0
	v_fmac_f32_e32 v1, v6, v1
	v_div_scale_f32 v6, vcc_lo, v5, v4, v5
	s_delay_alu instid0(VALU_DEP_1) | instskip(NEXT) | instid1(VALU_DEP_1)
	v_mul_f32_e32 v7, v6, v1
	v_fma_f32 v8, -v0, v7, v6
	s_delay_alu instid0(VALU_DEP_1) | instskip(NEXT) | instid1(VALU_DEP_1)
	v_fmac_f32_e32 v7, v8, v1
	v_fma_f32 v0, -v0, v7, v6
	s_delay_alu instid0(VALU_DEP_1) | instskip(NEXT) | instid1(VALU_DEP_1)
	v_div_fmas_f32 v0, v0, v1, v7
	v_div_fixup_f32 v0, v0, v4, v5
	global_store_b32 v[2:3], v0, off
.LBB16_24:
	s_endpgm
	.section	.rodata,"a",@progbits
	.p2align	6, 0x0
	.amdhsa_kernel _ZL33flash_attn_stream_k_fixup_generalILi72ELi1ELi8EEvPfPK15HIP_vector_typeIfLj2EEiiiiS1_IjLj3EES5_S5_S5_
		.amdhsa_group_segment_fixed_size 0
		.amdhsa_private_segment_fixed_size 0
		.amdhsa_kernarg_size 336
		.amdhsa_user_sgpr_count 2
		.amdhsa_user_sgpr_dispatch_ptr 0
		.amdhsa_user_sgpr_queue_ptr 0
		.amdhsa_user_sgpr_kernarg_segment_ptr 1
		.amdhsa_user_sgpr_dispatch_id 0
		.amdhsa_user_sgpr_kernarg_preload_length 0
		.amdhsa_user_sgpr_kernarg_preload_offset 0
		.amdhsa_user_sgpr_private_segment_size 0
		.amdhsa_wavefront_size32 1
		.amdhsa_uses_dynamic_stack 0
		.amdhsa_enable_private_segment 0
		.amdhsa_system_sgpr_workgroup_id_x 1
		.amdhsa_system_sgpr_workgroup_id_y 1
		.amdhsa_system_sgpr_workgroup_id_z 1
		.amdhsa_system_sgpr_workgroup_info 0
		.amdhsa_system_vgpr_workitem_id 0
		.amdhsa_next_free_vgpr 12
		.amdhsa_next_free_sgpr 46
		.amdhsa_named_barrier_count 0
		.amdhsa_reserve_vcc 1
		.amdhsa_float_round_mode_32 0
		.amdhsa_float_round_mode_16_64 0
		.amdhsa_float_denorm_mode_32 3
		.amdhsa_float_denorm_mode_16_64 3
		.amdhsa_fp16_overflow 0
		.amdhsa_memory_ordered 1
		.amdhsa_forward_progress 1
		.amdhsa_inst_pref_size 27
		.amdhsa_round_robin_scheduling 0
		.amdhsa_exception_fp_ieee_invalid_op 0
		.amdhsa_exception_fp_denorm_src 0
		.amdhsa_exception_fp_ieee_div_zero 0
		.amdhsa_exception_fp_ieee_overflow 0
		.amdhsa_exception_fp_ieee_underflow 0
		.amdhsa_exception_fp_ieee_inexact 0
		.amdhsa_exception_int_div_zero 0
	.end_amdhsa_kernel
	.section	.text._ZL33flash_attn_stream_k_fixup_generalILi72ELi1ELi8EEvPfPK15HIP_vector_typeIfLj2EEiiiiS1_IjLj3EES5_S5_S5_,"axG",@progbits,_ZL33flash_attn_stream_k_fixup_generalILi72ELi1ELi8EEvPfPK15HIP_vector_typeIfLj2EEiiiiS1_IjLj3EES5_S5_S5_,comdat
.Lfunc_end16:
	.size	_ZL33flash_attn_stream_k_fixup_generalILi72ELi1ELi8EEvPfPK15HIP_vector_typeIfLj2EEiiiiS1_IjLj3EES5_S5_S5_, .Lfunc_end16-_ZL33flash_attn_stream_k_fixup_generalILi72ELi1ELi8EEvPfPK15HIP_vector_typeIfLj2EEiiiiS1_IjLj3EES5_S5_S5_
                                        ; -- End function
	.set _ZL33flash_attn_stream_k_fixup_generalILi72ELi1ELi8EEvPfPK15HIP_vector_typeIfLj2EEiiiiS1_IjLj3EES5_S5_S5_.num_vgpr, 12
	.set _ZL33flash_attn_stream_k_fixup_generalILi72ELi1ELi8EEvPfPK15HIP_vector_typeIfLj2EEiiiiS1_IjLj3EES5_S5_S5_.num_agpr, 0
	.set _ZL33flash_attn_stream_k_fixup_generalILi72ELi1ELi8EEvPfPK15HIP_vector_typeIfLj2EEiiiiS1_IjLj3EES5_S5_S5_.numbered_sgpr, 46
	.set _ZL33flash_attn_stream_k_fixup_generalILi72ELi1ELi8EEvPfPK15HIP_vector_typeIfLj2EEiiiiS1_IjLj3EES5_S5_S5_.num_named_barrier, 0
	.set _ZL33flash_attn_stream_k_fixup_generalILi72ELi1ELi8EEvPfPK15HIP_vector_typeIfLj2EEiiiiS1_IjLj3EES5_S5_S5_.private_seg_size, 0
	.set _ZL33flash_attn_stream_k_fixup_generalILi72ELi1ELi8EEvPfPK15HIP_vector_typeIfLj2EEiiiiS1_IjLj3EES5_S5_S5_.uses_vcc, 1
	.set _ZL33flash_attn_stream_k_fixup_generalILi72ELi1ELi8EEvPfPK15HIP_vector_typeIfLj2EEiiiiS1_IjLj3EES5_S5_S5_.uses_flat_scratch, 0
	.set _ZL33flash_attn_stream_k_fixup_generalILi72ELi1ELi8EEvPfPK15HIP_vector_typeIfLj2EEiiiiS1_IjLj3EES5_S5_S5_.has_dyn_sized_stack, 0
	.set _ZL33flash_attn_stream_k_fixup_generalILi72ELi1ELi8EEvPfPK15HIP_vector_typeIfLj2EEiiiiS1_IjLj3EES5_S5_S5_.has_recursion, 0
	.set _ZL33flash_attn_stream_k_fixup_generalILi72ELi1ELi8EEvPfPK15HIP_vector_typeIfLj2EEiiiiS1_IjLj3EES5_S5_S5_.has_indirect_call, 0
	.section	.AMDGPU.csdata,"",@progbits
; Kernel info:
; codeLenInByte = 3348
; TotalNumSgprs: 48
; NumVgprs: 12
; ScratchSize: 0
; MemoryBound: 0
; FloatMode: 240
; IeeeMode: 1
; LDSByteSize: 0 bytes/workgroup (compile time only)
; SGPRBlocks: 0
; VGPRBlocks: 0
; NumSGPRsForWavesPerEU: 48
; NumVGPRsForWavesPerEU: 12
; NamedBarCnt: 0
; Occupancy: 16
; WaveLimiterHint : 0
; COMPUTE_PGM_RSRC2:SCRATCH_EN: 0
; COMPUTE_PGM_RSRC2:USER_SGPR: 2
; COMPUTE_PGM_RSRC2:TRAP_HANDLER: 0
; COMPUTE_PGM_RSRC2:TGID_X_EN: 1
; COMPUTE_PGM_RSRC2:TGID_Y_EN: 1
; COMPUTE_PGM_RSRC2:TGID_Z_EN: 1
; COMPUTE_PGM_RSRC2:TIDIG_COMP_CNT: 0
	.section	.text._ZL15flash_attn_tileILi72ELi72ELi16ELi4ELb0EEvPKcS1_S1_S1_S1_PKiPfP15HIP_vector_typeIfLj2EEffffjfiS5_IjLj3EEiiiiiiiiiiiliiliiiiil,"axG",@progbits,_ZL15flash_attn_tileILi72ELi72ELi16ELi4ELb0EEvPKcS1_S1_S1_S1_PKiPfP15HIP_vector_typeIfLj2EEffffjfiS5_IjLj3EEiiiiiiiiiiiliiliiiiil,comdat
	.globl	_ZL15flash_attn_tileILi72ELi72ELi16ELi4ELb0EEvPKcS1_S1_S1_S1_PKiPfP15HIP_vector_typeIfLj2EEffffjfiS5_IjLj3EEiiiiiiiiiiiliiliiiiil ; -- Begin function _ZL15flash_attn_tileILi72ELi72ELi16ELi4ELb0EEvPKcS1_S1_S1_S1_PKiPfP15HIP_vector_typeIfLj2EEffffjfiS5_IjLj3EEiiiiiiiiiiiliiliiiiil
	.p2align	8
	.type	_ZL15flash_attn_tileILi72ELi72ELi16ELi4ELb0EEvPKcS1_S1_S1_S1_PKiPfP15HIP_vector_typeIfLj2EEffffjfiS5_IjLj3EEiiiiiiiiiiiliiliiiiil,@function
_ZL15flash_attn_tileILi72ELi72ELi16ELi4ELb0EEvPKcS1_S1_S1_S1_PKiPfP15HIP_vector_typeIfLj2EEffffjfiS5_IjLj3EEiiiiiiiiiiiliiliiiiil: ; @_ZL15flash_attn_tileILi72ELi72ELi16ELi4ELb0EEvPKcS1_S1_S1_S1_PKiPfP15HIP_vector_typeIfLj2EEffffjfiS5_IjLj3EEiiiiiiiiiiiliiliiiiil
; %bb.0:
	s_clause 0x1
	s_load_b128 s[20:23], s[0:1], 0x5c
	s_load_b64 s[34:35], s[0:1], 0x80
	s_bfe_u32 s5, ttmp6, 0x40014
	s_lshr_b32 s4, ttmp7, 16
	s_add_co_i32 s5, s5, 1
	s_bfe_u32 s6, ttmp6, 0x40008
	s_mul_i32 s5, s4, s5
	s_getreg_b32 s43, hwreg(HW_REG_IB_STS2, 6, 4)
	s_add_co_i32 s6, s6, s5
	s_mov_b32 s39, 0
	s_mov_b64 s[36:37], 0
	s_wait_kmcnt 0x0
	s_ashr_i32 s2, s23, 31
	s_delay_alu instid0(SALU_CYCLE_1) | instskip(NEXT) | instid1(SALU_CYCLE_1)
	s_lshr_b32 s2, s2, 30
	s_add_co_i32 s2, s23, s2
	s_delay_alu instid0(SALU_CYCLE_1) | instskip(NEXT) | instid1(SALU_CYCLE_1)
	s_ashr_i32 s2, s2, 2
	s_cvt_f32_u32 s3, s2
	s_sub_co_i32 s7, 0, s2
	s_delay_alu instid0(SALU_CYCLE_2) | instskip(SKIP_1) | instid1(TRANS32_DEP_1)
	v_rcp_iflag_f32_e32 v1, s3
	v_nop
	v_readfirstlane_b32 s3, v1
	s_mul_f32 s3, s3, 0x4f7ffffe
	s_delay_alu instid0(SALU_CYCLE_3) | instskip(NEXT) | instid1(SALU_CYCLE_3)
	s_cvt_u32_f32 s3, s3
	s_mul_i32 s7, s7, s3
	s_delay_alu instid0(SALU_CYCLE_1) | instskip(NEXT) | instid1(SALU_CYCLE_1)
	s_mul_hi_u32 s7, s3, s7
	s_add_co_i32 s3, s3, s7
	s_cmp_eq_u32 s43, 0
	s_cselect_b32 s4, s4, s6
	s_delay_alu instid0(SALU_CYCLE_1) | instskip(NEXT) | instid1(SALU_CYCLE_1)
	s_mul_hi_u32 s3, s4, s3
	s_mul_i32 s5, s3, s2
	s_add_co_i32 s6, s3, 1
	s_sub_co_i32 s5, s4, s5
	s_delay_alu instid0(SALU_CYCLE_1)
	s_sub_co_i32 s7, s5, s2
	s_cmp_ge_u32 s5, s2
	s_cselect_b32 s3, s6, s3
	s_cselect_b32 s5, s7, s5
	s_add_co_i32 s6, s3, 1
	s_cmp_ge_u32 s5, s2
	s_cselect_b32 s30, s6, s3
	s_abs_i32 s2, s35
	s_abs_i32 s7, s23
	s_cvt_f32_u32 s3, s2
	s_sub_co_i32 s5, 0, s2
	s_lshl_b32 s4, s4, 2
	s_mul_i32 s6, s30, s23
	v_rcp_iflag_f32_e32 v1, s3
	s_sub_co_i32 s28, s4, s6
	s_xor_b32 s4, s23, s35
	s_delay_alu instid0(SALU_CYCLE_1) | instskip(SKIP_1) | instid1(TRANS32_DEP_1)
	s_ashr_i32 s24, s4, 31
	v_nop
	v_readfirstlane_b32 s3, v1
	s_mul_f32 s3, s3, 0x4f7ffffe
	s_delay_alu instid0(SALU_CYCLE_3) | instskip(NEXT) | instid1(SALU_CYCLE_3)
	s_cvt_u32_f32 s3, s3
	s_mul_i32 s5, s5, s3
	s_delay_alu instid0(SALU_CYCLE_1) | instskip(NEXT) | instid1(SALU_CYCLE_1)
	s_mul_hi_u32 s5, s3, s5
	s_add_co_i32 s3, s3, s5
	s_delay_alu instid0(SALU_CYCLE_1) | instskip(NEXT) | instid1(SALU_CYCLE_1)
	s_mul_hi_u32 s3, s7, s3
	s_mul_i32 s5, s3, s2
	s_delay_alu instid0(SALU_CYCLE_1)
	s_sub_co_i32 s4, s7, s5
	s_add_co_i32 s5, s3, 1
	s_sub_co_i32 s6, s4, s2
	s_cmp_ge_u32 s4, s2
	s_cselect_b32 s3, s5, s3
	s_cselect_b32 s4, s6, s4
	s_add_co_i32 s5, s3, 1
	s_cmp_ge_u32 s4, s2
	s_cselect_b32 s2, s5, s3
	s_load_b512 s[4:19], s[0:1], 0x0
	s_xor_b32 s25, s2, s24
	s_load_b64 s[2:3], s[0:1], 0xb8
	s_sub_co_i32 s31, s25, s24
	s_delay_alu instid0(SALU_CYCLE_1) | instskip(NEXT) | instid1(SALU_CYCLE_1)
	s_abs_i32 s29, s31
	s_cvt_f32_u32 s24, s29
	s_delay_alu instid0(SALU_CYCLE_3) | instskip(SKIP_1) | instid1(TRANS32_DEP_1)
	v_rcp_iflag_f32_e32 v1, s24
	v_nop
	v_readfirstlane_b32 s42, v1
	s_wait_kmcnt 0x0
	s_cmp_eq_u64 s[10:11], 0
	s_cbranch_scc1 .LBB17_2
; %bb.1:
	s_abs_i32 s2, s2
	s_abs_i32 s26, s30
	s_cvt_f32_u32 s24, s2
	s_sub_co_i32 s25, 0, s2
	s_delay_alu instid0(SALU_CYCLE_2) | instskip(SKIP_1) | instid1(TRANS32_DEP_1)
	v_rcp_iflag_f32_e32 v1, s24
	v_nop
	v_readfirstlane_b32 s24, v1
	s_mul_f32 s24, s24, 0x4f7ffffe
	s_delay_alu instid0(SALU_CYCLE_3) | instskip(NEXT) | instid1(SALU_CYCLE_3)
	s_cvt_u32_f32 s24, s24
	s_mul_i32 s25, s25, s24
	s_delay_alu instid0(SALU_CYCLE_1) | instskip(NEXT) | instid1(SALU_CYCLE_1)
	s_mul_hi_u32 s25, s24, s25
	s_add_co_i32 s24, s24, s25
	s_delay_alu instid0(SALU_CYCLE_1) | instskip(SKIP_2) | instid1(SALU_CYCLE_1)
	s_mul_hi_u32 s27, s26, s24
	s_load_b64 s[24:25], s[0:1], 0xc8
	s_mul_i32 s27, s27, s2
	s_sub_co_i32 s26, s26, s27
	s_ashr_i32 s27, s30, 31
	s_sub_co_i32 s33, s26, s2
	s_cmp_ge_u32 s26, s2
	s_cselect_b32 s26, s33, s26
	s_delay_alu instid0(SALU_CYCLE_1) | instskip(SKIP_2) | instid1(SALU_CYCLE_1)
	s_sub_co_i32 s33, s26, s2
	s_cmp_ge_u32 s26, s2
	s_cselect_b32 s2, s33, s26
	s_xor_b32 s2, s2, s27
	s_delay_alu instid0(SALU_CYCLE_1) | instskip(NEXT) | instid1(SALU_CYCLE_1)
	s_sub_co_i32 s26, s2, s27
	s_ashr_i32 s27, s26, 31
	s_wait_kmcnt 0x0
	s_mul_u64 s[24:25], s[24:25], s[26:27]
	s_delay_alu instid0(SALU_CYCLE_1)
	s_add_nc_u64 s[36:37], s[10:11], s[24:25]
.LBB17_2:
	s_clause 0x1
	s_load_b96 s[24:26], s[0:1], 0x70
	s_load_b32 s10, s[0:1], 0x40
	s_bfe_u32 s11, ttmp6, 0x4000c
	v_and_b32_e32 v39, 0x3ff, v0
	s_add_co_i32 s11, s11, 1
	s_and_b32 s2, ttmp6, 15
	s_mul_i32 s11, ttmp9, s11
	v_bfe_u32 v40, v0, 10, 10
	s_add_co_i32 s11, s2, s11
	s_cmp_eq_u32 s43, 0
	v_dual_mov_b32 v9, 0 :: v_dual_lshlrev_b32 v34, 2, v39
	s_cselect_b32 s11, ttmp9, s11
	v_cmp_gt_u32_e64 s2, 18, v39
	s_lshl_b32 s33, s11, 4
	v_dual_lshlrev_b32 v2, 3, v39 :: v_dual_lshlrev_b32 v0, 2, v34
	v_lshl_add_u32 v8, v40, 1, s33
	s_mov_b32 s38, s20
	s_wait_kmcnt 0x0
	s_mul_i32 s26, s30, s26
	s_mul_i32 s44, s28, s25
	s_ashr_i32 s41, s25, 31
	s_mov_b32 s40, s25
	s_ashr_i32 s27, s26, 31
	s_ashr_i32 s25, s24, 31
	;; [unrolled: 1-line block ×3, first 2 shown]
	s_add_nc_u64 s[4:5], s[4:5], s[26:27]
	s_lshr_b64 s[40:41], s[40:41], 2
	s_add_nc_u64 s[4:5], s[4:5], s[44:45]
	s_lshr_b64 s[24:25], s[24:25], 2
	s_mul_u64 s[26:27], s[40:41], 12
	s_and_saveexec_b32 s20, s2
	s_cbranch_execz .LBB17_4
; %bb.3:
	v_mul_u64_e32 v[4:5], s[38:39], v[8:9]
	s_lshl_b64 s[44:45], s[40:41], 2
	s_lshl_b64 s[46:47], s[40:41], 3
	s_add_nc_u64 s[44:45], s[4:5], s[44:45]
	s_delay_alu instid0(VALU_DEP_1) | instskip(NEXT) | instid1(VALU_DEP_1)
	v_dual_add_nc_u32 v1, v8, v5 :: v_dual_mov_b32 v5, v9
	v_lshrrev_b32_e32 v1, s21, v1
	s_delay_alu instid0(VALU_DEP_1) | instskip(NEXT) | instid1(VALU_DEP_1)
	v_mul_lo_u32 v1, v1, s22
	v_dual_mov_b32 v1, v9 :: v_dual_sub_nc_u32 v4, v8, v1
	s_delay_alu instid0(VALU_DEP_1) | instskip(NEXT) | instid1(VALU_DEP_1)
	v_mul_u64_e32 v[4:5], s[24:25], v[4:5]
	v_lshlrev_b64_e32 v[4:5], 2, v[4:5]
	s_delay_alu instid0(VALU_DEP_1) | instskip(SKIP_4) | instid1(SALU_CYCLE_1)
	v_add_nc_u64_e32 v[10:11], s[44:45], v[4:5]
	s_add_nc_u64 s[44:45], s[4:5], s[46:47]
	v_add_nc_u64_e32 v[6:7], s[4:5], v[4:5]
	v_add_nc_u64_e32 v[12:13], s[44:45], v[4:5]
	s_add_nc_u64 s[44:45], s[4:5], s[26:27]
	v_add_nc_u64_e32 v[14:15], s[44:45], v[4:5]
	s_delay_alu instid0(VALU_DEP_4) | instskip(NEXT) | instid1(VALU_DEP_4)
	v_add_nc_u64_e32 v[10:11], v[10:11], v[0:1]
	v_add_nc_u64_e32 v[6:7], v[6:7], v[0:1]
	s_delay_alu instid0(VALU_DEP_4) | instskip(NEXT) | instid1(VALU_DEP_4)
	v_add_nc_u64_e32 v[22:23], v[12:13], v[0:1]
	v_add_nc_u64_e32 v[24:25], v[14:15], v[0:1]
	global_load_b128 v[10:13], v[10:11], off
	v_mad_u32_u24 v1, 0x480, v40, v2
	s_clause 0x2
	global_load_b128 v[4:7], v[6:7], off
	global_load_b128 v[14:17], v[22:23], off
	;; [unrolled: 1-line block ×3, first 2 shown]
	s_wait_loadcnt 0x3
	v_fma_mixlo_f16 v9, s10, v11, 0
	v_fma_mixlo_f16 v11, s10, v13, 0
	s_wait_loadcnt 0x2
	v_fma_mixlo_f16 v3, s10, v4, 0
	v_fma_mixlo_f16 v4, s10, v5, 0
	;; [unrolled: 1-line block ×6, first 2 shown]
	s_wait_loadcnt 0x1
	v_fma_mixlo_f16 v12, s10, v14, 0
	v_fma_mixlo_f16 v13, s10, v15, 0
	;; [unrolled: 1-line block ×4, first 2 shown]
	s_wait_loadcnt 0x0
	v_fma_mixlo_f16 v16, s10, v18, 0
	v_fma_mixlo_f16 v17, s10, v19, 0
	v_lshlrev_b32_e32 v4, 16, v4
	v_and_b32_e32 v3, 0xffff, v3
	v_dual_lshlrev_b32 v6, 16, v6 :: v_dual_lshlrev_b32 v9, 16, v9
	v_and_b32_e32 v5, 0xffff, v5
	v_and_b32_e32 v7, 0xffff, v7
	v_fma_mixlo_f16 v18, s10, v20, 0
	v_fma_mixlo_f16 v19, s10, v21, 0
	v_dual_lshlrev_b32 v11, 16, v11 :: v_dual_lshlrev_b32 v13, 16, v13
	v_and_b32_e32 v12, 0xffff, v12
	v_dual_lshlrev_b32 v15, 16, v15 :: v_dual_lshlrev_b32 v17, 16, v17
	v_and_b32_e32 v16, 0xffff, v16
	v_and_b32_e32 v10, 0xffff, v10
	v_or_b32_e32 v3, v4, v3
	v_or3_b32 v5, v6, v5, 0
	v_or_b32_e32 v6, v9, v7
	v_and_b32_e32 v14, 0xffff, v14
	v_dual_lshlrev_b32 v19, 16, v19 :: v_dual_bitop2_b32 v9, v13, v12 bitop3:0x54
	v_and_b32_e32 v18, 0xffff, v18
	v_or_b32_e32 v12, v17, v16
	v_or3_b32 v7, v11, v10, 0
	v_or3_b32 v4, 0, 0, v3
	v_or3_b32 v6, 0, 0, v6
	v_or3_b32 v11, v15, v14, 0
	v_or3_b32 v13, v19, v18, 0
	v_or3_b32 v10, 0, 0, v9
	v_or3_b32 v12, 0, 0, v12
	ds_store_2addr_b64 v1, v[4:5], v[6:7] offset1:18
	ds_store_2addr_b64 v1, v[10:11], v[12:13] offset0:36 offset1:54
.LBB17_4:
	s_or_b32 exec_lo, exec_lo, s20
	v_lshlrev_b32_e32 v3, 3, v40
	s_delay_alu instid0(VALU_DEP_1) | instskip(NEXT) | instid1(VALU_DEP_1)
	v_or_b32_e32 v4, 4, v3
	v_lshrrev_b32_e32 v38, 2, v4
	s_and_saveexec_b32 s20, s2
	s_cbranch_execnz .LBB17_14
; %bb.5:
	s_or_b32 exec_lo, exec_lo, s20
	v_or_b32_e32 v37, 5, v3
	s_and_saveexec_b32 s20, s2
	s_cbranch_execnz .LBB17_15
.LBB17_6:
	s_or_b32 exec_lo, exec_lo, s20
	v_or_b32_e32 v36, 6, v3
	s_and_saveexec_b32 s20, s2
	s_cbranch_execnz .LBB17_16
.LBB17_7:
	s_or_b32 exec_lo, exec_lo, s20
	v_or_b32_e32 v35, 7, v3
	s_and_saveexec_b32 s20, s2
	s_cbranch_execz .LBB17_9
.LBB17_8:
	s_delay_alu instid0(VALU_DEP_1) | instskip(SKIP_1) | instid1(VALU_DEP_1)
	v_dual_lshrrev_b32 v1, 2, v35 :: v_dual_mov_b32 v5, 0
	s_add_nc_u64 s[4:5], s[4:5], s[26:27]
	v_add_nc_u32_e32 v4, s33, v1
	s_delay_alu instid0(VALU_DEP_1) | instskip(NEXT) | instid1(VALU_DEP_1)
	v_mul_u64_e32 v[6:7], s[38:39], v[4:5]
	v_add_nc_u32_e32 v1, v4, v7
	s_delay_alu instid0(VALU_DEP_1) | instskip(NEXT) | instid1(VALU_DEP_1)
	v_lshrrev_b32_e32 v1, s21, v1
	v_mul_lo_u32 v1, v1, s22
	s_delay_alu instid0(VALU_DEP_1) | instskip(NEXT) | instid1(VALU_DEP_1)
	v_dual_mov_b32 v1, v5 :: v_dual_sub_nc_u32 v4, v4, v1
	v_mul_u64_e32 v[6:7], s[24:25], v[4:5]
	s_delay_alu instid0(VALU_DEP_1) | instskip(NEXT) | instid1(VALU_DEP_1)
	v_lshl_add_u64 v[4:5], v[6:7], 2, s[4:5]
	v_add_nc_u64_e32 v[0:1], v[4:5], v[0:1]
	global_load_b128 v[4:7], v[0:1], off
	s_wait_loadcnt 0x0
	v_fma_mixlo_f16 v3, s10, v4, 0
	v_mov_b32_e32 v4, v7
	s_delay_alu instid0(VALU_DEP_2) | instskip(NEXT) | instid1(VALU_DEP_2)
	v_and_b32_e32 v3, 0xffff, v3
	v_pk_mul_f32 v[0:1], s[10:11], v[4:5] op_sel_hi:[0,1]
	s_delay_alu instid0(VALU_DEP_1) | instskip(SKIP_1) | instid1(VALU_DEP_2)
	v_cvt_pk_f16_f32 v0, v0, v1
	v_fma_mixlo_f16 v1, s10, v6, 0
	v_and_b32_e32 v4, 0xffff0000, v0
	s_delay_alu instid0(VALU_DEP_2) | instskip(NEXT) | instid1(VALU_DEP_2)
	v_and_b32_e32 v1, 0xffff, v1
	v_dual_lshlrev_b32 v0, 16, v0 :: v_dual_bitop2_b32 v3, v4, v3 bitop3:0x54
	v_mad_u32_u24 v4, 0x90, v35, v2
	s_delay_alu instid0(VALU_DEP_2) | instskip(NEXT) | instid1(VALU_DEP_3)
	v_or3_b32 v1, v0, v1, 0
	v_or3_b32 v0, 0, 0, v3
	ds_store_b64 v4, v[0:1]
.LBB17_9:
	s_or_b32 exec_lo, exec_lo, s20
	s_cmp_eq_u64 s[14:15], 0
	s_wait_dscnt 0x0
	s_barrier_signal -1
	s_barrier_wait -1
	s_cbranch_scc1 .LBB17_11
; %bb.10:
	s_load_b32 s4, s[0:1], 0xd0
	s_wait_kmcnt 0x0
	s_mul_i32 s4, s4, s30
	s_delay_alu instid0(SALU_CYCLE_1)
	s_add_co_i32 s4, s4, s11
	s_load_b32 s34, s[14:15], s4 offset:0x0 scale_offset
.LBB17_11:
	s_wait_xcnt 0x0
	s_bfe_u32 s4, ttmp6, 0x40010
	s_and_b32 s5, ttmp7, 0xffff
	s_add_co_i32 s4, s4, 1
	s_bfe_u32 s10, ttmp6, 0x40004
	s_mul_i32 s4, s5, s4
	v_mbcnt_lo_u32_b32 v46, -1, 0
	s_add_co_i32 s10, s10, s4
	s_cmp_eq_u32 s43, 0
	s_cselect_b32 s35, s5, s10
	s_mov_b32 s5, 0
	s_lshl_b32 s4, s35, 5
	s_wait_kmcnt 0x0
	s_cmp_lt_i32 s4, s34
	s_cbranch_scc1 .LBB17_17
; %bb.12:
	v_mbcnt_lo_u32_b32 v9, -1, 0
	s_delay_alu instid0(VALU_DEP_1)
	v_dual_mov_b32 v41, 32 :: v_dual_bitop2_b32 v47, 16, v9 bitop3:0x14
	v_xor_b32_e32 v45, 8, v9
	v_xor_b32_e32 v43, 4, v9
	v_xor_b32_e32 v44, 2, v9
	v_xor_b32_e32 v42, 1, v9
	s_and_not1_b32 vcc_lo, exec_lo, s5
	s_cbranch_vccz .LBB17_18
; %bb.13:
	v_dual_mov_b32 v73, 0 :: v_dual_mov_b32 v15, 0
	v_dual_mov_b32 v7, 0xfeffffff :: v_dual_mov_b32 v6, 0xfeffffff
	;; [unrolled: 1-line block ×16, first 2 shown]
	s_branch .LBB17_26
.LBB17_14:
	s_delay_alu instid0(VALU_DEP_1) | instskip(NEXT) | instid1(VALU_DEP_1)
	v_dual_mov_b32 v7, 0 :: v_dual_add_nc_u32 v6, s33, v38
	v_mul_u64_e32 v[10:11], s[38:39], v[6:7]
	s_delay_alu instid0(VALU_DEP_1) | instskip(NEXT) | instid1(VALU_DEP_1)
	v_add_nc_u32_e32 v1, v6, v11
	v_lshrrev_b32_e32 v1, s21, v1
	s_delay_alu instid0(VALU_DEP_1) | instskip(NEXT) | instid1(VALU_DEP_1)
	v_mul_lo_u32 v1, v1, s22
	v_dual_mov_b32 v1, v7 :: v_dual_sub_nc_u32 v6, v6, v1
	s_delay_alu instid0(VALU_DEP_1) | instskip(NEXT) | instid1(VALU_DEP_1)
	v_mul_u64_e32 v[10:11], s[24:25], v[6:7]
	v_lshl_add_u64 v[6:7], v[10:11], 2, s[4:5]
	s_delay_alu instid0(VALU_DEP_1) | instskip(SKIP_4) | instid1(VALU_DEP_2)
	v_add_nc_u64_e32 v[6:7], v[6:7], v[0:1]
	global_load_b128 v[10:13], v[6:7], off
	s_wait_loadcnt 0x0
	v_fma_mixlo_f16 v1, s10, v10, 0
	v_mov_b32_e32 v10, v13
	v_and_b32_e32 v1, 0xffff, v1
	s_delay_alu instid0(VALU_DEP_2) | instskip(NEXT) | instid1(VALU_DEP_1)
	v_pk_mul_f32 v[6:7], s[10:11], v[10:11] op_sel_hi:[0,1]
	v_cvt_pk_f16_f32 v5, v6, v7
	v_fma_mixlo_f16 v6, s10, v12, 0
	s_delay_alu instid0(VALU_DEP_2) | instskip(NEXT) | instid1(VALU_DEP_2)
	v_and_b32_e32 v7, 0xffff0000, v5
	v_and_b32_e32 v6, 0xffff, v6
	v_lshlrev_b32_e32 v5, 16, v5
	s_delay_alu instid0(VALU_DEP_3) | instskip(SKIP_1) | instid1(VALU_DEP_3)
	v_or_b32_e32 v1, v7, v1
	v_mad_u32_u24 v7, 0x90, v4, v2
	v_or3_b32 v5, v5, v6, 0
	s_delay_alu instid0(VALU_DEP_3)
	v_or3_b32 v4, 0, 0, v1
	ds_store_b64 v7, v[4:5]
	s_or_b32 exec_lo, exec_lo, s20
	v_or_b32_e32 v37, 5, v3
	s_and_saveexec_b32 s20, s2
	s_cbranch_execz .LBB17_6
.LBB17_15:
	s_delay_alu instid0(VALU_DEP_1) | instskip(SKIP_1) | instid1(SALU_CYCLE_1)
	v_dual_lshrrev_b32 v1, 2, v37 :: v_dual_mov_b32 v5, 0
	s_lshl_b64 s[44:45], s[40:41], 2
	s_add_nc_u64 s[44:45], s[4:5], s[44:45]
	s_delay_alu instid0(VALU_DEP_1) | instskip(NEXT) | instid1(VALU_DEP_1)
	v_add_nc_u32_e32 v4, s33, v1
	v_mul_u64_e32 v[6:7], s[38:39], v[4:5]
	s_delay_alu instid0(VALU_DEP_1) | instskip(NEXT) | instid1(VALU_DEP_1)
	v_add_nc_u32_e32 v1, v4, v7
	v_lshrrev_b32_e32 v1, s21, v1
	s_delay_alu instid0(VALU_DEP_1) | instskip(NEXT) | instid1(VALU_DEP_1)
	v_mul_lo_u32 v1, v1, s22
	v_dual_mov_b32 v1, v5 :: v_dual_sub_nc_u32 v4, v4, v1
	s_delay_alu instid0(VALU_DEP_1) | instskip(NEXT) | instid1(VALU_DEP_1)
	v_mul_u64_e32 v[6:7], s[24:25], v[4:5]
	v_lshl_add_u64 v[4:5], v[6:7], 2, s[44:45]
	s_delay_alu instid0(VALU_DEP_1) | instskip(SKIP_4) | instid1(VALU_DEP_2)
	v_add_nc_u64_e32 v[4:5], v[4:5], v[0:1]
	global_load_b128 v[4:7], v[4:5], off
	s_wait_loadcnt 0x0
	v_fma_mixlo_f16 v1, s10, v4, 0
	v_mov_b32_e32 v4, v7
	v_and_b32_e32 v1, 0xffff, v1
	s_delay_alu instid0(VALU_DEP_2) | instskip(NEXT) | instid1(VALU_DEP_1)
	v_pk_mul_f32 v[4:5], s[10:11], v[4:5] op_sel_hi:[0,1]
	v_cvt_pk_f16_f32 v4, v4, v5
	v_fma_mixlo_f16 v5, s10, v6, 0
	s_delay_alu instid0(VALU_DEP_2) | instskip(NEXT) | instid1(VALU_DEP_2)
	v_and_b32_e32 v6, 0xffff0000, v4
	v_and_b32_e32 v5, 0xffff, v5
	s_delay_alu instid0(VALU_DEP_2) | instskip(SKIP_1) | instid1(VALU_DEP_2)
	v_dual_lshlrev_b32 v4, 16, v4 :: v_dual_bitop2_b32 v1, v6, v1 bitop3:0x54
	v_mad_u32_u24 v6, 0x90, v37, v2
	v_or3_b32 v5, v4, v5, 0
	s_delay_alu instid0(VALU_DEP_3)
	v_or3_b32 v4, 0, 0, v1
	ds_store_b64 v6, v[4:5]
	s_or_b32 exec_lo, exec_lo, s20
	v_or_b32_e32 v36, 6, v3
	s_and_saveexec_b32 s20, s2
	s_cbranch_execz .LBB17_7
.LBB17_16:
	s_delay_alu instid0(VALU_DEP_1) | instskip(SKIP_1) | instid1(SALU_CYCLE_1)
	v_dual_lshrrev_b32 v1, 2, v36 :: v_dual_mov_b32 v5, 0
	s_lshl_b64 s[40:41], s[40:41], 3
	s_add_nc_u64 s[40:41], s[4:5], s[40:41]
	s_delay_alu instid0(VALU_DEP_1) | instskip(NEXT) | instid1(VALU_DEP_1)
	v_add_nc_u32_e32 v4, s33, v1
	v_mul_u64_e32 v[6:7], s[38:39], v[4:5]
	s_delay_alu instid0(VALU_DEP_1) | instskip(NEXT) | instid1(VALU_DEP_1)
	v_add_nc_u32_e32 v1, v4, v7
	v_lshrrev_b32_e32 v1, s21, v1
	s_delay_alu instid0(VALU_DEP_1) | instskip(NEXT) | instid1(VALU_DEP_1)
	v_mul_lo_u32 v1, v1, s22
	v_dual_mov_b32 v1, v5 :: v_dual_sub_nc_u32 v4, v4, v1
	s_delay_alu instid0(VALU_DEP_1) | instskip(NEXT) | instid1(VALU_DEP_1)
	v_mul_u64_e32 v[6:7], s[24:25], v[4:5]
	v_lshl_add_u64 v[4:5], v[6:7], 2, s[40:41]
	s_delay_alu instid0(VALU_DEP_1) | instskip(SKIP_4) | instid1(VALU_DEP_2)
	v_add_nc_u64_e32 v[4:5], v[4:5], v[0:1]
	global_load_b128 v[4:7], v[4:5], off
	s_wait_loadcnt 0x0
	v_fma_mixlo_f16 v1, s10, v4, 0
	v_mov_b32_e32 v4, v7
	v_and_b32_e32 v1, 0xffff, v1
	s_delay_alu instid0(VALU_DEP_2) | instskip(NEXT) | instid1(VALU_DEP_1)
	v_pk_mul_f32 v[4:5], s[10:11], v[4:5] op_sel_hi:[0,1]
	v_cvt_pk_f16_f32 v4, v4, v5
	v_fma_mixlo_f16 v5, s10, v6, 0
	s_delay_alu instid0(VALU_DEP_2) | instskip(NEXT) | instid1(VALU_DEP_2)
	v_and_b32_e32 v6, 0xffff0000, v4
	v_and_b32_e32 v5, 0xffff, v5
	s_delay_alu instid0(VALU_DEP_2) | instskip(SKIP_1) | instid1(VALU_DEP_2)
	v_dual_lshlrev_b32 v4, 16, v4 :: v_dual_bitop2_b32 v1, v6, v1 bitop3:0x54
	v_mad_u32_u24 v6, 0x90, v36, v2
	v_or3_b32 v5, v4, v5, 0
	s_delay_alu instid0(VALU_DEP_3)
	v_or3_b32 v4, 0, 0, v1
	ds_store_b64 v6, v[4:5]
	s_or_b32 exec_lo, exec_lo, s20
	v_or_b32_e32 v35, 7, v3
	s_and_saveexec_b32 s20, s2
	s_cbranch_execnz .LBB17_8
	s_branch .LBB17_9
.LBB17_17:
                                        ; implicit-def: $vgpr9
                                        ; implicit-def: $vgpr41
                                        ; implicit-def: $vgpr47
                                        ; implicit-def: $vgpr45
                                        ; implicit-def: $vgpr43
                                        ; implicit-def: $vgpr44
                                        ; implicit-def: $vgpr42
.LBB17_18:
	v_dual_mov_b32 v9, 0 :: v_dual_lshrrev_b32 v3, 3, v39
	v_add_nc_u32_e32 v51, 0x2400, v2
	s_mul_f32 s5, s42, 0x4f7ffffe
	s_clause 0x2
	s_load_b64 s[40:41], s[0:1], 0x8c
	s_load_b128 s[24:27], s[0:1], 0x98
	s_load_b64 s[42:43], s[0:1], 0xa8
	v_mul_u64_e32 v[0:1], s[38:39], v[8:9]
	v_xor_b32_e32 v45, 8, v46
	v_lshl_add_u32 v6, v40, 2, v3
	s_cvt_u32_f32 s5, s5
	s_sub_co_i32 s20, 0, s29
	s_ashr_i32 s44, s28, 31
	s_ashr_i32 s46, s31, 31
	s_mul_i32 s20, s20, s5
	v_dual_lshlrev_b32 v5, 4, v39 :: v_dual_bitop2_b32 v0, 28, v34 bitop3:0x40
	s_mul_hi_u32 s20, s5, s20
	s_xor_b32 s46, s44, s46
	s_add_co_i32 s44, s5, s20
	v_lshl_add_u32 v4, v40, 5, v39
	v_dual_lshlrev_b32 v7, 2, v0 :: v_dual_bitop2_b32 v44, 2, v46 bitop3:0x14
	s_abs_i32 s14, s28
	s_wait_kmcnt 0x0
	s_ashr_i32 s20, s40, 2
	s_mov_b32 s15, s39
	v_mul_lo_u32 v18, s20, v6
	v_mul_lo_u32 v20, s20, v4
	s_mov_b32 s45, s39
	s_ashr_i32 s3, s3, 1
	s_ashr_i32 s31, s30, 31
	v_lshl_add_u32 v50, v40, 9, 0x38e0
	v_xor_b32_e32 v42, 1, v46
	s_mul_u64 s[24:25], s[24:25], s[30:31]
	s_movk_i32 s47, 0x2480
	s_movk_i32 s48, 0x90
	v_add_nc_u32_e32 v54, v50, v5
	v_mul_u32_u24_e32 v5, 0x90, v6
	s_mul_u64 s[42:43], s[42:43], s[30:31]
	v_dual_add_nc_u32 v1, v8, v1 :: v_dual_bitop2_b32 v43, 4, v46 bitop3:0x14
	s_add_nc_u64 s[6:7], s[6:7], s[24:25]
	v_mul_u32_u24_e32 v48, 0xa0, v39
	v_mul_u32_u24_e32 v49, 0x480, v40
	s_delay_alu instid0(VALU_DEP_3) | instskip(SKIP_2) | instid1(VALU_DEP_3)
	v_lshrrev_b32_e32 v1, s21, v1
	v_dual_mov_b32 v75, 0xfeffffff :: v_dual_mov_b32 v76, 0xfeffffff
	v_dual_mov_b32 v41, 32 :: v_dual_bitop2_b32 v47, 16, v46 bitop3:0x14
	v_mul_lo_u32 v1, v1, s22
	v_dual_mov_b32 v77, 0xfeffffff :: v_dual_mov_b32 v78, 0xfeffffff
	v_dual_mov_b32 v79, 0xfeffffff :: v_dual_mov_b32 v62, v9
	v_mad_u32_u24 v52, 0xa0, v4, s47
	v_mad_u32_u24 v53, v4, s48, 0x2480
	v_dual_mov_b32 v60, v9 :: v_dual_mov_b32 v59, v9
	v_dual_mov_b32 v61, v9 :: v_dual_mov_b32 v64, v9
	v_dual_mov_b32 v63, v9 :: v_dual_sub_nc_u32 v1, v8, v1
	v_dual_add_nc_u32 v8, 1, v8 :: v_dual_mov_b32 v66, v9
	v_dual_mov_b32 v65, v9 :: v_dual_mov_b32 v67, v9
	v_mov_b32_e32 v68, v9
	s_delay_alu instid0(VALU_DEP_3)
	v_mul_u64_e32 v[2:3], s[38:39], v[8:9]
	v_mul_u32_u24_e32 v2, 0xa0, v6
	s_mul_u64 s[38:39], s[14:15], s[44:45]
	v_mul_lo_u32 v57, v1, s3
	s_mul_i32 s5, s39, s29
	s_add_co_i32 s15, s39, 1
	v_add3_u32 v55, v2, v7, 0x2400
	s_sub_co_i32 s5, s14, s5
	s_ashr_i32 s14, s26, 2
	s_sub_co_i32 s26, s5, s29
	s_cmp_ge_u32 s5, s29
	v_mul_lo_u32 v22, s14, v4
	s_cselect_b32 s15, s15, s39
	v_mul_lo_u32 v24, s14, v6
	s_cselect_b32 s5, s26, s5
	v_dual_mov_b32 v70, v9 :: v_dual_mov_b32 v69, v9
	v_dual_mov_b32 v72, v9 :: v_dual_mov_b32 v71, v9
	;; [unrolled: 1-line block ×5, first 2 shown]
	v_add3_u32 v56, v5, v7, 0x2400
	v_dual_ashrrev_i32 v23, 31, v22 :: v_dual_ashrrev_i32 v25, 31, v24
	v_dual_mov_b32 v16, v9 :: v_dual_mov_b32 v17, v9
	v_dual_mov_b32 v14, v9 :: v_dual_ashrrev_i32 v19, 31, v18
	v_dual_mov_b32 v15, v9 :: v_dual_add_nc_u32 v2, v8, v3
	v_dual_mov_b32 v80, 0xfeffffff :: v_dual_mov_b32 v81, 0xfeffffff
	v_dual_mov_b32 v82, 0xfeffffff :: v_dual_ashrrev_i32 v21, 31, v20
	s_delay_alu instid0(VALU_DEP_3)
	v_lshrrev_b32_e32 v2, s21, v2
	s_add_co_i32 s21, s15, 1
	s_cmp_ge_u32 s5, s29
	s_add_nc_u64 s[8:9], s[8:9], s[42:43]
	s_cselect_b32 s5, s21, s15
	v_mul_lo_u32 v2, v2, s22
	s_xor_b32 s5, s5, s46
	s_add_nc_u64 s[10:11], s[0:1], 0xd0
	s_sub_co_i32 s5, s5, s46
	s_ashr_i32 s21, s20, 31
	s_mul_i32 s24, s5, s41
	s_mul_i32 s26, s5, s27
	s_ashr_i32 s25, s24, 31
	s_ashr_i32 s27, s26, 31
	;; [unrolled: 1-line block ×3, first 2 shown]
	s_add_nc_u64 s[6:7], s[6:7], s[24:25]
	v_dual_sub_nc_u32 v2, v8, v2 :: v_dual_lshlrev_b32 v8, 2, v0
	s_add_nc_u64 s[8:9], s[8:9], s[26:27]
	v_cmp_gt_u32_e32 vcc_lo, 32, v4
	s_delay_alu instid0(VALU_DEP_2)
	v_mul_lo_u32 v58, v2, s3
.LBB17_19:                              ; =>This Inner Loop Header: Depth=1
	s_ashr_i32 s5, s4, 31
	s_delay_alu instid0(SALU_CYCLE_1) | instskip(NEXT) | instid1(SALU_CYCLE_1)
	s_mul_u64 s[24:25], s[4:5], s[20:21]
	s_lshl_b64 s[24:25], s[24:25], 2
	s_delay_alu instid0(SALU_CYCLE_1)
	s_add_nc_u64 s[24:25], s[6:7], s[24:25]
	s_and_saveexec_b32 s3, vcc_lo
	s_cbranch_execz .LBB17_21
; %bb.20:                               ;   in Loop: Header=BB17_19 Depth=1
	v_lshl_add_u64 v[0:1], v[20:21], 2, s[24:25]
	global_load_b128 v[0:3], v[0:1], off offset:128
	s_wait_loadcnt 0x0
	ds_store_b128 v52, v[0:3]
.LBB17_21:                              ;   in Loop: Header=BB17_19 Depth=1
	s_or_b32 exec_lo, exec_lo, s3
	v_lshl_add_u64 v[0:1], v[18:19], 2, s[24:25]
	v_dual_mov_b32 v4, 0 :: v_dual_mov_b32 v5, 0
	v_dual_mov_b32 v6, 0 :: v_dual_mov_b32 v7, 0
	s_delay_alu instid0(VALU_DEP_3)
	v_add_nc_u64_e32 v[0:1], v[0:1], v[8:9]
	v_dual_mov_b32 v26, 0 :: v_dual_mov_b32 v27, 0
	v_dual_mov_b32 v28, 0 :: v_dual_mov_b32 v29, 0
	v_add_nc_u32_e32 v83, s4, v39
	v_cmp_gt_i32_e64 s3, 32, v47
	global_load_b128 v[0:3], v[0:1], off
	s_mul_u64 s[24:25], s[4:5], s[14:15]
	s_delay_alu instid0(SALU_CYCLE_1) | instskip(NEXT) | instid1(SALU_CYCLE_1)
	s_lshl_b64 s[24:25], s[24:25], 2
	s_add_nc_u64 s[24:25], s[8:9], s[24:25]
	s_wait_loadcnt 0x0
	ds_store_b128 v55, v[0:3]
	s_wait_dscnt 0x0
	s_barrier_signal -1
	s_barrier_wait -1
	ds_load_b128 v[0:3], v48 offset:9216
	ds_load_b128 v[30:33], v49
	ds_load_b128 v[84:87], v49 offset:144
	ds_load_b128 v[88:91], v49 offset:288
	;; [unrolled: 1-line block ×7, first 2 shown]
	s_wait_dscnt 0x7
	;;#ASMSTART
	v_dot2_f32_f16 v4, v0, v30, v4
	;;#ASMEND
	;;#ASMSTART
	v_dot2_f32_f16 v4, v1, v31, v4
	;;#ASMEND
	;;#ASMSTART
	v_dot2_f32_f16 v4, v2, v32, v4
	;;#ASMEND
	;;#ASMSTART
	v_dot2_f32_f16 v4, v3, v33, v4
	;;#ASMEND
	s_wait_dscnt 0x6
	;;#ASMSTART
	v_dot2_f32_f16 v5, v0, v84, v5
	;;#ASMEND
	;;#ASMSTART
	v_dot2_f32_f16 v5, v1, v85, v5
	;;#ASMEND
	;;#ASMSTART
	v_dot2_f32_f16 v5, v2, v86, v5
	;;#ASMEND
	;;#ASMSTART
	v_dot2_f32_f16 v5, v3, v87, v5
	;;#ASMEND
	;; [unrolled: 13-line block ×8, first 2 shown]
	ds_load_b128 v[0:3], v48 offset:9232
	ds_load_b128 v[30:33], v49 offset:16
	ds_load_b128 v[84:87], v49 offset:160
	ds_load_b128 v[88:91], v49 offset:304
	ds_load_b128 v[92:95], v49 offset:448
	ds_load_b128 v[96:99], v49 offset:592
	ds_load_b128 v[100:103], v49 offset:736
	ds_load_b128 v[104:107], v49 offset:880
	ds_load_b128 v[108:111], v49 offset:1024
	s_wait_dscnt 0x7
	;;#ASMSTART
	v_dot2_f32_f16 v4, v0, v30, v4
	;;#ASMEND
	;;#ASMSTART
	v_dot2_f32_f16 v4, v1, v31, v4
	;;#ASMEND
	;;#ASMSTART
	v_dot2_f32_f16 v4, v2, v32, v4
	;;#ASMEND
	;;#ASMSTART
	v_dot2_f32_f16 v4, v3, v33, v4
	;;#ASMEND
	s_wait_dscnt 0x6
	;;#ASMSTART
	v_dot2_f32_f16 v5, v0, v84, v5
	;;#ASMEND
	;;#ASMSTART
	v_dot2_f32_f16 v5, v1, v85, v5
	;;#ASMEND
	;;#ASMSTART
	v_dot2_f32_f16 v5, v2, v86, v5
	;;#ASMEND
	;;#ASMSTART
	v_dot2_f32_f16 v5, v3, v87, v5
	;;#ASMEND
	;; [unrolled: 13-line block ×8, first 2 shown]
	ds_load_b128 v[0:3], v48 offset:9248
	ds_load_b128 v[30:33], v49 offset:32
	;; [unrolled: 1-line block ×9, first 2 shown]
	s_wait_dscnt 0x7
	;;#ASMSTART
	v_dot2_f32_f16 v4, v0, v30, v4
	;;#ASMEND
	;;#ASMSTART
	v_dot2_f32_f16 v4, v1, v31, v4
	;;#ASMEND
	;;#ASMSTART
	v_dot2_f32_f16 v4, v2, v32, v4
	;;#ASMEND
	;;#ASMSTART
	v_dot2_f32_f16 v4, v3, v33, v4
	;;#ASMEND
	s_wait_dscnt 0x6
	;;#ASMSTART
	v_dot2_f32_f16 v5, v0, v84, v5
	;;#ASMEND
	;;#ASMSTART
	v_dot2_f32_f16 v5, v1, v85, v5
	;;#ASMEND
	;;#ASMSTART
	v_dot2_f32_f16 v5, v2, v86, v5
	;;#ASMEND
	;;#ASMSTART
	v_dot2_f32_f16 v5, v3, v87, v5
	;;#ASMEND
	;; [unrolled: 13-line block ×8, first 2 shown]
	ds_load_b128 v[0:3], v48 offset:9264
	ds_load_b128 v[30:33], v49 offset:48
	;; [unrolled: 1-line block ×9, first 2 shown]
	s_wait_dscnt 0x7
	;;#ASMSTART
	v_dot2_f32_f16 v4, v0, v30, v4
	;;#ASMEND
	;;#ASMSTART
	v_dot2_f32_f16 v4, v1, v31, v4
	;;#ASMEND
	;;#ASMSTART
	v_dot2_f32_f16 v4, v2, v32, v4
	;;#ASMEND
	;;#ASMSTART
	v_dot2_f32_f16 v4, v3, v33, v4
	;;#ASMEND
	s_wait_dscnt 0x6
	;;#ASMSTART
	v_dot2_f32_f16 v5, v0, v84, v5
	;;#ASMEND
	;;#ASMSTART
	v_dot2_f32_f16 v5, v1, v85, v5
	;;#ASMEND
	;;#ASMSTART
	v_dot2_f32_f16 v5, v2, v86, v5
	;;#ASMEND
	;;#ASMSTART
	v_dot2_f32_f16 v5, v3, v87, v5
	;;#ASMEND
	;; [unrolled: 13-line block ×8, first 2 shown]
	ds_load_b128 v[0:3], v48 offset:9280
	ds_load_b128 v[30:33], v49 offset:64
	;; [unrolled: 1-line block ×9, first 2 shown]
	s_wait_dscnt 0x7
	;;#ASMSTART
	v_dot2_f32_f16 v4, v0, v30, v4
	;;#ASMEND
	;;#ASMSTART
	v_dot2_f32_f16 v4, v1, v31, v4
	;;#ASMEND
	;;#ASMSTART
	v_dot2_f32_f16 v4, v2, v32, v4
	;;#ASMEND
	;;#ASMSTART
	v_dot2_f32_f16 v4, v3, v33, v4
	;;#ASMEND
	s_wait_dscnt 0x6
	;;#ASMSTART
	v_dot2_f32_f16 v5, v0, v84, v5
	;;#ASMEND
	;;#ASMSTART
	v_dot2_f32_f16 v5, v1, v85, v5
	;;#ASMEND
	;;#ASMSTART
	v_dot2_f32_f16 v5, v2, v86, v5
	;;#ASMEND
	;;#ASMSTART
	v_dot2_f32_f16 v5, v3, v87, v5
	;;#ASMEND
	;; [unrolled: 13-line block ×8, first 2 shown]
	ds_load_b128 v[0:3], v48 offset:9296
	ds_load_b128 v[30:33], v49 offset:80
	;; [unrolled: 1-line block ×9, first 2 shown]
	s_wait_dscnt 0x7
	;;#ASMSTART
	v_dot2_f32_f16 v4, v0, v30, v4
	;;#ASMEND
	;;#ASMSTART
	v_dot2_f32_f16 v4, v1, v31, v4
	;;#ASMEND
	;;#ASMSTART
	v_dot2_f32_f16 v4, v2, v32, v4
	;;#ASMEND
	;;#ASMSTART
	v_dot2_f32_f16 v4, v3, v33, v4
	;;#ASMEND
	s_wait_dscnt 0x6
	;;#ASMSTART
	v_dot2_f32_f16 v5, v0, v84, v5
	;;#ASMEND
	;;#ASMSTART
	v_dot2_f32_f16 v5, v1, v85, v5
	;;#ASMEND
	;;#ASMSTART
	v_dot2_f32_f16 v5, v2, v86, v5
	;;#ASMEND
	;;#ASMSTART
	v_dot2_f32_f16 v5, v3, v87, v5
	;;#ASMEND
	;; [unrolled: 13-line block ×8, first 2 shown]
	ds_load_b128 v[0:3], v48 offset:9312
	ds_load_b128 v[30:33], v49 offset:96
	ds_load_b128 v[84:87], v49 offset:240
	ds_load_b128 v[88:91], v49 offset:384
	ds_load_b128 v[92:95], v49 offset:528
	ds_load_b128 v[96:99], v49 offset:672
	ds_load_b128 v[100:103], v49 offset:816
	ds_load_b128 v[104:107], v49 offset:960
	ds_load_b128 v[108:111], v49 offset:1104
	s_wait_dscnt 0x7
	;;#ASMSTART
	v_dot2_f32_f16 v4, v0, v30, v4
	;;#ASMEND
	;;#ASMSTART
	v_dot2_f32_f16 v4, v1, v31, v4
	;;#ASMEND
	;;#ASMSTART
	v_dot2_f32_f16 v4, v2, v32, v4
	;;#ASMEND
	;;#ASMSTART
	v_dot2_f32_f16 v4, v3, v33, v4
	;;#ASMEND
	s_wait_dscnt 0x6
	;;#ASMSTART
	v_dot2_f32_f16 v5, v0, v84, v5
	;;#ASMEND
	;;#ASMSTART
	v_dot2_f32_f16 v5, v1, v85, v5
	;;#ASMEND
	;;#ASMSTART
	v_dot2_f32_f16 v5, v2, v86, v5
	;;#ASMEND
	;;#ASMSTART
	v_dot2_f32_f16 v5, v3, v87, v5
	;;#ASMEND
	;; [unrolled: 13-line block ×8, first 2 shown]
	ds_load_b128 v[0:3], v48 offset:9328
	ds_load_b128 v[30:33], v49 offset:112
	;; [unrolled: 1-line block ×9, first 2 shown]
	s_wait_dscnt 0x7
	;;#ASMSTART
	v_dot2_f32_f16 v4, v0, v30, v4
	;;#ASMEND
	;;#ASMSTART
	v_dot2_f32_f16 v4, v1, v31, v4
	;;#ASMEND
	;;#ASMSTART
	v_dot2_f32_f16 v4, v2, v32, v4
	;;#ASMEND
	;;#ASMSTART
	v_dot2_f32_f16 v4, v3, v33, v4
	;;#ASMEND
	s_wait_dscnt 0x6
	;;#ASMSTART
	v_dot2_f32_f16 v5, v0, v84, v5
	;;#ASMEND
	;;#ASMSTART
	v_dot2_f32_f16 v5, v1, v85, v5
	;;#ASMEND
	;;#ASMSTART
	v_dot2_f32_f16 v5, v2, v86, v5
	;;#ASMEND
	;;#ASMSTART
	v_dot2_f32_f16 v5, v3, v87, v5
	;;#ASMEND
	;; [unrolled: 13-line block ×8, first 2 shown]
	ds_load_b128 v[0:3], v48 offset:9344
	ds_load_b128 v[30:33], v49 offset:128
	;; [unrolled: 1-line block ×9, first 2 shown]
	s_wait_dscnt 0x7
	;;#ASMSTART
	v_dot2_f32_f16 v4, v0, v30, v4
	;;#ASMEND
	;;#ASMSTART
	v_dot2_f32_f16 v4, v1, v31, v4
	;;#ASMEND
	;;#ASMSTART
	v_dot2_f32_f16 v4, v2, v32, v4
	;;#ASMEND
	;;#ASMSTART
	v_dot2_f32_f16 v4, v3, v33, v4
	;;#ASMEND
	s_wait_dscnt 0x6
	;;#ASMSTART
	v_dot2_f32_f16 v5, v0, v84, v5
	;;#ASMEND
	;;#ASMSTART
	v_dot2_f32_f16 v5, v1, v85, v5
	;;#ASMEND
	;;#ASMSTART
	v_dot2_f32_f16 v5, v2, v86, v5
	;;#ASMEND
	;;#ASMSTART
	v_dot2_f32_f16 v5, v3, v87, v5
	;;#ASMEND
	;; [unrolled: 13-line block ×6, first 2 shown]
	s_wait_dscnt 0x1
	;;#ASMSTART
	v_dot2_f32_f16 v28, v0, v104, v28
	;;#ASMEND
	;;#ASMSTART
	v_dot2_f32_f16 v28, v1, v105, v28
	;;#ASMEND
	v_dual_max_num_f32 v30, v76, v76 :: v_dual_add_nc_u32 v112, v83, v57
	v_add_nc_u32_e32 v83, v83, v58
	;;#ASMSTART
	v_dot2_f32_f16 v28, v2, v106, v28
	;;#ASMEND
	;;#ASMSTART
	v_dot2_f32_f16 v28, v3, v107, v28
	;;#ASMEND
	s_wait_dscnt 0x0
	;;#ASMSTART
	v_dot2_f32_f16 v29, v0, v108, v29
	;;#ASMEND
	;;#ASMSTART
	v_dot2_f32_f16 v29, v1, v109, v29
	;;#ASMEND
	;; [unrolled: 3-line block ×4, first 2 shown]
	s_clause 0x1
	global_load_u16 v0, v112, s[36:37] scale_offset
	global_load_u16 v1, v83, s[36:37] scale_offset
	v_dual_cndmask_b32 v2, v46, v47, s3 :: v_dual_max_num_f32 v31, v77, v77
	v_dual_max_num_f32 v3, v75, v75 :: v_dual_max_num_f32 v32, v78, v78
	s_wait_xcnt 0x0
	v_dual_max_num_f32 v33, v79, v79 :: v_dual_max_num_f32 v83, v80, v80
	v_dual_max_num_f32 v84, v81, v81 :: v_dual_max_num_f32 v85, v82, v82
	v_cmp_gt_i32_e64 s3, 32, v45
	s_wait_loadcnt 0x0
	s_barrier_signal -1
	s_barrier_wait -1
	v_cvt_f32_f16_e32 v0, v0
	v_lshlrev_b32_e32 v2, 2, v2
	v_cvt_f32_f16_e32 v1, v1
	s_delay_alu instid0(VALU_DEP_3) | instskip(SKIP_1) | instid1(VALU_DEP_3)
	v_dual_add_f32 v86, v4, v0 :: v_dual_add_f32 v87, v5, v0
	v_dual_add_f32 v88, v6, v0 :: v_dual_add_f32 v89, v7, v0
	;; [unrolled: 1-line block ×4, first 2 shown]
	s_delay_alu instid0(VALU_DEP_4) | instskip(NEXT) | instid1(VALU_DEP_4)
	v_dual_add_f32 v0, 0x40051340, v86 :: v_dual_add_f32 v1, 0x40051340, v87
	v_dual_add_f32 v4, 0x40051340, v88 :: v_dual_add_f32 v5, 0x40051340, v89
	s_delay_alu instid0(VALU_DEP_4) | instskip(NEXT) | instid1(VALU_DEP_4)
	v_dual_add_f32 v6, 0x40051340, v26 :: v_dual_add_f32 v7, 0x40051340, v27
	v_dual_add_f32 v90, 0x40051340, v28 :: v_dual_add_f32 v91, 0x40051340, v29
	s_delay_alu instid0(VALU_DEP_4) | instskip(NEXT) | instid1(VALU_DEP_4)
	v_dual_max_num_f32 v0, v3, v0 :: v_dual_max_num_f32 v1, v30, v1
	v_dual_max_num_f32 v3, v31, v4 :: v_dual_max_num_f32 v4, v32, v5
	s_delay_alu instid0(VALU_DEP_4) | instskip(NEXT) | instid1(VALU_DEP_4)
	v_dual_max_num_f32 v5, v33, v6 :: v_dual_max_num_f32 v6, v83, v7
	v_dual_max_num_f32 v7, v84, v90 :: v_dual_max_num_f32 v30, v85, v91
	v_cndmask_b32_e64 v91, v46, v45, s3
	ds_bpermute_b32 v31, v2, v0
	ds_bpermute_b32 v32, v2, v1
	;; [unrolled: 1-line block ×8, first 2 shown]
	v_lshlrev_b32_e32 v91, 2, v91
	v_cmp_gt_i32_e64 s3, 32, v43
	s_wait_dscnt 0x6
	v_dual_max_num_f32 v31, v31, v31 :: v_dual_max_num_f32 v32, v32, v32
	s_wait_dscnt 0x4
	v_dual_max_num_f32 v33, v33, v33 :: v_dual_max_num_f32 v83, v83, v83
	s_wait_dscnt 0x3
	v_max_num_f32_e32 v84, v84, v84
	v_dual_max_num_f32 v0, v0, v31 :: v_dual_max_num_f32 v1, v1, v32
	s_wait_dscnt 0x0
	v_dual_max_num_f32 v3, v3, v33 :: v_dual_max_num_f32 v2, v2, v2
	v_dual_max_num_f32 v85, v85, v85 :: v_dual_max_num_f32 v90, v90, v90
	ds_bpermute_b32 v31, v91, v1
	ds_bpermute_b32 v32, v91, v3
	v_max_num_f32_e32 v2, v30, v2
	ds_bpermute_b32 v30, v91, v0
	v_dual_max_num_f32 v6, v6, v85 :: v_dual_max_num_f32 v7, v7, v90
	v_dual_max_num_f32 v4, v4, v83 :: v_dual_max_num_f32 v5, v5, v84
	ds_bpermute_b32 v90, v91, v2
	ds_bpermute_b32 v84, v91, v6
	;; [unrolled: 1-line block ×5, first 2 shown]
	v_cndmask_b32_e64 v91, v46, v43, s3
	v_cmp_gt_i32_e64 s3, 32, v44
	s_wait_dscnt 0x6
	v_dual_max_num_f32 v31, v31, v31 :: v_dual_max_num_f32 v32, v32, v32
	s_wait_dscnt 0x5
	v_dual_max_num_f32 v30, v30, v30 :: v_dual_lshlrev_b32 v91, 2, v91
	s_delay_alu instid0(VALU_DEP_2) | instskip(NEXT) | instid1(VALU_DEP_2)
	v_dual_max_num_f32 v1, v1, v31 :: v_dual_max_num_f32 v3, v3, v32
	v_max_num_f32_e32 v0, v0, v30
	s_wait_dscnt 0x4
	v_max_num_f32_e32 v90, v90, v90
	ds_bpermute_b32 v31, v91, v1
	s_wait_dscnt 0x1
	v_dual_max_num_f32 v33, v33, v33 :: v_dual_max_num_f32 v83, v83, v83
	v_dual_max_num_f32 v84, v84, v84 :: v_dual_max_num_f32 v85, v85, v85
	s_delay_alu instid0(VALU_DEP_2) | instskip(NEXT) | instid1(VALU_DEP_2)
	v_dual_max_num_f32 v2, v2, v90 :: v_dual_max_num_f32 v4, v4, v33
	v_dual_max_num_f32 v5, v5, v83 :: v_dual_max_num_f32 v6, v6, v84
	s_delay_alu instid0(VALU_DEP_3)
	v_max_num_f32_e32 v7, v7, v85
	ds_bpermute_b32 v90, v91, v2
	ds_bpermute_b32 v30, v91, v0
	;; [unrolled: 1-line block ×7, first 2 shown]
	v_cndmask_b32_e64 v91, v46, v44, s3
	v_cmp_gt_i32_e64 s3, 32, v42
	s_wait_dscnt 0x7
	v_max_num_f32_e32 v31, v31, v31
	s_delay_alu instid0(VALU_DEP_3) | instskip(SKIP_1) | instid1(VALU_DEP_2)
	v_lshlrev_b32_e32 v91, 2, v91
	s_wait_dscnt 0x6
	v_dual_max_num_f32 v1, v1, v31 :: v_dual_max_num_f32 v90, v90, v90
	ds_bpermute_b32 v31, v91, v1
	s_wait_dscnt 0x5
	v_dual_max_num_f32 v30, v30, v30 :: v_dual_max_num_f32 v32, v32, v32
	s_wait_dscnt 0x3
	v_dual_max_num_f32 v33, v33, v33 :: v_dual_max_num_f32 v83, v83, v83
	;; [unrolled: 2-line block ×4, first 2 shown]
	v_max_num_f32_e32 v3, v3, v32
	ds_bpermute_b32 v90, v91, v2
	v_dual_max_num_f32 v4, v4, v33 :: v_dual_max_num_f32 v5, v5, v83
	v_dual_max_num_f32 v6, v6, v84 :: v_dual_max_num_f32 v7, v7, v85
	ds_bpermute_b32 v30, v91, v0
	ds_bpermute_b32 v32, v91, v3
	;; [unrolled: 1-line block ×6, first 2 shown]
	s_wait_dscnt 0x7
	v_dual_cndmask_b32 v91, v46, v42, s3 :: v_dual_max_num_f32 v31, v31, v31
	s_delay_alu instid0(VALU_DEP_1) | instskip(SKIP_1) | instid1(VALU_DEP_2)
	v_lshlrev_b32_e32 v91, 2, v91
	s_wait_dscnt 0x6
	v_dual_max_num_f32 v1, v1, v31 :: v_dual_max_num_f32 v90, v90, v90
	ds_bpermute_b32 v31, v91, v1
	s_wait_dscnt 0x5
	v_dual_max_num_f32 v30, v30, v30 :: v_dual_max_num_f32 v32, v32, v32
	s_wait_dscnt 0x3
	v_dual_max_num_f32 v33, v33, v33 :: v_dual_max_num_f32 v83, v83, v83
	;; [unrolled: 2-line block ×3, first 2 shown]
	v_dual_max_num_f32 v0, v0, v30 :: v_dual_max_num_f32 v3, v3, v32
	s_delay_alu instid0(VALU_DEP_3) | instskip(NEXT) | instid1(VALU_DEP_3)
	v_dual_max_num_f32 v4, v4, v33 :: v_dual_max_num_f32 v5, v5, v83
	v_dual_max_num_f32 v6, v6, v84 :: v_dual_max_num_f32 v7, v7, v85
	v_max_num_f32_e32 v30, v2, v90
	ds_bpermute_b32 v2, v91, v0
	ds_bpermute_b32 v32, v91, v3
	;; [unrolled: 1-line block ×6, first 2 shown]
	s_wait_dscnt 0x6
	v_max_num_f32_e32 v31, v31, v31
	ds_bpermute_b32 v90, v91, v30
	s_wait_dscnt 0x6
	v_dual_max_num_f32 v1, v1, v31 :: v_dual_max_num_f32 v2, v2, v2
	s_wait_dscnt 0x4
	v_dual_max_num_f32 v32, v32, v32 :: v_dual_max_num_f32 v33, v33, v33
	;; [unrolled: 2-line block ×5, first 2 shown]
	v_dual_max_num_f32 v3, v4, v33 :: v_dual_max_num_f32 v4, v5, v83
	s_delay_alu instid0(VALU_DEP_3) | instskip(NEXT) | instid1(VALU_DEP_3)
	v_dual_max_num_f32 v5, v6, v84 :: v_dual_max_num_f32 v6, v7, v85
	v_dual_max_num_f32 v7, v30, v90 :: v_dual_sub_f32 v83, v87, v1
	s_delay_alu instid0(VALU_DEP_4) | instskip(NEXT) | instid1(VALU_DEP_4)
	v_dual_sub_f32 v30, v86, v0 :: v_dual_sub_f32 v31, v88, v2
	v_dual_sub_f32 v32, v89, v3 :: v_dual_sub_f32 v33, v26, v4
	s_delay_alu instid0(VALU_DEP_2) | instskip(SKIP_1) | instid1(VALU_DEP_3)
	v_dual_sub_f32 v85, v29, v7 :: v_dual_mul_f32 v26, 0x3fb8aa3b, v30
	v_dual_sub_f32 v27, v27, v5 :: v_dual_sub_f32 v84, v28, v6
	v_dual_mul_f32 v28, 0x3fb8aa3b, v83 :: v_dual_mul_f32 v87, 0x3fb8aa3b, v33
	s_delay_alu instid0(VALU_DEP_3)
	v_fma_f32 v91, 0x3fb8aa3b, v30, -v26
	v_rndne_f32_e32 v92, v26
	v_dual_mul_f32 v29, 0x3fb8aa3b, v31 :: v_dual_mul_f32 v86, 0x3fb8aa3b, v32
	v_dual_mul_f32 v88, 0x3fb8aa3b, v27 :: v_dual_mul_f32 v89, 0x3fb8aa3b, v84
	v_fma_f32 v93, 0x3fb8aa3b, v83, -v28
	v_rndne_f32_e32 v94, v28
	v_rndne_f32_e32 v100, v87
	v_dual_fmac_f32 v91, 0x32a5705f, v30 :: v_dual_sub_f32 v26, v26, v92
	v_fma_f32 v95, 0x3fb8aa3b, v31, -v29
	v_rndne_f32_e32 v96, v29
	v_fma_f32 v99, 0x3fb8aa3b, v33, -v87
	v_fma_f32 v101, 0x3fb8aa3b, v27, -v88
	v_dual_fmac_f32 v93, 0x32a5705f, v83 :: v_dual_sub_f32 v28, v28, v94
	v_dual_sub_f32 v87, v87, v100 :: v_dual_add_f32 v26, v26, v91
	v_dual_mul_f32 v90, 0x3fb8aa3b, v85 :: v_dual_sub_f32 v29, v29, v96
	v_fma_f32 v97, 0x3fb8aa3b, v32, -v86
	v_rndne_f32_e32 v98, v86
	v_rndne_f32_e32 v102, v88
	v_fmac_f32_e32 v95, 0x32a5705f, v31
	v_dual_fmac_f32 v101, 0x32a5705f, v27 :: v_dual_add_f32 v28, v28, v93
	v_exp_f32_e32 v26, v26
	v_cvt_i32_f32_e32 v92, v92
	v_fma_f32 v103, 0x3fb8aa3b, v84, -v89
	v_dual_fmac_f32 v97, 0x32a5705f, v32 :: v_dual_sub_f32 v88, v88, v102
	v_dual_sub_f32 v86, v86, v98 :: v_dual_add_f32 v29, v29, v95
	v_exp_f32_e32 v28, v28
	v_cvt_i32_f32_e32 v94, v94
	v_ldexp_f32 v26, v26, v92
	v_cmp_ngt_f32_e64 s3, 0xc2ce8ed0, v30
	v_rndne_f32_e32 v104, v89
	v_rndne_f32_e32 v106, v90
	v_fmac_f32_e32 v99, 0x32a5705f, v33
	v_dual_fmac_f32 v103, 0x32a5705f, v84 :: v_dual_add_f32 v86, v86, v97
	v_add_f32_e32 v88, v88, v101
	v_exp_f32_e32 v29, v29
	v_cvt_i32_f32_e32 v96, v96
	v_ldexp_f32 v28, v28, v94
	v_cndmask_b32_e64 v26, 0, v26, s3
	v_cmp_ngt_f32_e64 s3, 0xc2ce8ed0, v83
	v_fma_f32 v105, 0x3fb8aa3b, v85, -v90
	v_dual_sub_f32 v90, v90, v106 :: v_dual_sub_f32 v89, v89, v104
	v_add_f32_e32 v87, v87, v99
	v_exp_f32_e32 v86, v86
	v_cvt_i32_f32_e32 v98, v98
	v_ldexp_f32 v29, v29, v96
	v_cndmask_b32_e64 v91, 0, v28, s3
	v_cmp_ngt_f32_e64 s3, 0xc2ce8ed0, v31
	v_exp_f32_e32 v87, v87
	v_cvt_i32_f32_e32 v100, v100
	v_ldexp_f32 v86, v86, v98
	v_fmac_f32_e32 v105, 0x32a5705f, v85
	v_cndmask_b32_e64 v28, 0, v29, s3
	v_cmp_ngt_f32_e64 s3, 0xc2ce8ed0, v32
	v_add_f32_e32 v89, v89, v103
	v_exp_f32_e32 v88, v88
	v_cvt_i32_f32_e32 v102, v102
	v_ldexp_f32 v87, v87, v100
	v_cndmask_b32_e64 v29, 0, v86, s3
	v_cmp_ngt_f32_e64 s3, 0xc2ce8ed0, v33
	v_add_f32_e32 v90, v90, v105
	v_exp_f32_e32 v89, v89
	v_cvt_i32_f32_e32 v104, v104
	v_ldexp_f32 v88, v88, v102
	v_cndmask_b32_e64 v86, 0, v87, s3
	v_cmp_ngt_f32_e64 s3, 0xc2ce8ed0, v27
	v_exp_f32_e32 v90, v90
	v_cvt_i32_f32_e32 v106, v106
	v_ldexp_f32 v89, v89, v104
	s_delay_alu instid0(VALU_DEP_3)
	v_cndmask_b32_e64 v87, 0, v88, s3
	v_cmp_ngt_f32_e64 s3, 0xc2ce8ed0, v84
	s_delay_alu instid0(TRANS32_DEP_1) | instid1(VALU_DEP_4)
	v_ldexp_f32 v90, v90, v106
	s_delay_alu instid0(VALU_DEP_2) | instskip(SKIP_1) | instid1(VALU_DEP_1)
	v_cndmask_b32_e64 v88, 0, v89, s3
	v_cmp_ngt_f32_e64 s3, 0xc2ce8ed0, v85
	v_cndmask_b32_e64 v89, 0, v90, s3
	v_cmp_nlt_f32_e64 s3, 0x42b17218, v30
	s_delay_alu instid0(VALU_DEP_1) | instskip(SKIP_1) | instid1(VALU_DEP_1)
	v_cndmask_b32_e64 v26, 0x7f800000, v26, s3
	v_cmp_nlt_f32_e64 s3, 0x42b17218, v31
	v_cndmask_b32_e64 v28, 0x7f800000, v28, s3
	v_cmp_nlt_f32_e64 s3, 0x42b17218, v32
	s_delay_alu instid0(VALU_DEP_1) | instskip(SKIP_1) | instid1(VALU_DEP_1)
	v_cndmask_b32_e64 v29, 0x7f800000, v29, s3
	v_cmp_nlt_f32_e64 s3, 0x42b17218, v33
	v_cndmask_b32_e64 v30, 0x7f800000, v86, s3
	v_cmp_nlt_f32_e64 s3, 0x42b17218, v84
	s_delay_alu instid0(VALU_DEP_1) | instskip(SKIP_2) | instid1(VALU_DEP_2)
	v_cndmask_b32_e64 v32, 0x7f800000, v88, s3
	v_cmp_nlt_f32_e64 s3, 0x42b17218, v85
	v_cvt_pk_f16_f32 v85, v28, v29
	v_cndmask_b32_e64 v33, 0x7f800000, v89, s3
	v_cmp_nlt_f32_e64 s3, 0x42b17218, v27
	s_delay_alu instid0(VALU_DEP_1) | instskip(SKIP_1) | instid1(VALU_DEP_4)
	v_cndmask_b32_e64 v31, 0x7f800000, v87, s3
	v_cmp_nlt_f32_e64 s3, 0x42b17218, v83
	v_cvt_pk_f16_f32 v87, v32, v33
	s_delay_alu instid0(VALU_DEP_3) | instskip(NEXT) | instid1(VALU_DEP_3)
	v_cvt_pk_f16_f32 v86, v30, v31
	v_cndmask_b32_e64 v27, 0x7f800000, v91, s3
	s_delay_alu instid0(VALU_DEP_1)
	v_cvt_pk_f16_f32 v84, v26, v27
	ds_store_b128 v54, v[84:87]
	s_and_saveexec_b32 s3, vcc_lo
	s_cbranch_execz .LBB17_23
; %bb.22:                               ;   in Loop: Header=BB17_19 Depth=1
	v_lshl_add_u64 v[84:85], v[22:23], 2, s[24:25]
	global_load_b128 v[84:87], v[84:85], off offset:128
	s_wait_loadcnt 0x0
	ds_store_b128 v53, v[84:87]
.LBB17_23:                              ;   in Loop: Header=BB17_19 Depth=1
	s_or_b32 exec_lo, exec_lo, s3
	v_lshl_add_u64 v[84:85], v[24:25], 2, s[24:25]
	v_dual_sub_f32 v75, v75, v0 :: v_dual_sub_f32 v83, v76, v1
	v_dual_sub_f32 v88, v77, v2 :: v_dual_sub_f32 v89, v78, v3
	s_delay_alu instid0(VALU_DEP_3) | instskip(SKIP_1) | instid1(VALU_DEP_3)
	v_add_nc_u64_e32 v[84:85], v[84:85], v[8:9]
	v_dual_sub_f32 v90, v79, v4 :: v_dual_sub_f32 v91, v80, v5
	v_dual_mul_f32 v76, 0x3fb8aa3b, v75 :: v_dual_mul_f32 v79, 0x3fb8aa3b, v89
	v_dual_sub_f32 v92, v81, v6 :: v_dual_sub_f32 v93, v82, v7
	global_load_b128 v[84:87], v[84:85], off
	v_dual_mul_f32 v80, 0x3fb8aa3b, v90 :: v_dual_mul_f32 v81, 0x3fb8aa3b, v91
	v_fma_f32 v95, 0x3fb8aa3b, v75, -v76
	v_rndne_f32_e32 v96, v76
	v_dual_mul_f32 v77, 0x3fb8aa3b, v83 :: v_dual_mul_f32 v78, 0x3fb8aa3b, v88
	s_delay_alu instid0(VALU_DEP_4) | instskip(NEXT) | instid1(VALU_DEP_3)
	v_rndne_f32_e32 v106, v81
	v_dual_fmac_f32 v95, 0x32a5705f, v75 :: v_dual_sub_f32 v76, v76, v96
	s_delay_alu instid0(VALU_DEP_3)
	v_fma_f32 v97, 0x3fb8aa3b, v83, -v77
	v_rndne_f32_e32 v98, v77
	v_mul_f32_e32 v82, 0x3fb8aa3b, v92
	v_fma_f32 v99, 0x3fb8aa3b, v88, -v78
	v_rndne_f32_e32 v100, v78
	v_rndne_f32_e32 v102, v79
	v_mul_f32_e32 v94, 0x3fb8aa3b, v93
	v_fma_f32 v105, 0x3fb8aa3b, v91, -v81
	v_dual_sub_f32 v81, v81, v106 :: v_dual_add_f32 v76, v76, v95
	v_fma_f32 v101, 0x3fb8aa3b, v89, -v79
	v_fma_f32 v103, 0x3fb8aa3b, v90, -v80
	v_dual_fmac_f32 v97, 0x32a5705f, v83 :: v_dual_sub_f32 v78, v78, v100
	v_sub_f32_e32 v77, v77, v98
	v_fma_f32 v107, 0x3fb8aa3b, v92, -v82
	v_rndne_f32_e32 v108, v82
	v_sub_f32_e32 v79, v79, v102
	v_rndne_f32_e32 v110, v94
	v_fmac_f32_e32 v99, 0x32a5705f, v88
	v_exp_f32_e32 v76, v76
	v_rndne_f32_e32 v104, v80
	v_fma_f32 v109, 0x3fb8aa3b, v93, -v94
	v_cvt_i32_f32_e32 v96, v96
	v_fmac_f32_e32 v101, 0x32a5705f, v89
	v_dual_fmac_f32 v103, 0x32a5705f, v90 :: v_dual_sub_f32 v82, v82, v108
	v_dual_sub_f32 v94, v94, v110 :: v_dual_fmac_f32 v107, 0x32a5705f, v92
	v_dual_add_f32 v78, v78, v99 :: v_dual_add_f32 v77, v77, v97
	v_sub_f32_e32 v80, v80, v104
	v_ldexp_f32 v76, v76, v96
	s_delay_alu instid0(VALU_DEP_4)
	v_add_f32_e32 v82, v82, v107
	v_cmp_ngt_f32_e64 s3, 0xc2ce8ed0, v75
	v_add_f32_e32 v79, v79, v101
	v_exp_f32_e32 v77, v77
	v_cvt_i32_f32_e32 v98, v98
	v_exp_f32_e32 v78, v78
	v_cndmask_b32_e64 v76, 0, v76, s3
	v_exp_f32_e32 v79, v79
	v_cvt_i32_f32_e32 v100, v100
	v_cvt_i32_f32_e32 v102, v102
	v_ldexp_f32 v77, v77, v98
	v_cmp_ngt_f32_e64 s3, 0xc2ce8ed0, v83
	v_dual_fmac_f32 v109, 0x32a5705f, v93 :: v_dual_add_f32 v80, v80, v103
	v_fmac_f32_e32 v105, 0x32a5705f, v91
	v_ldexp_f32 v78, v78, v100
	v_ldexp_f32 v79, v79, v102
	v_cndmask_b32_e64 v77, 0, v77, s3
	v_cmp_ngt_f32_e64 s3, 0xc2ce8ed0, v88
	v_add_f32_e32 v94, v94, v109
	v_add_f32_e32 v81, v81, v105
	v_exp_f32_e32 v80, v80
	v_cvt_i32_f32_e32 v104, v104
	v_cndmask_b32_e64 v78, 0, v78, s3
	v_cmp_ngt_f32_e64 s3, 0xc2ce8ed0, v89
	v_exp_f32_e32 v81, v81
	v_cvt_i32_f32_e32 v106, v106
	v_exp_f32_e32 v82, v82
	v_ldexp_f32 v80, v80, v104
	v_cndmask_b32_e64 v79, 0, v79, s3
	v_cmp_ngt_f32_e64 s3, 0xc2ce8ed0, v90
	v_cvt_i32_f32_e32 v108, v108
	v_ldexp_f32 v81, v81, v106
	v_exp_f32_e32 v94, v94
	v_cvt_i32_f32_e32 v110, v110
	v_cndmask_b32_e64 v80, 0, v80, s3
	v_cmp_ngt_f32_e64 s3, 0xc2ce8ed0, v91
	v_ldexp_f32 v82, v82, v108
	s_delay_alu instid0(TRANS32_DEP_1) | instid1(VALU_DEP_4)
	v_ldexp_f32 v94, v94, v110
	s_delay_alu instid0(VALU_DEP_3) | instskip(SKIP_1) | instid1(VALU_DEP_1)
	v_cndmask_b32_e64 v81, 0, v81, s3
	v_cmp_ngt_f32_e64 s3, 0xc2ce8ed0, v92
	v_cndmask_b32_e64 v82, 0, v82, s3
	v_cmp_ngt_f32_e64 s3, 0xc2ce8ed0, v93
	s_delay_alu instid0(VALU_DEP_1) | instskip(SKIP_1) | instid1(VALU_DEP_1)
	v_cndmask_b32_e64 v94, 0, v94, s3
	v_cmp_nlt_f32_e64 s3, 0x42b17218, v75
	v_cndmask_b32_e64 v76, 0x7f800000, v76, s3
	v_cmp_nlt_f32_e64 s3, 0x42b17218, v83
	s_delay_alu instid0(VALU_DEP_2) | instskip(NEXT) | instid1(VALU_DEP_2)
	v_cvt_f16_f32_e32 v75, v76
	v_cndmask_b32_e64 v77, 0x7f800000, v77, s3
	v_cmp_nlt_f32_e64 s3, 0x42b17218, v88
	s_delay_alu instid0(VALU_DEP_2) | instskip(NEXT) | instid1(VALU_DEP_2)
	v_cvt_f16_f32_e32 v88, v77
	v_cndmask_b32_e64 v78, 0x7f800000, v78, s3
	v_cmp_nlt_f32_e64 s3, 0x42b17218, v89
	v_pk_fma_f32 v[12:13], v[12:13], v[76:77], v[26:27]
	v_and_b32_e32 v27, 0xffff, v75
	s_delay_alu instid0(VALU_DEP_4) | instskip(NEXT) | instid1(VALU_DEP_4)
	v_cvt_f16_f32_e32 v89, v78
	v_cndmask_b32_e64 v79, 0x7f800000, v79, s3
	v_cmp_nlt_f32_e64 s3, 0x42b17218, v90
	s_delay_alu instid0(VALU_DEP_4) | instskip(NEXT) | instid1(VALU_DEP_3)
	v_mul_u32_u24_e32 v27, 0x10001, v27
	v_cvt_f16_f32_e32 v90, v79
	s_delay_alu instid0(VALU_DEP_3)
	v_cndmask_b32_e64 v80, 0x7f800000, v80, s3
	v_cmp_nlt_f32_e64 s3, 0x42b17218, v91
	v_pk_fma_f32 v[10:11], v[10:11], v[78:79], v[28:29]
	v_and_b32_e32 v28, 0xffff, v88
	v_and_b32_e32 v29, 0xffff, v89
	v_cvt_f16_f32_e32 v91, v80
	v_cndmask_b32_e64 v81, 0x7f800000, v81, s3
	v_cmp_nlt_f32_e64 s3, 0x42b17218, v92
	v_mul_u32_u24_e32 v28, 0x10001, v28
	v_mul_u32_u24_e32 v29, 0x10001, v29
	v_pk_mul_f16 v100, v73, v27
	v_cvt_f16_f32_e32 v92, v81
	v_cndmask_b32_e64 v82, 0x7f800000, v82, s3
	v_cmp_nlt_f32_e64 s3, 0x42b17218, v93
	v_pk_fma_f32 v[16:17], v[16:17], v[80:81], v[30:31]
	v_and_b32_e32 v30, 0xffff, v90
	v_and_b32_e32 v31, 0xffff, v91
	v_cvt_f16_f32_e32 v93, v82
	v_cndmask_b32_e64 v83, 0x7f800000, v94, s3
	v_pk_mul_f16 v101, v74, v27
	v_mul_u32_u24_e32 v30, 0x10001, v30
	v_mul_u32_u24_e32 v31, 0x10001, v31
	v_pk_mul_f16 v102, v71, v28
	v_cvt_f16_f32_e32 v26, v83
	v_pk_fma_f32 v[14:15], v[14:15], v[82:83], v[32:33]
	v_and_b32_e32 v32, 0xffff, v92
	v_and_b32_e32 v33, 0xffff, v93
	v_pk_mul_f16 v103, v72, v28
	v_and_b32_e32 v26, 0xffff, v26
	v_pk_mul_f16 v104, v69, v29
	v_mul_u32_u24_e32 v32, 0x10001, v32
	v_mul_u32_u24_e32 v33, 0x10001, v33
	v_pk_mul_f16 v105, v70, v29
	v_mul_u32_u24_e32 v75, 0x10001, v26
	v_pk_mul_f16 v106, v68, v30
	v_pk_mul_f16 v107, v67, v30
	;; [unrolled: 1-line block ×10, first 2 shown]
	s_wait_loadcnt 0x0
	ds_store_b128 v56, v[84:87]
	s_wait_dscnt 0x0
	s_barrier_signal -1
	s_barrier_wait -1
	ds_load_b128 v[26:29], v50
	ds_load_b128 v[30:33], v50 offset:16
	ds_load_2addr_b64 v[60:63], v51 offset1:18
	ds_load_b128 v[64:67], v50 offset:32
	ds_load_b128 v[68:71], v50 offset:48
	ds_load_2addr_b64 v[72:75], v51 offset0:36 offset1:54
	ds_load_2addr_b64 v[76:79], v51 offset0:72 offset1:90
	ds_load_b128 v[80:83], v50 offset:64
	ds_load_b128 v[84:87], v50 offset:80
	ds_load_2addr_b64 v[88:91], v51 offset0:108 offset1:126
	ds_load_b128 v[92:95], v50 offset:96
	ds_load_b128 v[96:99], v50 offset:112
	s_wait_dscnt 0x8
	v_dual_lshrrev_b32 v123, 16, v64 :: v_dual_lshrrev_b32 v124, 16, v65
	v_and_b32_e32 v64, 0xffff, v64
	v_and_b32_e32 v65, 0xffff, v65
	v_dual_lshrrev_b32 v125, 16, v66 :: v_dual_lshrrev_b32 v126, 16, v67
	v_dual_lshrrev_b32 v115, 16, v26 :: v_dual_lshrrev_b32 v118, 16, v29
	v_lshrrev_b32_e32 v116, 16, v27
	v_and_b32_e32 v26, 0xffff, v26
	v_and_b32_e32 v27, 0xffff, v27
	v_lshrrev_b32_e32 v117, 16, v28
	v_and_b32_e32 v28, 0xffff, v28
	v_and_b32_e32 v29, 0xffff, v29
	v_dual_lshrrev_b32 v119, 16, v30 :: v_dual_lshrrev_b32 v120, 16, v31
	v_and_b32_e32 v30, 0xffff, v30
	v_and_b32_e32 v31, 0xffff, v31
	v_mul_u32_u24_e32 v26, 0x10001, v26
	v_mul_u32_u24_e32 v27, 0x10001, v27
	v_dual_lshrrev_b32 v121, 16, v32 :: v_dual_lshrrev_b32 v122, 16, v33
	v_and_b32_e32 v32, 0xffff, v32
	v_and_b32_e32 v33, 0xffff, v33
	v_mul_u32_u24_e32 v28, 0x10001, v28
	v_mul_u32_u24_e32 v29, 0x10001, v29
	;; [unrolled: 1-line block ×4, first 2 shown]
	v_pk_fma_f16 v100, v60, v26, v100
	v_pk_fma_f16 v104, v60, v27, v104
	;; [unrolled: 1-line block ×4, first 2 shown]
	v_and_b32_e32 v66, 0xffff, v66
	v_and_b32_e32 v67, 0xffff, v67
	s_wait_dscnt 0x7
	v_dual_lshrrev_b32 v127, 16, v68 :: v_dual_lshrrev_b32 v128, 16, v69
	v_and_b32_e32 v68, 0xffff, v68
	v_and_b32_e32 v69, 0xffff, v69
	v_mul_u32_u24_e32 v115, 0x10001, v115
	v_mul_u32_u24_e32 v116, 0x10001, v116
	;; [unrolled: 1-line block ×8, first 2 shown]
	v_pk_fma_f16 v108, v60, v28, v108
	v_pk_fma_f16 v112, v60, v29, v112
	;; [unrolled: 1-line block ×6, first 2 shown]
	v_dual_lshrrev_b32 v129, 16, v70 :: v_dual_lshrrev_b32 v130, 16, v71
	v_and_b32_e32 v70, 0xffff, v70
	v_and_b32_e32 v71, 0xffff, v71
	s_wait_dscnt 0x4
	v_dual_lshrrev_b32 v131, 16, v80 :: v_dual_lshrrev_b32 v132, 16, v81
	v_and_b32_e32 v80, 0xffff, v80
	v_and_b32_e32 v81, 0xffff, v81
	v_mul_u32_u24_e32 v120, 0x10001, v120
	v_mul_u32_u24_e32 v122, 0x10001, v122
	v_mul_u32_u24_e32 v66, 0x10001, v66
	v_mul_u32_u24_e32 v67, 0x10001, v67
	v_mul_u32_u24_e32 v68, 0x10001, v68
	v_mul_u32_u24_e32 v69, 0x10001, v69
	v_pk_fma_f16 v102, v60, v115, v102
	v_pk_fma_f16 v106, v60, v116, v106
	;; [unrolled: 1-line block ×12, first 2 shown]
	v_dual_lshrrev_b32 v133, 16, v82 :: v_dual_lshrrev_b32 v134, 16, v83
	v_and_b32_e32 v82, 0xffff, v82
	v_and_b32_e32 v83, 0xffff, v83
	s_wait_dscnt 0x3
	v_dual_lshrrev_b32 v135, 16, v84 :: v_dual_lshrrev_b32 v136, 16, v85
	v_and_b32_e32 v84, 0xffff, v84
	v_and_b32_e32 v85, 0xffff, v85
	v_mul_u32_u24_e32 v119, 0x10001, v119
	v_mul_u32_u24_e32 v121, 0x10001, v121
	;; [unrolled: 1-line block ×7, first 2 shown]
	v_pk_fma_f16 v105, v62, v120, v106
	v_pk_fma_f16 v106, v62, v32, v108
	;; [unrolled: 1-line block ×8, first 2 shown]
	v_dual_lshrrev_b32 v137, 16, v86 :: v_dual_lshrrev_b32 v138, 16, v87
	v_and_b32_e32 v86, 0xffff, v86
	v_and_b32_e32 v87, 0xffff, v87
	s_wait_dscnt 0x1
	v_dual_lshrrev_b32 v139, 16, v92 :: v_dual_lshrrev_b32 v140, 16, v93
	v_and_b32_e32 v92, 0xffff, v92
	v_and_b32_e32 v93, 0xffff, v93
	v_mul_u32_u24_e32 v123, 0x10001, v123
	v_mul_u32_u24_e32 v124, 0x10001, v124
	;; [unrolled: 1-line block ×8, first 2 shown]
	v_pk_fma_f16 v100, v62, v30, v100
	v_pk_fma_f16 v102, v62, v119, v102
	;; [unrolled: 1-line block ×13, first 2 shown]
	v_dual_lshrrev_b32 v141, 16, v94 :: v_dual_lshrrev_b32 v142, 16, v95
	v_and_b32_e32 v94, 0xffff, v94
	v_and_b32_e32 v95, 0xffff, v95
	v_mul_u32_u24_e32 v127, 0x10001, v127
	v_mul_u32_u24_e32 v128, 0x10001, v128
	;; [unrolled: 1-line block ×8, first 2 shown]
	v_pk_fma_f16 v60, v72, v64, v100
	v_pk_fma_f16 v61, v72, v123, v102
	;; [unrolled: 1-line block ×16, first 2 shown]
	v_mul_u32_u24_e32 v131, 0x10001, v131
	v_mul_u32_u24_e32 v132, 0x10001, v132
	;; [unrolled: 1-line block ×6, first 2 shown]
	v_pk_fma_f16 v60, v74, v68, v60
	v_pk_fma_f16 v61, v74, v127, v61
	v_pk_fma_f16 v62, v74, v69, v62
	v_pk_fma_f16 v63, v74, v128, v63
	v_pk_fma_f16 v64, v74, v70, v100
	v_pk_fma_f16 v65, v74, v129, v101
	v_pk_fma_f16 v66, v74, v71, v102
	v_pk_fma_f16 v59, v74, v130, v59
	v_pk_fma_f16 v30, v75, v127, v30
	v_pk_fma_f16 v31, v75, v128, v31
	v_pk_fma_f16 v32, v75, v129, v32
	v_pk_fma_f16 v33, v77, v134, v33
	v_pk_fma_f16 v28, v79, v86, v28
	v_pk_fma_f16 v29, v79, v87, v29
	v_pk_fma_f16 v67, v89, v92, v26
	v_pk_fma_f16 v68, v89, v93, v27
	s_wait_dscnt 0x0
	v_lshrrev_b32_e32 v26, 16, v96
	v_and_b32_e32 v27, 0xffff, v96
	v_mul_u32_u24_e32 v135, 0x10001, v135
	v_mul_u32_u24_e32 v136, 0x10001, v136
	;; [unrolled: 1-line block ×4, first 2 shown]
	v_pk_fma_f16 v60, v76, v80, v60
	v_pk_fma_f16 v61, v76, v131, v61
	;; [unrolled: 1-line block ×14, first 2 shown]
	v_dual_lshrrev_b32 v28, 16, v97 :: v_dual_lshrrev_b32 v29, 16, v98
	v_mul_u32_u24_e32 v73, 0x10001, v27
	v_and_b32_e32 v27, 0xffff, v98
	v_mul_u32_u24_e32 v74, 0x10001, v26
	v_and_b32_e32 v26, 0xffff, v99
	v_mul_u32_u24_e32 v139, 0x10001, v139
	v_mul_u32_u24_e32 v140, 0x10001, v140
	;; [unrolled: 1-line block ×3, first 2 shown]
	v_pk_fma_f16 v60, v78, v84, v60
	v_pk_fma_f16 v61, v78, v135, v61
	;; [unrolled: 1-line block ×12, first 2 shown]
	v_lshrrev_b32_e32 v33, 16, v99
	v_and_b32_e32 v72, 0xffff, v97
	v_mul_u32_u24_e32 v75, 0x10001, v28
	v_mul_u32_u24_e32 v76, 0x10001, v27
	;; [unrolled: 1-line block ×4, first 2 shown]
	ds_load_b128 v[26:29], v50 offset:128
	v_pk_fma_f16 v60, v88, v92, v60
	v_pk_fma_f16 v61, v88, v139, v61
	;; [unrolled: 1-line block ×7, first 2 shown]
	v_mul_u32_u24_e32 v72, 0x10001, v72
	v_mul_u32_u24_e32 v79, 0x10001, v33
	v_pk_fma_f16 v80, v90, v73, v60
	v_pk_fma_f16 v81, v90, v74, v61
	;; [unrolled: 1-line block ×9, first 2 shown]
	ds_load_2addr_b64 v[30:33], v51 offset0:144 offset1:162
	ds_load_b128 v[60:63], v50 offset:144
	v_pk_fma_f16 v64, v88, v94, v64
	v_pk_fma_f16 v65, v88, v141, v65
	;; [unrolled: 1-line block ×9, first 2 shown]
	s_wait_dscnt 0x2
	v_dual_lshrrev_b32 v75, 16, v26 :: v_dual_lshrrev_b32 v76, 16, v27
	v_and_b32_e32 v26, 0xffff, v26
	v_dual_lshrrev_b32 v77, 16, v28 :: v_dual_lshrrev_b32 v78, 16, v29
	v_and_b32_e32 v27, 0xffff, v27
	v_and_b32_e32 v28, 0xffff, v28
	v_and_b32_e32 v29, 0xffff, v29
	v_pk_fma_f16 v59, v90, v79, v59
	v_mul_u32_u24_e32 v26, 0x10001, v26
	v_mul_u32_u24_e32 v75, 0x10001, v75
	;; [unrolled: 1-line block ×8, first 2 shown]
	v_pk_fma_f16 v71, v91, v79, v71
	s_wait_dscnt 0x1
	v_pk_fma_f16 v79, v30, v26, v80
	v_pk_fma_f16 v80, v30, v75, v81
	;; [unrolled: 1-line block ×10, first 2 shown]
	s_wait_dscnt 0x0
	v_lshrrev_b32_e32 v26, 16, v60
	v_and_b32_e32 v27, 0xffff, v60
	v_pk_fma_f16 v67, v31, v75, v73
	v_pk_fma_f16 v72, v31, v76, v72
	;; [unrolled: 1-line block ×6, first 2 shown]
	v_dual_lshrrev_b32 v28, 16, v61 :: v_dual_lshrrev_b32 v29, 16, v62
	v_lshrrev_b32_e32 v60, 16, v63
	v_mul_u32_u24_e32 v71, 0x10001, v27
	v_and_b32_e32 v27, 0xffff, v62
	v_mul_u32_u24_e32 v62, 0x10001, v26
	v_and_b32_e32 v26, 0xffff, v63
	v_and_b32_e32 v61, 0xffff, v61
	v_mul_u32_u24_e32 v63, 0x10001, v28
	v_mul_u32_u24_e32 v74, 0x10001, v27
	;; [unrolled: 1-line block ×4, first 2 shown]
	ds_load_b128 v[26:29], v50 offset:160
	v_mul_u32_u24_e32 v61, 0x10001, v61
	v_mul_u32_u24_e32 v77, 0x10001, v60
	v_pk_fma_f16 v78, v32, v71, v79
	v_pk_fma_f16 v79, v32, v62, v80
	;; [unrolled: 1-line block ×14, first 2 shown]
	ds_load_2addr_b64 v[60:63], v51 offset0:180 offset1:198
	v_pk_fma_f16 v70, v33, v76, v70
	v_pk_fma_f16 v73, v33, v77, v31
	ds_load_b128 v[30:33], v50 offset:176
	s_wait_dscnt 0x2
	v_dual_lshrrev_b32 v74, 16, v26 :: v_dual_lshrrev_b32 v75, 16, v27
	v_and_b32_e32 v26, 0xffff, v26
	v_and_b32_e32 v27, 0xffff, v27
	v_dual_lshrrev_b32 v76, 16, v28 :: v_dual_lshrrev_b32 v77, 16, v29
	v_and_b32_e32 v28, 0xffff, v28
	s_delay_alu instid0(VALU_DEP_4)
	v_mul_u32_u24_e32 v26, 0x10001, v26
	v_and_b32_e32 v29, 0xffff, v29
	v_mul_u32_u24_e32 v27, 0x10001, v27
	v_mul_u32_u24_e32 v74, 0x10001, v74
	;; [unrolled: 1-line block ×7, first 2 shown]
	s_wait_dscnt 0x1
	v_pk_fma_f16 v78, v60, v26, v78
	v_pk_fma_f16 v80, v60, v27, v80
	;; [unrolled: 1-line block ×4, first 2 shown]
	s_wait_dscnt 0x0
	v_lshrrev_b32_e32 v26, 16, v30
	v_and_b32_e32 v27, 0xffff, v30
	v_pk_fma_f16 v64, v60, v28, v64
	v_pk_fma_f16 v66, v60, v29, v66
	;; [unrolled: 1-line block ×8, first 2 shown]
	v_dual_lshrrev_b32 v28, 16, v31 :: v_dual_lshrrev_b32 v29, 16, v32
	v_lshrrev_b32_e32 v30, 16, v33
	v_mul_u32_u24_e32 v73, 0x10001, v27
	v_and_b32_e32 v27, 0xffff, v32
	v_mul_u32_u24_e32 v32, 0x10001, v26
	v_and_b32_e32 v26, 0xffff, v33
	v_pk_fma_f16 v79, v60, v74, v79
	v_pk_fma_f16 v81, v60, v75, v81
	;; [unrolled: 1-line block ×3, first 2 shown]
	v_and_b32_e32 v31, 0xffff, v31
	v_mul_u32_u24_e32 v33, 0x10001, v28
	v_mul_u32_u24_e32 v74, 0x10001, v27
	v_mul_u32_u24_e32 v75, 0x10001, v29
	v_mul_u32_u24_e32 v76, 0x10001, v26
	ds_load_b128 v[26:29], v50 offset:192
	v_pk_fma_f16 v60, v60, v77, v82
	v_mul_u32_u24_e32 v31, 0x10001, v31
	v_mul_u32_u24_e32 v77, 0x10001, v30
	v_pk_fma_f16 v78, v62, v73, v78
	v_pk_fma_f16 v79, v62, v32, v79
	;; [unrolled: 1-line block ×14, first 2 shown]
	ds_load_2addr_b64 v[30:33], v51 offset0:216 offset1:234
	v_pk_fma_f16 v70, v63, v76, v70
	v_pk_fma_f16 v73, v63, v77, v61
	ds_load_b128 v[60:63], v50 offset:208
	s_wait_dscnt 0x2
	v_dual_lshrrev_b32 v74, 16, v26 :: v_dual_lshrrev_b32 v75, 16, v27
	v_and_b32_e32 v26, 0xffff, v26
	v_and_b32_e32 v27, 0xffff, v27
	v_dual_lshrrev_b32 v76, 16, v28 :: v_dual_lshrrev_b32 v77, 16, v29
	v_and_b32_e32 v28, 0xffff, v28
	s_delay_alu instid0(VALU_DEP_4)
	v_mul_u32_u24_e32 v26, 0x10001, v26
	v_and_b32_e32 v29, 0xffff, v29
	v_mul_u32_u24_e32 v27, 0x10001, v27
	v_mul_u32_u24_e32 v74, 0x10001, v74
	;; [unrolled: 1-line block ×7, first 2 shown]
	s_wait_dscnt 0x1
	v_pk_fma_f16 v78, v30, v26, v78
	v_pk_fma_f16 v80, v30, v27, v80
	;; [unrolled: 1-line block ×4, first 2 shown]
	s_wait_dscnt 0x0
	v_lshrrev_b32_e32 v26, 16, v60
	v_and_b32_e32 v27, 0xffff, v60
	v_pk_fma_f16 v64, v30, v28, v64
	v_pk_fma_f16 v66, v30, v29, v66
	;; [unrolled: 1-line block ×8, first 2 shown]
	v_dual_lshrrev_b32 v28, 16, v61 :: v_dual_lshrrev_b32 v29, 16, v62
	v_lshrrev_b32_e32 v60, 16, v63
	v_mul_u32_u24_e32 v73, 0x10001, v27
	v_and_b32_e32 v27, 0xffff, v62
	v_mul_u32_u24_e32 v62, 0x10001, v26
	v_and_b32_e32 v26, 0xffff, v63
	v_pk_fma_f16 v79, v30, v74, v79
	v_pk_fma_f16 v81, v30, v75, v81
	;; [unrolled: 1-line block ×4, first 2 shown]
	v_and_b32_e32 v61, 0xffff, v61
	v_mul_u32_u24_e32 v63, 0x10001, v28
	v_mul_u32_u24_e32 v74, 0x10001, v27
	;; [unrolled: 1-line block ×5, first 2 shown]
	ds_load_b128 v[26:29], v50 offset:224
	v_mul_u32_u24_e32 v61, 0x10001, v61
	v_pk_fma_f16 v78, v32, v73, v78
	v_pk_fma_f16 v79, v32, v62, v79
	;; [unrolled: 1-line block ×3, first 2 shown]
	v_add_nc_u32_e32 v30, 0x400, v51
	v_pk_fma_f16 v80, v32, v61, v80
	v_pk_fma_f16 v81, v32, v63, v81
	;; [unrolled: 1-line block ×11, first 2 shown]
	ds_load_2addr_b64 v[60:63], v30 offset0:124 offset1:142
	v_pk_fma_f16 v70, v33, v76, v70
	v_pk_fma_f16 v73, v33, v77, v31
	ds_load_b128 v[30:33], v50 offset:240
	s_wait_dscnt 0x2
	v_dual_lshrrev_b32 v74, 16, v26 :: v_dual_lshrrev_b32 v75, 16, v27
	v_and_b32_e32 v26, 0xffff, v26
	v_and_b32_e32 v27, 0xffff, v27
	v_dual_lshrrev_b32 v76, 16, v28 :: v_dual_lshrrev_b32 v77, 16, v29
	v_and_b32_e32 v28, 0xffff, v28
	s_delay_alu instid0(VALU_DEP_4)
	v_mul_u32_u24_e32 v26, 0x10001, v26
	v_and_b32_e32 v29, 0xffff, v29
	v_mul_u32_u24_e32 v27, 0x10001, v27
	v_mul_u32_u24_e32 v74, 0x10001, v74
	;; [unrolled: 1-line block ×7, first 2 shown]
	s_wait_dscnt 0x1
	v_pk_fma_f16 v78, v60, v26, v78
	v_pk_fma_f16 v80, v60, v27, v80
	;; [unrolled: 1-line block ×4, first 2 shown]
	s_wait_dscnt 0x0
	v_lshrrev_b32_e32 v26, 16, v30
	v_and_b32_e32 v27, 0xffff, v30
	v_pk_fma_f16 v64, v60, v28, v64
	v_pk_fma_f16 v66, v60, v29, v66
	;; [unrolled: 1-line block ×8, first 2 shown]
	v_dual_lshrrev_b32 v28, 16, v31 :: v_dual_lshrrev_b32 v29, 16, v32
	v_lshrrev_b32_e32 v30, 16, v33
	v_mul_u32_u24_e32 v73, 0x10001, v27
	v_and_b32_e32 v27, 0xffff, v32
	v_mul_u32_u24_e32 v32, 0x10001, v26
	v_and_b32_e32 v26, 0xffff, v33
	v_pk_fma_f16 v79, v60, v74, v79
	v_pk_fma_f16 v81, v60, v75, v81
	;; [unrolled: 1-line block ×3, first 2 shown]
	v_and_b32_e32 v31, 0xffff, v31
	v_mul_u32_u24_e32 v33, 0x10001, v28
	v_mul_u32_u24_e32 v74, 0x10001, v27
	;; [unrolled: 1-line block ×4, first 2 shown]
	ds_load_b128 v[26:29], v50 offset:256
	v_pk_fma_f16 v60, v60, v77, v82
	v_mul_u32_u24_e32 v31, 0x10001, v31
	v_mul_u32_u24_e32 v77, 0x10001, v30
	v_pk_fma_f16 v78, v62, v73, v78
	v_pk_fma_f16 v59, v63, v73, v59
	v_add_nc_u32_e32 v73, 0x800, v51
	v_pk_fma_f16 v79, v62, v32, v79
	v_pk_fma_f16 v80, v62, v31, v80
	;; [unrolled: 1-line block ×12, first 2 shown]
	ds_load_2addr_b64 v[30:33], v73 offset0:32 offset1:50
	v_pk_fma_f16 v70, v63, v76, v70
	v_pk_fma_f16 v74, v63, v77, v61
	ds_load_b128 v[60:63], v50 offset:272
	s_wait_dscnt 0x2
	v_dual_lshrrev_b32 v75, 16, v26 :: v_dual_lshrrev_b32 v76, 16, v27
	v_and_b32_e32 v26, 0xffff, v26
	v_and_b32_e32 v27, 0xffff, v27
	v_dual_lshrrev_b32 v77, 16, v28 :: v_dual_lshrrev_b32 v83, 16, v29
	v_and_b32_e32 v28, 0xffff, v28
	s_delay_alu instid0(VALU_DEP_4)
	v_mul_u32_u24_e32 v26, 0x10001, v26
	v_and_b32_e32 v29, 0xffff, v29
	v_mul_u32_u24_e32 v27, 0x10001, v27
	v_mul_u32_u24_e32 v75, 0x10001, v75
	;; [unrolled: 1-line block ×7, first 2 shown]
	s_wait_dscnt 0x1
	v_pk_fma_f16 v78, v30, v26, v78
	v_pk_fma_f16 v80, v30, v27, v80
	;; [unrolled: 1-line block ×4, first 2 shown]
	s_wait_dscnt 0x0
	v_lshrrev_b32_e32 v26, 16, v60
	v_and_b32_e32 v27, 0xffff, v60
	v_pk_fma_f16 v64, v30, v28, v64
	v_pk_fma_f16 v66, v30, v29, v66
	;; [unrolled: 1-line block ×8, first 2 shown]
	v_dual_lshrrev_b32 v28, 16, v61 :: v_dual_lshrrev_b32 v29, 16, v62
	v_lshrrev_b32_e32 v60, 16, v63
	v_mul_u32_u24_e32 v74, 0x10001, v27
	v_and_b32_e32 v27, 0xffff, v62
	v_mul_u32_u24_e32 v62, 0x10001, v26
	v_and_b32_e32 v26, 0xffff, v63
	v_pk_fma_f16 v79, v30, v75, v79
	v_pk_fma_f16 v81, v30, v76, v81
	;; [unrolled: 1-line block ×3, first 2 shown]
	v_and_b32_e32 v61, 0xffff, v61
	v_mul_u32_u24_e32 v63, 0x10001, v28
	v_mul_u32_u24_e32 v75, 0x10001, v27
	;; [unrolled: 1-line block ×4, first 2 shown]
	ds_load_b128 v[26:29], v50 offset:288
	v_pk_fma_f16 v30, v30, v83, v82
	v_mul_u32_u24_e32 v61, 0x10001, v61
	v_mul_u32_u24_e32 v82, 0x10001, v60
	v_pk_fma_f16 v78, v32, v74, v78
	v_pk_fma_f16 v79, v32, v62, v79
	;; [unrolled: 1-line block ×14, first 2 shown]
	ds_load_2addr_b64 v[60:63], v73 offset0:68 offset1:86
	v_pk_fma_f16 v70, v33, v77, v70
	v_pk_fma_f16 v74, v33, v82, v31
	ds_load_b128 v[30:33], v50 offset:304
	s_wait_dscnt 0x2
	v_dual_lshrrev_b32 v75, 16, v26 :: v_dual_lshrrev_b32 v76, 16, v27
	v_and_b32_e32 v26, 0xffff, v26
	v_and_b32_e32 v27, 0xffff, v27
	v_dual_lshrrev_b32 v77, 16, v28 :: v_dual_lshrrev_b32 v82, 16, v29
	v_and_b32_e32 v28, 0xffff, v28
	s_delay_alu instid0(VALU_DEP_4)
	v_mul_u32_u24_e32 v26, 0x10001, v26
	v_and_b32_e32 v29, 0xffff, v29
	v_mul_u32_u24_e32 v27, 0x10001, v27
	v_mul_u32_u24_e32 v75, 0x10001, v75
	;; [unrolled: 1-line block ×7, first 2 shown]
	s_wait_dscnt 0x1
	v_pk_fma_f16 v78, v60, v26, v78
	v_pk_fma_f16 v80, v60, v27, v80
	;; [unrolled: 1-line block ×4, first 2 shown]
	s_wait_dscnt 0x0
	v_lshrrev_b32_e32 v26, 16, v30
	v_and_b32_e32 v27, 0xffff, v30
	v_pk_fma_f16 v64, v60, v28, v64
	v_pk_fma_f16 v66, v60, v29, v66
	;; [unrolled: 1-line block ×8, first 2 shown]
	v_dual_lshrrev_b32 v28, 16, v31 :: v_dual_lshrrev_b32 v29, 16, v32
	v_lshrrev_b32_e32 v30, 16, v33
	v_mul_u32_u24_e32 v74, 0x10001, v27
	v_and_b32_e32 v27, 0xffff, v32
	v_mul_u32_u24_e32 v32, 0x10001, v26
	v_and_b32_e32 v26, 0xffff, v33
	v_pk_fma_f16 v79, v60, v75, v79
	v_pk_fma_f16 v81, v60, v76, v81
	;; [unrolled: 1-line block ×3, first 2 shown]
	v_and_b32_e32 v31, 0xffff, v31
	v_mul_u32_u24_e32 v33, 0x10001, v28
	v_mul_u32_u24_e32 v75, 0x10001, v27
	;; [unrolled: 1-line block ×4, first 2 shown]
	ds_load_b128 v[26:29], v50 offset:320
	v_pk_fma_f16 v60, v60, v82, v83
	v_mul_u32_u24_e32 v31, 0x10001, v31
	v_mul_u32_u24_e32 v82, 0x10001, v30
	v_pk_fma_f16 v78, v62, v74, v78
	v_pk_fma_f16 v79, v62, v32, v79
	;; [unrolled: 1-line block ×14, first 2 shown]
	ds_load_2addr_b64 v[30:33], v73 offset0:104 offset1:122
	v_pk_fma_f16 v70, v63, v77, v70
	v_pk_fma_f16 v74, v63, v82, v61
	ds_load_b128 v[60:63], v50 offset:336
	s_wait_dscnt 0x2
	v_dual_lshrrev_b32 v75, 16, v26 :: v_dual_lshrrev_b32 v76, 16, v27
	v_and_b32_e32 v26, 0xffff, v26
	v_and_b32_e32 v27, 0xffff, v27
	v_dual_lshrrev_b32 v77, 16, v28 :: v_dual_lshrrev_b32 v82, 16, v29
	v_and_b32_e32 v28, 0xffff, v28
	s_delay_alu instid0(VALU_DEP_4)
	v_mul_u32_u24_e32 v26, 0x10001, v26
	v_and_b32_e32 v29, 0xffff, v29
	v_mul_u32_u24_e32 v27, 0x10001, v27
	v_mul_u32_u24_e32 v75, 0x10001, v75
	;; [unrolled: 1-line block ×7, first 2 shown]
	s_wait_dscnt 0x1
	v_pk_fma_f16 v78, v30, v26, v78
	v_pk_fma_f16 v80, v30, v27, v80
	;; [unrolled: 1-line block ×4, first 2 shown]
	s_wait_dscnt 0x0
	v_lshrrev_b32_e32 v26, 16, v60
	v_and_b32_e32 v27, 0xffff, v60
	v_pk_fma_f16 v64, v30, v28, v64
	v_pk_fma_f16 v66, v30, v29, v66
	;; [unrolled: 1-line block ×8, first 2 shown]
	v_dual_lshrrev_b32 v28, 16, v61 :: v_dual_lshrrev_b32 v29, 16, v62
	v_lshrrev_b32_e32 v60, 16, v63
	v_mul_u32_u24_e32 v74, 0x10001, v27
	v_and_b32_e32 v27, 0xffff, v62
	v_mul_u32_u24_e32 v62, 0x10001, v26
	v_and_b32_e32 v26, 0xffff, v63
	v_pk_fma_f16 v79, v30, v75, v79
	v_pk_fma_f16 v81, v30, v76, v81
	;; [unrolled: 1-line block ×3, first 2 shown]
	v_and_b32_e32 v61, 0xffff, v61
	v_mul_u32_u24_e32 v63, 0x10001, v28
	v_mul_u32_u24_e32 v75, 0x10001, v27
	;; [unrolled: 1-line block ×4, first 2 shown]
	ds_load_b128 v[26:29], v50 offset:352
	v_pk_fma_f16 v30, v30, v82, v83
	v_mul_u32_u24_e32 v61, 0x10001, v61
	v_mul_u32_u24_e32 v82, 0x10001, v60
	v_pk_fma_f16 v78, v32, v74, v78
	v_pk_fma_f16 v79, v32, v62, v79
	;; [unrolled: 1-line block ×14, first 2 shown]
	ds_load_2addr_b64 v[60:63], v73 offset0:140 offset1:158
	v_pk_fma_f16 v70, v33, v77, v70
	v_pk_fma_f16 v74, v33, v82, v31
	ds_load_b128 v[30:33], v50 offset:368
	s_wait_dscnt 0x2
	v_dual_lshrrev_b32 v75, 16, v26 :: v_dual_lshrrev_b32 v76, 16, v27
	v_and_b32_e32 v26, 0xffff, v26
	v_and_b32_e32 v27, 0xffff, v27
	v_dual_lshrrev_b32 v77, 16, v28 :: v_dual_lshrrev_b32 v82, 16, v29
	v_and_b32_e32 v28, 0xffff, v28
	s_delay_alu instid0(VALU_DEP_4)
	v_mul_u32_u24_e32 v26, 0x10001, v26
	v_and_b32_e32 v29, 0xffff, v29
	v_mul_u32_u24_e32 v27, 0x10001, v27
	v_mul_u32_u24_e32 v75, 0x10001, v75
	;; [unrolled: 1-line block ×7, first 2 shown]
	s_wait_dscnt 0x1
	v_pk_fma_f16 v78, v60, v26, v78
	v_pk_fma_f16 v80, v60, v27, v80
	;; [unrolled: 1-line block ×4, first 2 shown]
	s_wait_dscnt 0x0
	v_lshrrev_b32_e32 v26, 16, v30
	v_and_b32_e32 v27, 0xffff, v30
	v_pk_fma_f16 v64, v60, v28, v64
	v_pk_fma_f16 v66, v60, v29, v66
	;; [unrolled: 1-line block ×8, first 2 shown]
	v_dual_lshrrev_b32 v28, 16, v31 :: v_dual_lshrrev_b32 v29, 16, v32
	v_lshrrev_b32_e32 v30, 16, v33
	v_mul_u32_u24_e32 v74, 0x10001, v27
	v_and_b32_e32 v27, 0xffff, v32
	v_mul_u32_u24_e32 v32, 0x10001, v26
	v_and_b32_e32 v26, 0xffff, v33
	v_pk_fma_f16 v79, v60, v75, v79
	v_pk_fma_f16 v81, v60, v76, v81
	;; [unrolled: 1-line block ×3, first 2 shown]
	v_and_b32_e32 v31, 0xffff, v31
	v_mul_u32_u24_e32 v33, 0x10001, v28
	v_mul_u32_u24_e32 v75, 0x10001, v27
	;; [unrolled: 1-line block ×4, first 2 shown]
	ds_load_b128 v[26:29], v50 offset:384
	v_pk_fma_f16 v60, v60, v82, v83
	v_mul_u32_u24_e32 v31, 0x10001, v31
	v_mul_u32_u24_e32 v82, 0x10001, v30
	v_pk_fma_f16 v78, v62, v74, v78
	v_pk_fma_f16 v79, v62, v32, v79
	;; [unrolled: 1-line block ×14, first 2 shown]
	ds_load_2addr_b64 v[30:33], v73 offset0:176 offset1:194
	v_pk_fma_f16 v70, v63, v77, v70
	v_pk_fma_f16 v74, v63, v82, v61
	ds_load_b128 v[60:63], v50 offset:400
	s_wait_dscnt 0x2
	v_dual_lshrrev_b32 v75, 16, v26 :: v_dual_lshrrev_b32 v76, 16, v27
	v_and_b32_e32 v26, 0xffff, v26
	v_and_b32_e32 v27, 0xffff, v27
	v_dual_lshrrev_b32 v77, 16, v28 :: v_dual_lshrrev_b32 v82, 16, v29
	v_and_b32_e32 v28, 0xffff, v28
	s_delay_alu instid0(VALU_DEP_4)
	v_mul_u32_u24_e32 v26, 0x10001, v26
	v_and_b32_e32 v29, 0xffff, v29
	v_mul_u32_u24_e32 v27, 0x10001, v27
	v_mul_u32_u24_e32 v75, 0x10001, v75
	v_mul_u32_u24_e32 v76, 0x10001, v76
	v_mul_u32_u24_e32 v28, 0x10001, v28
	v_mul_u32_u24_e32 v77, 0x10001, v77
	v_mul_u32_u24_e32 v29, 0x10001, v29
	v_mul_u32_u24_e32 v82, 0x10001, v82
	s_wait_dscnt 0x1
	v_pk_fma_f16 v78, v30, v26, v78
	v_pk_fma_f16 v80, v30, v27, v80
	;; [unrolled: 1-line block ×4, first 2 shown]
	s_wait_dscnt 0x0
	v_lshrrev_b32_e32 v26, 16, v60
	v_and_b32_e32 v27, 0xffff, v60
	v_pk_fma_f16 v64, v30, v28, v64
	v_pk_fma_f16 v66, v30, v29, v66
	;; [unrolled: 1-line block ×8, first 2 shown]
	v_dual_lshrrev_b32 v28, 16, v61 :: v_dual_lshrrev_b32 v29, 16, v62
	v_lshrrev_b32_e32 v60, 16, v63
	v_mul_u32_u24_e32 v74, 0x10001, v27
	v_and_b32_e32 v27, 0xffff, v62
	v_mul_u32_u24_e32 v62, 0x10001, v26
	v_and_b32_e32 v26, 0xffff, v63
	v_pk_fma_f16 v79, v30, v75, v79
	v_pk_fma_f16 v81, v30, v76, v81
	;; [unrolled: 1-line block ×3, first 2 shown]
	v_and_b32_e32 v61, 0xffff, v61
	v_mul_u32_u24_e32 v63, 0x10001, v28
	v_mul_u32_u24_e32 v75, 0x10001, v27
	v_mul_u32_u24_e32 v76, 0x10001, v29
	v_mul_u32_u24_e32 v77, 0x10001, v26
	ds_load_b128 v[26:29], v50 offset:416
	v_pk_fma_f16 v30, v30, v82, v83
	v_mul_u32_u24_e32 v61, 0x10001, v61
	v_mul_u32_u24_e32 v82, 0x10001, v60
	v_pk_fma_f16 v78, v32, v74, v78
	v_pk_fma_f16 v79, v32, v62, v79
	;; [unrolled: 1-line block ×14, first 2 shown]
	ds_load_2addr_b64 v[60:63], v73 offset0:212 offset1:230
	v_pk_fma_f16 v70, v33, v77, v70
	v_pk_fma_f16 v73, v33, v82, v31
	ds_load_b128 v[30:33], v50 offset:432
	s_wait_dscnt 0x2
	v_dual_lshrrev_b32 v74, 16, v26 :: v_dual_lshrrev_b32 v75, 16, v27
	v_and_b32_e32 v26, 0xffff, v26
	v_and_b32_e32 v27, 0xffff, v27
	v_dual_lshrrev_b32 v76, 16, v28 :: v_dual_lshrrev_b32 v77, 16, v29
	v_and_b32_e32 v28, 0xffff, v28
	s_delay_alu instid0(VALU_DEP_4)
	v_mul_u32_u24_e32 v26, 0x10001, v26
	v_and_b32_e32 v29, 0xffff, v29
	v_mul_u32_u24_e32 v27, 0x10001, v27
	v_mul_u32_u24_e32 v74, 0x10001, v74
	;; [unrolled: 1-line block ×7, first 2 shown]
	s_wait_dscnt 0x1
	v_pk_fma_f16 v78, v60, v26, v78
	v_pk_fma_f16 v80, v60, v27, v80
	;; [unrolled: 1-line block ×4, first 2 shown]
	s_wait_dscnt 0x0
	v_lshrrev_b32_e32 v26, 16, v30
	v_and_b32_e32 v27, 0xffff, v30
	v_pk_fma_f16 v64, v60, v28, v64
	v_pk_fma_f16 v66, v60, v29, v66
	;; [unrolled: 1-line block ×8, first 2 shown]
	v_dual_lshrrev_b32 v28, 16, v31 :: v_dual_lshrrev_b32 v29, 16, v32
	v_lshrrev_b32_e32 v30, 16, v33
	v_mul_u32_u24_e32 v73, 0x10001, v27
	v_and_b32_e32 v27, 0xffff, v32
	v_mul_u32_u24_e32 v32, 0x10001, v26
	v_and_b32_e32 v26, 0xffff, v33
	v_pk_fma_f16 v79, v60, v74, v79
	v_pk_fma_f16 v81, v60, v75, v81
	;; [unrolled: 1-line block ×3, first 2 shown]
	v_and_b32_e32 v31, 0xffff, v31
	v_mul_u32_u24_e32 v33, 0x10001, v28
	v_mul_u32_u24_e32 v74, 0x10001, v27
	;; [unrolled: 1-line block ×4, first 2 shown]
	ds_load_b128 v[26:29], v50 offset:448
	v_pk_fma_f16 v60, v60, v77, v83
	v_mul_u32_u24_e32 v31, 0x10001, v31
	v_mul_u32_u24_e32 v77, 0x10001, v30
	v_add_nc_u32_e32 v30, 0xc00, v51
	v_pk_fma_f16 v78, v62, v73, v78
	v_pk_fma_f16 v79, v62, v32, v79
	;; [unrolled: 1-line block ×14, first 2 shown]
	ds_load_2addr_b64 v[30:33], v30 offset0:120 offset1:138
	v_pk_fma_f16 v70, v63, v76, v70
	v_pk_fma_f16 v73, v63, v77, v61
	ds_load_b128 v[60:63], v50 offset:464
	s_wait_dscnt 0x2
	v_dual_lshrrev_b32 v74, 16, v26 :: v_dual_lshrrev_b32 v75, 16, v27
	v_and_b32_e32 v26, 0xffff, v26
	v_and_b32_e32 v27, 0xffff, v27
	v_dual_lshrrev_b32 v76, 16, v28 :: v_dual_lshrrev_b32 v77, 16, v29
	v_and_b32_e32 v28, 0xffff, v28
	s_delay_alu instid0(VALU_DEP_4)
	v_mul_u32_u24_e32 v26, 0x10001, v26
	v_and_b32_e32 v29, 0xffff, v29
	v_mul_u32_u24_e32 v27, 0x10001, v27
	v_mul_u32_u24_e32 v74, 0x10001, v74
	v_mul_u32_u24_e32 v75, 0x10001, v75
	v_mul_u32_u24_e32 v28, 0x10001, v28
	v_mul_u32_u24_e32 v76, 0x10001, v76
	v_mul_u32_u24_e32 v29, 0x10001, v29
	v_mul_u32_u24_e32 v77, 0x10001, v77
	s_wait_dscnt 0x1
	v_pk_fma_f16 v78, v30, v26, v78
	v_pk_fma_f16 v80, v30, v27, v80
	;; [unrolled: 1-line block ×4, first 2 shown]
	s_wait_dscnt 0x0
	v_lshrrev_b32_e32 v26, 16, v60
	v_and_b32_e32 v27, 0xffff, v60
	v_pk_fma_f16 v64, v30, v28, v64
	v_pk_fma_f16 v66, v30, v29, v66
	;; [unrolled: 1-line block ×8, first 2 shown]
	v_dual_lshrrev_b32 v28, 16, v61 :: v_dual_lshrrev_b32 v29, 16, v62
	v_lshrrev_b32_e32 v60, 16, v63
	v_and_b32_e32 v61, 0xffff, v61
	v_mul_u32_u24_e32 v73, 0x10001, v27
	v_and_b32_e32 v27, 0xffff, v62
	v_mul_u32_u24_e32 v62, 0x10001, v26
	v_and_b32_e32 v26, 0xffff, v63
	v_pk_fma_f16 v79, v30, v74, v79
	v_pk_fma_f16 v81, v30, v75, v81
	;; [unrolled: 1-line block ×4, first 2 shown]
	v_mul_u32_u24_e32 v61, 0x10001, v61
	v_mul_u32_u24_e32 v63, 0x10001, v28
	;; [unrolled: 1-line block ×6, first 2 shown]
	ds_load_b128 v[26:29], v50 offset:480
	v_pk_fma_f16 v77, v32, v73, v78
	v_pk_fma_f16 v78, v32, v62, v79
	;; [unrolled: 1-line block ×5, first 2 shown]
	v_add_nc_u32_e32 v30, 0x1000, v51
	v_pk_fma_f16 v64, v32, v74, v64
	v_pk_fma_f16 v65, v32, v75, v65
	;; [unrolled: 1-line block ×9, first 2 shown]
	ds_load_2addr_b64 v[72:75], v30 offset0:28 offset1:46
	v_pk_fma_f16 v69, v33, v76, v70
	v_pk_fma_f16 v60, v33, v60, v31
	ds_load_b128 v[30:33], v50 offset:496
	s_wait_dscnt 0x0
	s_barrier_signal -1
	s_barrier_wait -1
	s_load_b32 s3, s[10:11], 0x4
	v_dual_lshrrev_b32 v70, 16, v26 :: v_dual_lshrrev_b32 v71, 16, v27
	v_and_b32_e32 v26, 0xffff, v26
	v_dual_lshrrev_b32 v76, 16, v28 :: v_dual_lshrrev_b32 v82, 16, v29
	v_and_b32_e32 v27, 0xffff, v27
	v_and_b32_e32 v28, 0xffff, v28
	;; [unrolled: 1-line block ×3, first 2 shown]
	v_mul_u32_u24_e32 v26, 0x10001, v26
	v_mul_u32_u24_e32 v70, 0x10001, v70
	;; [unrolled: 1-line block ×8, first 2 shown]
	v_pk_fma_f16 v77, v72, v26, v77
	v_pk_fma_f16 v78, v72, v70, v78
	;; [unrolled: 1-line block ×11, first 2 shown]
	v_dual_lshrrev_b32 v59, 16, v30 :: v_dual_lshrrev_b32 v61, 16, v31
	v_and_b32_e32 v30, 0xffff, v30
	v_and_b32_e32 v31, 0xffff, v31
	v_dual_lshrrev_b32 v63, 16, v32 :: v_dual_lshrrev_b32 v65, 16, v33
	v_and_b32_e32 v32, 0xffff, v32
	v_and_b32_e32 v33, 0xffff, v33
	v_pk_fma_f16 v62, v73, v70, v62
	v_pk_fma_f16 v28, v73, v28, v67
	;; [unrolled: 1-line block ×5, first 2 shown]
	v_mul_u32_u24_e32 v30, 0x10001, v30
	v_mul_u32_u24_e32 v67, 0x10001, v59
	;; [unrolled: 1-line block ×8, first 2 shown]
	s_wait_kmcnt 0x0
	s_lshl_b32 s3, s3, 5
	v_pk_fma_f16 v73, v74, v30, v77
	v_pk_fma_f16 v71, v74, v67, v78
	;; [unrolled: 1-line block ×16, first 2 shown]
	s_add_co_i32 s4, s3, s4
	s_delay_alu instid0(SALU_CYCLE_1)
	s_cmp_ge_i32 s4, s34
	s_cbranch_scc1 .LBB17_25
; %bb.24:                               ;   in Loop: Header=BB17_19 Depth=1
	v_dual_mov_b32 v75, v0 :: v_dual_mov_b32 v76, v1
	v_dual_mov_b32 v77, v2 :: v_dual_mov_b32 v78, v3
	;; [unrolled: 1-line block ×4, first 2 shown]
	s_branch .LBB17_19
.LBB17_25:
	v_mov_b32_e32 v9, v46
.LBB17_26:
	v_cmp_lt_i32_e32 vcc_lo, v47, v41
	s_cmp_lg_u64 s[12:13], 0
	s_cselect_b32 s3, -1, 0
	s_cmp_eq_u32 s35, 0
	v_cndmask_b32_e32 v8, v9, v47, vcc_lo
	v_cmp_lt_i32_e32 vcc_lo, v45, v41
	s_cselect_b32 s4, -1, 0
	s_delay_alu instid0(SALU_CYCLE_1) | instskip(NEXT) | instid1(VALU_DEP_2)
	s_and_b32 s3, s4, s3
	v_lshlrev_b32_e32 v8, 2, v8
	ds_bpermute_b32 v18, v8, v12
	ds_bpermute_b32 v19, v8, v13
	;; [unrolled: 1-line block ×8, first 2 shown]
	v_cndmask_b32_e32 v8, v9, v45, vcc_lo
	v_cmp_lt_i32_e32 vcc_lo, v43, v41
	s_delay_alu instid0(VALU_DEP_2)
	v_lshlrev_b32_e32 v8, 2, v8
	s_wait_dscnt 0x6
	v_pk_add_f32 v[12:13], v[12:13], v[18:19]
	s_wait_dscnt 0x4
	v_pk_add_f32 v[10:11], v[10:11], v[20:21]
	s_wait_dscnt 0x2
	v_pk_add_f32 v[16:17], v[16:17], v[22:23]
	ds_bpermute_b32 v18, v8, v12
	s_wait_dscnt 0x1
	v_pk_add_f32 v[14:15], v[14:15], v[24:25]
	ds_bpermute_b32 v19, v8, v13
	ds_bpermute_b32 v20, v8, v10
	ds_bpermute_b32 v21, v8, v11
	ds_bpermute_b32 v22, v8, v16
	ds_bpermute_b32 v23, v8, v17
	ds_bpermute_b32 v24, v8, v14
	ds_bpermute_b32 v25, v8, v15
	v_cndmask_b32_e32 v8, v9, v43, vcc_lo
	v_cmp_lt_i32_e32 vcc_lo, v44, v41
	s_delay_alu instid0(VALU_DEP_2)
	v_lshlrev_b32_e32 v8, 2, v8
	s_wait_dscnt 0x6
	v_pk_add_f32 v[12:13], v[12:13], v[18:19]
	s_wait_dscnt 0x4
	v_pk_add_f32 v[10:11], v[10:11], v[20:21]
	s_wait_dscnt 0x2
	v_pk_add_f32 v[16:17], v[16:17], v[22:23]
	ds_bpermute_b32 v18, v8, v12
	s_wait_dscnt 0x1
	v_pk_add_f32 v[14:15], v[14:15], v[24:25]
	ds_bpermute_b32 v19, v8, v13
	ds_bpermute_b32 v20, v8, v10
	ds_bpermute_b32 v21, v8, v11
	ds_bpermute_b32 v22, v8, v16
	ds_bpermute_b32 v23, v8, v17
	ds_bpermute_b32 v24, v8, v14
	ds_bpermute_b32 v25, v8, v15
	v_cndmask_b32_e32 v8, v9, v44, vcc_lo
	v_cmp_lt_i32_e32 vcc_lo, v42, v41
	s_delay_alu instid0(VALU_DEP_2)
	v_lshlrev_b32_e32 v8, 2, v8
	s_wait_dscnt 0x6
	v_pk_add_f32 v[12:13], v[12:13], v[18:19]
	s_wait_dscnt 0x4
	v_pk_add_f32 v[10:11], v[10:11], v[20:21]
	s_wait_dscnt 0x2
	v_pk_add_f32 v[16:17], v[16:17], v[22:23]
	ds_bpermute_b32 v18, v8, v12
	s_wait_dscnt 0x1
	v_pk_add_f32 v[14:15], v[14:15], v[24:25]
	ds_bpermute_b32 v19, v8, v13
	ds_bpermute_b32 v20, v8, v10
	ds_bpermute_b32 v21, v8, v11
	ds_bpermute_b32 v22, v8, v16
	ds_bpermute_b32 v23, v8, v17
	ds_bpermute_b32 v24, v8, v14
	ds_bpermute_b32 v25, v8, v15
	v_cndmask_b32_e32 v8, v9, v42, vcc_lo
	s_and_b32 vcc_lo, exec_lo, s3
	s_delay_alu instid0(VALU_DEP_1)
	v_lshlrev_b32_e32 v26, 2, v8
	s_wait_dscnt 0x6
	v_pk_add_f32 v[8:9], v[12:13], v[18:19]
	s_wait_dscnt 0x4
	v_pk_add_f32 v[10:11], v[10:11], v[20:21]
	;; [unrolled: 2-line block ×3, first 2 shown]
	ds_bpermute_b32 v12, v26, v8
	s_wait_dscnt 0x1
	v_pk_add_f32 v[18:19], v[14:15], v[24:25]
	ds_bpermute_b32 v13, v26, v9
	ds_bpermute_b32 v20, v26, v10
	;; [unrolled: 1-line block ×7, first 2 shown]
	s_wait_dscnt 0x6
	v_pk_add_f32 v[14:15], v[8:9], v[12:13]
	s_wait_dscnt 0x4
	v_pk_add_f32 v[12:13], v[10:11], v[20:21]
	;; [unrolled: 2-line block ×4, first 2 shown]
	s_cbranch_vccz .LBB17_28
; %bb.27:
	s_ashr_i32 s29, s28, 31
	v_dual_mov_b32 v16, 0 :: v_dual_max_num_f32 v17, v1, v1
	s_lshl_b64 s[4:5], s[28:29], 2
	v_dual_max_num_f32 v19, v3, v3 :: v_dual_max_num_f32 v20, v4, v4
	s_add_nc_u64 s[4:5], s[12:13], s[4:5]
	v_max_num_f32_e32 v18, v2, v2
	global_load_b128 v[24:27], v16, s[4:5]
	s_wait_xcnt 0x0
	v_dual_max_num_f32 v16, v0, v0 :: v_dual_max_num_f32 v21, v5, v5
	s_wait_loadcnt 0x0
	v_dual_max_num_f32 v22, v6, v6 :: v_dual_max_num_f32 v23, v24, v24
	v_dual_max_num_f32 v28, v25, v25 :: v_dual_max_num_f32 v29, v26, v26
	v_max_num_f32_e32 v30, v27, v27
	v_max_num_f32_e32 v31, v7, v7
	s_delay_alu instid0(VALU_DEP_3) | instskip(NEXT) | instid1(VALU_DEP_3)
	v_dual_max_num_f32 v16, v16, v23 :: v_dual_max_num_f32 v17, v17, v28
	v_dual_max_num_f32 v18, v18, v29 :: v_dual_max_num_f32 v19, v19, v30
	;; [unrolled: 1-line block ×3, first 2 shown]
	s_delay_alu instid0(VALU_DEP_4) | instskip(NEXT) | instid1(VALU_DEP_4)
	v_dual_max_num_f32 v22, v22, v29 :: v_dual_max_num_f32 v23, v31, v30
	v_sub_f32_e32 v0, v0, v16
	v_dual_sub_f32 v28, v24, v16 :: v_dual_sub_f32 v1, v1, v17
	v_dual_sub_f32 v29, v25, v17 :: v_dual_sub_f32 v30, v2, v18
	;; [unrolled: 1-line block ×5, first 2 shown]
	v_dual_sub_f32 v48, v27, v23 :: v_dual_mul_f32 v3, 0x3fb8aa3b, v28
	v_mul_f32_e32 v2, 0x3fb8aa3b, v0
	v_dual_sub_f32 v42, v24, v20 :: v_dual_sub_f32 v43, v5, v21
	v_dual_sub_f32 v46, v26, v22 :: v_dual_sub_f32 v47, v7, v23
	v_dual_mul_f32 v4, 0x3fb8aa3b, v1 :: v_dual_mul_f32 v7, 0x3fb8aa3b, v31
	v_dual_mul_f32 v5, 0x3fb8aa3b, v29 :: v_dual_mul_f32 v6, 0x3fb8aa3b, v30
	;; [unrolled: 1-line block ×4, first 2 shown]
	v_mul_f32_e32 v51, 0x3fb8aa3b, v45
	v_fma_f32 v55, 0x3fb8aa3b, v0, -v2
	v_rndne_f32_e32 v56, v2
	v_rndne_f32_e32 v58, v3
	v_mul_f32_e32 v54, 0x3fb8aa3b, v48
	v_dual_mul_f32 v26, 0x3fb8aa3b, v41 :: v_dual_mul_f32 v49, 0x3fb8aa3b, v43
	v_dual_mul_f32 v52, 0x3fb8aa3b, v46 :: v_dual_mul_f32 v53, 0x3fb8aa3b, v47
	v_fma_f32 v57, 0x3fb8aa3b, v28, -v3
	v_fma_f32 v75, 0x3fb8aa3b, v1, -v4
	;; [unrolled: 1-line block ×4, first 2 shown]
	v_rndne_f32_e32 v84, v24
	v_fma_f32 v85, 0x3fb8aa3b, v33, -v25
	v_fma_f32 v93, 0x3fb8aa3b, v44, -v50
	v_rndne_f32_e32 v94, v50
	v_fmac_f32_e32 v55, 0x32a5705f, v0
	v_dual_sub_f32 v2, v2, v56 :: v_dual_fmac_f32 v75, 0x32a5705f, v1
	v_sub_f32_e32 v3, v3, v58
	v_rndne_f32_e32 v102, v54
	v_rndne_f32_e32 v76, v4
	;; [unrolled: 1-line block ×3, first 2 shown]
	v_fma_f32 v91, 0x3fb8aa3b, v43, -v49
	v_rndne_f32_e32 v92, v49
	v_rndne_f32_e32 v98, v52
	v_fma_f32 v101, 0x3fb8aa3b, v48, -v54
	v_fmac_f32_e32 v57, 0x32a5705f, v28
	v_dual_fmac_f32 v79, 0x32a5705f, v30 :: v_dual_sub_f32 v24, v24, v84
	v_dual_fmac_f32 v83, 0x32a5705f, v32 :: v_dual_sub_f32 v54, v54, v102
	;; [unrolled: 1-line block ×3, first 2 shown]
	v_dual_fmac_f32 v85, 0x32a5705f, v33 :: v_dual_add_f32 v2, v2, v55
	v_fma_f32 v77, 0x3fb8aa3b, v29, -v5
	v_rndne_f32_e32 v78, v5
	v_fma_f32 v81, 0x3fb8aa3b, v31, -v7
	v_fma_f32 v87, 0x3fb8aa3b, v41, -v26
	v_rndne_f32_e32 v88, v26
	v_fma_f32 v97, 0x3fb8aa3b, v46, -v52
	v_dual_sub_f32 v4, v4, v76 :: v_dual_fmac_f32 v77, 0x32a5705f, v29
	v_dual_sub_f32 v7, v7, v82 :: v_dual_sub_f32 v49, v49, v92
	v_sub_f32_e32 v52, v52, v98
	v_add_f32_e32 v24, v24, v83
	v_dual_fmac_f32 v91, 0x32a5705f, v43 :: v_dual_add_f32 v50, v50, v93
	v_add_f32_e32 v3, v3, v57
	v_exp_f32_e32 v2, v2
	v_cvt_i32_f32_e32 v56, v56
	v_rndne_f32_e32 v80, v6
	v_rndne_f32_e32 v86, v25
	v_fma_f32 v95, 0x3fb8aa3b, v45, -v51
	v_rndne_f32_e32 v96, v51
	s_delay_alu instid0(VALU_DEP_4)
	v_dual_sub_f32 v5, v5, v78 :: v_dual_sub_f32 v6, v6, v80
	v_dual_fmac_f32 v81, 0x32a5705f, v31 :: v_dual_sub_f32 v26, v26, v88
	v_dual_fmac_f32 v87, 0x32a5705f, v41 :: v_dual_add_f32 v4, v4, v75
	v_add_f32_e32 v49, v49, v91
	v_exp_f32_e32 v3, v3
	v_cvt_i32_f32_e32 v58, v58
	v_ldexp_f32 v2, v2, v56
	v_cmp_ngt_f32_e32 vcc_lo, 0xc2ce8ed0, v0
	v_fma_f32 v89, 0x3fb8aa3b, v42, -v27
	v_dual_sub_f32 v25, v25, v86 :: v_dual_sub_f32 v51, v51, v96
	v_dual_fmac_f32 v95, 0x32a5705f, v45 :: v_dual_add_f32 v26, v26, v87
	v_add_f32_e32 v5, v5, v77
	v_exp_f32_e32 v4, v4
	v_rndne_f32_e32 v90, v27
	v_cvt_i32_f32_e32 v76, v76
	v_dual_fmac_f32 v101, 0x32a5705f, v48 :: v_dual_cndmask_b32 v2, 0, v2
	v_ldexp_f32 v3, v3, v58
	v_cmp_ngt_f32_e32 vcc_lo, 0xc2ce8ed0, v28
	v_fma_f32 v99, 0x3fb8aa3b, v47, -v53
	v_rndne_f32_e32 v100, v53
	v_dual_fmac_f32 v89, 0x32a5705f, v42 :: v_dual_add_f32 v6, v6, v79
	v_dual_fmac_f32 v97, 0x32a5705f, v46 :: v_dual_add_f32 v54, v54, v101
	v_add_f32_e32 v51, v51, v95
	v_exp_f32_e32 v5, v5
	v_cvt_i32_f32_e32 v78, v78
	v_dual_sub_f32 v27, v27, v90 :: v_dual_sub_f32 v53, v53, v100
	v_dual_add_f32 v25, v25, v85 :: v_dual_cndmask_b32 v3, 0, v3, vcc_lo
	v_ldexp_f32 v4, v4, v76
	v_cmp_ngt_f32_e32 vcc_lo, 0xc2ce8ed0, v1
	v_dual_fmac_f32 v99, 0x32a5705f, v47 :: v_dual_add_f32 v52, v52, v97
	v_add_f32_e32 v7, v7, v81
	v_exp_f32_e32 v6, v6
	v_cvt_i32_f32_e32 v80, v80
	v_dual_add_f32 v27, v27, v89 :: v_dual_cndmask_b32 v4, 0, v4
	v_ldexp_f32 v5, v5, v78
	v_cmp_ngt_f32_e32 vcc_lo, 0xc2ce8ed0, v29
	v_add_f32_e32 v53, v53, v99
	v_exp_f32_e32 v7, v7
	v_cvt_i32_f32_e32 v82, v82
	v_ldexp_f32 v6, v6, v80
	v_cndmask_b32_e32 v5, 0, v5, vcc_lo
	v_cmp_ngt_f32_e32 vcc_lo, 0xc2ce8ed0, v30
	v_exp_f32_e32 v24, v24
	v_cvt_i32_f32_e32 v84, v84
	v_ldexp_f32 v7, v7, v82
	v_exp_f32_e32 v25, v25
	v_cndmask_b32_e32 v6, 0, v6, vcc_lo
	v_cmp_ngt_f32_e32 vcc_lo, 0xc2ce8ed0, v31
	v_cvt_i32_f32_e32 v86, v86
	v_ldexp_f32 v24, v24, v84
	v_exp_f32_e32 v26, v26
	v_cvt_i32_f32_e32 v88, v88
	v_cndmask_b32_e32 v7, 0, v7, vcc_lo
	v_cmp_ngt_f32_e32 vcc_lo, 0xc2ce8ed0, v32
	v_ldexp_f32 v25, v25, v86
	v_exp_f32_e32 v27, v27
	v_cvt_i32_f32_e32 v90, v90
	v_ldexp_f32 v26, v26, v88
	v_cndmask_b32_e32 v24, 0, v24, vcc_lo
	v_cmp_ngt_f32_e32 vcc_lo, 0xc2ce8ed0, v33
	v_exp_f32_e32 v49, v49
	v_cvt_i32_f32_e32 v92, v92
	v_ldexp_f32 v27, v27, v90
	v_exp_f32_e32 v50, v50
	v_cndmask_b32_e32 v25, 0, v25, vcc_lo
	v_cmp_ngt_f32_e32 vcc_lo, 0xc2ce8ed0, v41
	v_cvt_i32_f32_e32 v94, v94
	v_ldexp_f32 v49, v49, v92
	v_exp_f32_e32 v51, v51
	v_cvt_i32_f32_e32 v96, v96
	v_cndmask_b32_e32 v26, 0, v26, vcc_lo
	v_cmp_ngt_f32_e32 vcc_lo, 0xc2ce8ed0, v42
	v_ldexp_f32 v50, v50, v94
	v_exp_f32_e32 v52, v52
	v_cvt_i32_f32_e32 v98, v98
	v_ldexp_f32 v51, v51, v96
	v_cndmask_b32_e32 v27, 0, v27, vcc_lo
	v_cmp_ngt_f32_e32 vcc_lo, 0xc2ce8ed0, v43
	v_exp_f32_e32 v53, v53
	v_cvt_i32_f32_e32 v100, v100
	v_ldexp_f32 v52, v52, v98
	v_exp_f32_e32 v54, v54
	v_cndmask_b32_e32 v49, 0, v49, vcc_lo
	v_cmp_ngt_f32_e32 vcc_lo, 0xc2ce8ed0, v44
	v_cvt_i32_f32_e32 v102, v102
	v_ldexp_f32 v53, v53, v100
	v_cndmask_b32_e32 v50, 0, v50, vcc_lo
	v_cmp_ngt_f32_e32 vcc_lo, 0xc2ce8ed0, v45
	s_delay_alu instid0(VALU_DEP_4)
	v_ldexp_f32 v54, v54, v102
	v_cndmask_b32_e32 v51, 0, v51, vcc_lo
	v_cmp_ngt_f32_e32 vcc_lo, 0xc2ce8ed0, v46
	v_cndmask_b32_e32 v52, 0, v52, vcc_lo
	v_cmp_ngt_f32_e32 vcc_lo, 0xc2ce8ed0, v47
	;; [unrolled: 2-line block ×3, first 2 shown]
	v_cndmask_b32_e32 v54, 0, v54, vcc_lo
	v_cmp_nlt_f32_e32 vcc_lo, 0x42b17218, v0
	v_cndmask_b32_e32 v0, 0x7f800000, v2, vcc_lo
	v_cmp_nlt_f32_e32 vcc_lo, 0x42b17218, v28
	;; [unrolled: 2-line block ×5, first 2 shown]
	s_delay_alu instid0(VALU_DEP_2)
	v_pk_fma_f32 v[14:15], v[14:15], v[0:1], v[2:3]
	v_cndmask_b32_e32 v4, 0x7f800000, v6, vcc_lo
	v_cmp_nlt_f32_e32 vcc_lo, 0x42b17218, v31
	v_cndmask_b32_e32 v6, 0x7f800000, v7, vcc_lo
	v_cmp_nlt_f32_e32 vcc_lo, 0x42b17218, v32
	v_cvt_f16_f32_e32 v32, v0
	v_cndmask_b32_e32 v5, 0x7f800000, v24, vcc_lo
	v_cmp_nlt_f32_e32 vcc_lo, 0x42b17218, v33
	v_cvt_f16_f32_e32 v33, v1
	s_delay_alu instid0(VALU_DEP_4)
	v_and_b32_e32 v0, 0xffff, v32
	v_cndmask_b32_e32 v7, 0x7f800000, v25, vcc_lo
	v_cmp_nlt_f32_e32 vcc_lo, 0x42b17218, v41
	v_cvt_f16_f32_e32 v41, v4
	v_and_b32_e32 v1, 0xffff, v33
	v_mul_u32_u24_e32 v0, 0x10001, v0
	v_pk_fma_f32 v[12:13], v[12:13], v[4:5], v[6:7]
	v_cndmask_b32_e32 v24, 0x7f800000, v26, vcc_lo
	v_cmp_nlt_f32_e32 vcc_lo, 0x42b17218, v42
	v_cvt_f16_f32_e32 v42, v5
	v_and_b32_e32 v2, 0xffff, v41
	v_mul_u32_u24_e32 v1, 0x10001, v1
	v_pk_mul_f16 v73, v73, v0
	v_cndmask_b32_e32 v26, 0x7f800000, v27, vcc_lo
	v_cmp_nlt_f32_e32 vcc_lo, 0x42b17218, v43
	v_cvt_f16_f32_e32 v43, v24
	v_and_b32_e32 v3, 0xffff, v42
	v_mul_u32_u24_e32 v2, 0x10001, v2
	v_pk_mul_f16 v74, v74, v0
	v_cndmask_b32_e32 v25, 0x7f800000, v49, vcc_lo
	v_cmp_nlt_f32_e32 vcc_lo, 0x42b17218, v44
	v_and_b32_e32 v4, 0xffff, v43
	v_mul_u32_u24_e32 v3, 0x10001, v3
	v_pk_mul_f16 v71, v71, v1
	v_cvt_f16_f32_e32 v44, v25
	v_cndmask_b32_e32 v27, 0x7f800000, v50, vcc_lo
	v_cmp_nlt_f32_e32 vcc_lo, 0x42b17218, v45
	v_mul_u32_u24_e32 v4, 0x10001, v4
	v_pk_mul_f16 v72, v72, v1
	v_and_b32_e32 v5, 0xffff, v44
	v_pk_mul_f16 v69, v69, v2
	v_cndmask_b32_e32 v28, 0x7f800000, v51, vcc_lo
	v_cmp_nlt_f32_e32 vcc_lo, 0x42b17218, v46
	v_pk_mul_f16 v70, v70, v2
	v_mul_u32_u24_e32 v5, 0x10001, v5
	v_pk_mul_f16 v68, v68, v3
	v_cvt_f16_f32_e32 v45, v28
	v_cndmask_b32_e32 v30, 0x7f800000, v52, vcc_lo
	v_cmp_nlt_f32_e32 vcc_lo, 0x42b17218, v47
	v_pk_mul_f16 v67, v67, v3
	v_pk_mul_f16 v65, v65, v4
	v_and_b32_e32 v6, 0xffff, v45
	v_pk_mul_f16 v66, v66, v4
	v_cndmask_b32_e32 v29, 0x7f800000, v53, vcc_lo
	v_cmp_nlt_f32_e32 vcc_lo, 0x42b17218, v48
	v_pk_mul_f16 v63, v63, v5
	v_mul_u32_u24_e32 v6, 0x10001, v6
	v_pk_mul_f16 v64, v64, v5
	v_cvt_f16_f32_e32 v46, v29
	v_cndmask_b32_e32 v31, 0x7f800000, v54, vcc_lo
	v_pk_fma_f32 v[10:11], v[10:11], v[24:25], v[26:27]
	v_pk_mul_f16 v61, v61, v6
	v_pk_mul_f16 v62, v62, v6
	v_and_b32_e32 v7, 0xffff, v46
	v_pk_fma_f32 v[8:9], v[8:9], v[28:29], v[30:31]
	s_delay_alu instid0(VALU_DEP_2) | instskip(NEXT) | instid1(VALU_DEP_1)
	v_mul_u32_u24_e32 v7, 0x10001, v7
	v_pk_mul_f16 v59, v59, v7
	v_pk_mul_f16 v60, v60, v7
	v_mov_b64_e32 v[0:1], v[16:17]
	v_mov_b64_e32 v[2:3], v[18:19]
	v_mov_b64_e32 v[4:5], v[20:21]
	v_mov_b64_e32 v[6:7], v[22:23]
.LBB17_28:
	v_lshlrev_b32_e32 v17, 1, v40
	s_mov_b32 s3, exec_lo
	s_delay_alu instid0(VALU_DEP_1) | instskip(NEXT) | instid1(VALU_DEP_1)
	v_add_nc_u32_e32 v16, s33, v17
	v_cmpx_gt_i32_e64 s22, v16
	s_cbranch_execz .LBB17_81
; %bb.29:
	s_load_b32 s0, s[0:1], 0xd4
	v_mov_b32_e32 v16, 1.0
	s_wait_kmcnt 0x0
	s_cmp_lg_u32 s0, 1
	s_cselect_b32 s3, -1, 0
	s_cmp_eq_u32 s0, 1
	s_cselect_b32 s4, -1, 0
	s_and_b32 vcc_lo, exec_lo, s3
	s_cbranch_vccnz .LBB17_31
; %bb.30:
	v_div_scale_f32 v16, null, v14, v14, 1.0
	s_delay_alu instid0(VALU_DEP_1) | instskip(SKIP_1) | instid1(TRANS32_DEP_1)
	v_rcp_f32_e32 v18, v16
	v_nop
	v_fma_f32 v19, -v16, v18, 1.0
	s_delay_alu instid0(VALU_DEP_1) | instskip(SKIP_1) | instid1(VALU_DEP_1)
	v_fmac_f32_e32 v18, v19, v18
	v_div_scale_f32 v19, vcc_lo, 1.0, v14, 1.0
	v_mul_f32_e32 v20, v19, v18
	s_delay_alu instid0(VALU_DEP_1) | instskip(NEXT) | instid1(VALU_DEP_1)
	v_fma_f32 v21, -v16, v20, v19
	v_fmac_f32_e32 v20, v21, v18
	s_delay_alu instid0(VALU_DEP_1) | instskip(NEXT) | instid1(VALU_DEP_1)
	v_fma_f32 v16, -v16, v20, v19
	v_div_fmas_f32 v16, v16, v18, v20
	s_delay_alu instid0(VALU_DEP_1)
	v_div_fixup_f32 v16, v16, v14, 1.0
.LBB17_31:
	s_mul_i32 s1, s30, s22
	s_delay_alu instid0(SALU_CYCLE_1) | instskip(NEXT) | instid1(SALU_CYCLE_1)
	s_add_co_i32 s1, s1, s33
	v_add_nc_u32_e32 v17, s1, v17
	s_delay_alu instid0(VALU_DEP_1) | instskip(NEXT) | instid1(VALU_DEP_1)
	v_mul_lo_u32 v17, v17, s23
	v_add_nc_u32_e32 v18, s28, v17
	s_delay_alu instid0(VALU_DEP_1)
	v_mad_u32 v18, s0, v18, s35
	s_and_saveexec_b32 s5, s2
	s_cbranch_execz .LBB17_33
; %bb.32:
	s_delay_alu instid0(VALU_DEP_1) | instskip(SKIP_4) | instid1(VALU_DEP_4)
	v_mad_u32 v22, 0x48, v18, v34
	v_dual_lshrrev_b32 v19, 16, v73 :: v_dual_lshrrev_b32 v25, 16, v74
	v_mov_b32_e32 v23, 0
	v_cvt_f32_f16_e32 v20, v73
	v_cvt_f32_f16_e32 v24, v74
	;; [unrolled: 1-line block ×4, first 2 shown]
	s_delay_alu instid0(VALU_DEP_2) | instskip(SKIP_1) | instid1(VALU_DEP_3)
	v_pk_mul_f32 v[20:21], v[16:17], v[20:21] op_sel_hi:[0,1]
	v_lshl_add_u64 v[26:27], v[22:23], 2, s[16:17]
	v_pk_mul_f32 v[22:23], v[16:17], v[24:25] op_sel_hi:[0,1]
	global_store_b128 v[26:27], v[20:23], off
.LBB17_33:
	s_wait_xcnt 0x0
	s_or_b32 exec_lo, exec_lo, s5
	v_cmp_eq_u32_e32 vcc_lo, 0, v39
	s_and_b32 s3, vcc_lo, s3
	s_delay_alu instid0(SALU_CYCLE_1)
	s_and_saveexec_b32 s5, s3
	s_cbranch_execz .LBB17_35
; %bb.34:
	v_dual_mov_b32 v20, v0 :: v_dual_mov_b32 v21, v14
	global_store_b64 v18, v[20:21], s[18:19] scale_offset
.LBB17_35:
	s_wait_xcnt 0x0
	s_or_b32 exec_lo, exec_lo, s5
	v_cndmask_b32_e64 v16, 0, 1, s4
	v_mov_b32_e32 v0, 1.0
	s_and_not1_b32 vcc_lo, exec_lo, s4
	s_cbranch_vccnz .LBB17_37
; %bb.36:
	v_div_scale_f32 v0, null, v15, v15, 1.0
	s_delay_alu instid0(VALU_DEP_1) | instskip(SKIP_1) | instid1(TRANS32_DEP_1)
	v_rcp_f32_e32 v14, v0
	v_nop
	v_fma_f32 v18, -v0, v14, 1.0
	s_delay_alu instid0(VALU_DEP_1) | instskip(SKIP_1) | instid1(VALU_DEP_1)
	v_fmac_f32_e32 v14, v18, v14
	v_div_scale_f32 v18, vcc_lo, 1.0, v15, 1.0
	v_mul_f32_e32 v19, v18, v14
	s_delay_alu instid0(VALU_DEP_1) | instskip(NEXT) | instid1(VALU_DEP_1)
	v_fma_f32 v20, -v0, v19, v18
	v_fmac_f32_e32 v19, v20, v14
	s_delay_alu instid0(VALU_DEP_1) | instskip(NEXT) | instid1(VALU_DEP_1)
	v_fma_f32 v0, -v0, v19, v18
	v_div_fmas_f32 v0, v0, v14, v19
	s_delay_alu instid0(VALU_DEP_1)
	v_div_fixup_f32 v0, v0, v15, 1.0
.LBB17_37:
	s_add_co_i32 s6, s28, 1
	s_delay_alu instid0(SALU_CYCLE_1) | instskip(NEXT) | instid1(VALU_DEP_1)
	v_add_nc_u32_e32 v14, s6, v17
	v_mad_u32 v18, s0, v14, s35
	s_and_saveexec_b32 s4, s2
	s_cbranch_execz .LBB17_39
; %bb.38:
	s_delay_alu instid0(VALU_DEP_1) | instskip(SKIP_4) | instid1(VALU_DEP_4)
	v_mad_u32 v22, 0x48, v18, v34
	v_dual_lshrrev_b32 v14, 16, v71 :: v_dual_lshrrev_b32 v19, 16, v72
	v_mov_b32_e32 v23, 0
	v_cvt_f32_f16_e32 v20, v71
	v_cvt_f32_f16_e32 v24, v72
	;; [unrolled: 1-line block ×4, first 2 shown]
	s_delay_alu instid0(VALU_DEP_2) | instskip(SKIP_1) | instid1(VALU_DEP_3)
	v_pk_mul_f32 v[20:21], v[0:1], v[20:21] op_sel_hi:[0,1]
	v_lshl_add_u64 v[26:27], v[22:23], 2, s[16:17]
	v_pk_mul_f32 v[22:23], v[0:1], v[24:25] op_sel_hi:[0,1]
	global_store_b128 v[26:27], v[20:23], off
.LBB17_39:
	s_wait_xcnt 0x0
	s_or_b32 exec_lo, exec_lo, s4
	s_and_saveexec_b32 s4, s3
	s_cbranch_execz .LBB17_41
; %bb.40:
	v_mov_b32_e32 v14, v1
	global_store_b64 v18, v[14:15], s[18:19] scale_offset
.LBB17_41:
	s_wait_xcnt 0x0
	s_or_b32 exec_lo, exec_lo, s4
	v_cmp_ne_u32_e32 vcc_lo, 1, v16
	v_mov_b32_e32 v0, 1.0
	s_cbranch_vccnz .LBB17_43
; %bb.42:
	v_div_scale_f32 v0, null, v12, v12, 1.0
	s_delay_alu instid0(VALU_DEP_1) | instskip(SKIP_1) | instid1(TRANS32_DEP_1)
	v_rcp_f32_e32 v1, v0
	v_nop
	v_fma_f32 v14, -v0, v1, 1.0
	s_delay_alu instid0(VALU_DEP_1) | instskip(SKIP_1) | instid1(VALU_DEP_1)
	v_fmac_f32_e32 v1, v14, v1
	v_div_scale_f32 v14, vcc_lo, 1.0, v12, 1.0
	v_mul_f32_e32 v15, v14, v1
	s_delay_alu instid0(VALU_DEP_1) | instskip(NEXT) | instid1(VALU_DEP_1)
	v_fma_f32 v18, -v0, v15, v14
	v_fmac_f32_e32 v15, v18, v1
	s_delay_alu instid0(VALU_DEP_1) | instskip(NEXT) | instid1(VALU_DEP_1)
	v_fma_f32 v0, -v0, v15, v14
	v_div_fmas_f32 v0, v0, v1, v15
	s_delay_alu instid0(VALU_DEP_1)
	v_div_fixup_f32 v0, v0, v12, 1.0
.LBB17_43:
	s_add_co_i32 s5, s28, 2
	s_delay_alu instid0(SALU_CYCLE_1) | instskip(NEXT) | instid1(VALU_DEP_1)
	v_add_nc_u32_e32 v1, s5, v17
	v_mad_u32 v1, s0, v1, s35
	s_and_saveexec_b32 s4, s2
	s_cbranch_execz .LBB17_45
; %bb.44:
	s_delay_alu instid0(VALU_DEP_1) | instskip(SKIP_4) | instid1(VALU_DEP_4)
	v_mad_u32 v14, 0x48, v1, v34
	v_dual_lshrrev_b32 v19, 16, v69 :: v_dual_lshrrev_b32 v21, 16, v70
	v_mov_b32_e32 v15, 0
	v_cvt_f32_f16_e32 v18, v69
	v_cvt_f32_f16_e32 v20, v70
	;; [unrolled: 1-line block ×4, first 2 shown]
	s_delay_alu instid0(VALU_DEP_2) | instskip(SKIP_1) | instid1(VALU_DEP_3)
	v_pk_mul_f32 v[18:19], v[0:1], v[18:19] op_sel_hi:[0,1]
	v_lshl_add_u64 v[14:15], v[14:15], 2, s[16:17]
	v_pk_mul_f32 v[20:21], v[0:1], v[20:21] op_sel_hi:[0,1]
	global_store_b128 v[14:15], v[18:21], off
.LBB17_45:
	s_wait_xcnt 0x0
	s_or_b32 exec_lo, exec_lo, s4
	s_and_saveexec_b32 s4, s3
	s_cbranch_execz .LBB17_47
; %bb.46:
	v_dual_mov_b32 v14, v2 :: v_dual_mov_b32 v15, v12
	global_store_b64 v1, v[14:15], s[18:19] scale_offset
.LBB17_47:
	s_wait_xcnt 0x0
	s_or_b32 exec_lo, exec_lo, s4
	v_cmp_ne_u32_e32 vcc_lo, 1, v16
	v_mov_b32_e32 v0, 1.0
	s_cbranch_vccnz .LBB17_49
; %bb.48:
	v_div_scale_f32 v0, null, v13, v13, 1.0
	s_delay_alu instid0(VALU_DEP_1) | instskip(SKIP_1) | instid1(TRANS32_DEP_1)
	v_rcp_f32_e32 v1, v0
	v_nop
	v_fma_f32 v2, -v0, v1, 1.0
	s_delay_alu instid0(VALU_DEP_1) | instskip(SKIP_1) | instid1(VALU_DEP_1)
	v_fmac_f32_e32 v1, v2, v1
	v_div_scale_f32 v2, vcc_lo, 1.0, v13, 1.0
	v_mul_f32_e32 v12, v2, v1
	s_delay_alu instid0(VALU_DEP_1) | instskip(NEXT) | instid1(VALU_DEP_1)
	v_fma_f32 v14, -v0, v12, v2
	v_fmac_f32_e32 v12, v14, v1
	s_delay_alu instid0(VALU_DEP_1) | instskip(NEXT) | instid1(VALU_DEP_1)
	v_fma_f32 v0, -v0, v12, v2
	v_div_fmas_f32 v0, v0, v1, v12
	s_delay_alu instid0(VALU_DEP_1)
	v_div_fixup_f32 v0, v0, v13, 1.0
.LBB17_49:
	s_add_co_i32 s4, s28, 3
	s_delay_alu instid0(SALU_CYCLE_1) | instskip(NEXT) | instid1(VALU_DEP_1)
	v_add_nc_u32_e32 v1, s4, v17
	v_mad_u32 v1, s0, v1, s35
	s_and_saveexec_b32 s7, s2
	s_cbranch_execz .LBB17_51
; %bb.50:
	s_delay_alu instid0(VALU_DEP_1) | instskip(SKIP_4) | instid1(VALU_DEP_4)
	v_mad_u32 v14, 0x48, v1, v34
	v_dual_lshrrev_b32 v2, 16, v68 :: v_dual_lshrrev_b32 v12, 16, v67
	v_mov_b32_e32 v15, 0
	v_cvt_f32_f16_e32 v18, v68
	v_cvt_f32_f16_e32 v20, v67
	;; [unrolled: 1-line block ×4, first 2 shown]
	s_delay_alu instid0(VALU_DEP_2) | instskip(SKIP_1) | instid1(VALU_DEP_3)
	v_pk_mul_f32 v[18:19], v[0:1], v[18:19] op_sel_hi:[0,1]
	v_lshl_add_u64 v[14:15], v[14:15], 2, s[16:17]
	v_pk_mul_f32 v[20:21], v[0:1], v[20:21] op_sel_hi:[0,1]
	global_store_b128 v[14:15], v[18:21], off
.LBB17_51:
	s_wait_xcnt 0x0
	s_or_b32 exec_lo, exec_lo, s7
	s_and_saveexec_b32 s7, s3
	s_cbranch_execz .LBB17_53
; %bb.52:
	v_mov_b32_e32 v12, v3
	global_store_b64 v1, v[12:13], s[18:19] scale_offset
.LBB17_53:
	s_wait_xcnt 0x0
	s_or_b32 exec_lo, exec_lo, s7
	v_add_nc_u32_e32 v0, s33, v38
	s_delay_alu instid0(VALU_DEP_1)
	v_cmp_gt_i32_e32 vcc_lo, s22, v0
	s_and_b32 exec_lo, exec_lo, vcc_lo
	s_cbranch_execz .LBB17_81
; %bb.54:
	v_cmp_ne_u32_e32 vcc_lo, 1, v16
	v_mov_b32_e32 v0, 1.0
	s_cbranch_vccnz .LBB17_56
; %bb.55:
	v_div_scale_f32 v0, null, v10, v10, 1.0
	s_delay_alu instid0(VALU_DEP_1) | instskip(SKIP_1) | instid1(TRANS32_DEP_1)
	v_rcp_f32_e32 v1, v0
	v_nop
	v_fma_f32 v2, -v0, v1, 1.0
	s_delay_alu instid0(VALU_DEP_1) | instskip(SKIP_1) | instid1(VALU_DEP_1)
	v_fmac_f32_e32 v1, v2, v1
	v_div_scale_f32 v2, vcc_lo, 1.0, v10, 1.0
	v_mul_f32_e32 v3, v2, v1
	s_delay_alu instid0(VALU_DEP_1) | instskip(NEXT) | instid1(VALU_DEP_1)
	v_fma_f32 v12, -v0, v3, v2
	v_fmac_f32_e32 v3, v12, v1
	s_delay_alu instid0(VALU_DEP_1) | instskip(NEXT) | instid1(VALU_DEP_1)
	v_fma_f32 v0, -v0, v3, v2
	v_div_fmas_f32 v0, v0, v1, v3
	s_delay_alu instid0(VALU_DEP_1)
	v_div_fixup_f32 v0, v0, v10, 1.0
.LBB17_56:
	v_add_nc_u32_e32 v1, s1, v38
	s_delay_alu instid0(VALU_DEP_1) | instskip(NEXT) | instid1(VALU_DEP_1)
	v_mad_u32 v1, v1, s23, s28
	v_mad_u32 v1, s0, v1, s35
	s_and_saveexec_b32 s7, s2
	s_cbranch_execz .LBB17_58
; %bb.57:
	s_delay_alu instid0(VALU_DEP_1) | instskip(SKIP_4) | instid1(VALU_DEP_4)
	v_mad_u32 v2, 0x48, v1, v34
	v_dual_lshrrev_b32 v13, 16, v65 :: v_dual_lshrrev_b32 v15, 16, v66
	v_mov_b32_e32 v3, 0
	v_cvt_f32_f16_e32 v12, v65
	v_cvt_f32_f16_e32 v14, v66
	;; [unrolled: 1-line block ×4, first 2 shown]
	s_delay_alu instid0(VALU_DEP_2) | instskip(SKIP_1) | instid1(VALU_DEP_3)
	v_pk_mul_f32 v[12:13], v[0:1], v[12:13] op_sel_hi:[0,1]
	v_lshl_add_u64 v[2:3], v[2:3], 2, s[16:17]
	v_pk_mul_f32 v[14:15], v[0:1], v[14:15] op_sel_hi:[0,1]
	global_store_b128 v[2:3], v[12:15], off
.LBB17_58:
	s_wait_xcnt 0x0
	s_or_b32 exec_lo, exec_lo, s7
	s_and_saveexec_b32 s7, s3
	s_cbranch_execz .LBB17_60
; %bb.59:
	v_dual_mov_b32 v2, v4 :: v_dual_mov_b32 v3, v10
	global_store_b64 v1, v[2:3], s[18:19] scale_offset
.LBB17_60:
	s_wait_xcnt 0x0
	s_or_b32 exec_lo, exec_lo, s7
	v_lshrrev_b32_e32 v1, 2, v37
	s_delay_alu instid0(VALU_DEP_1) | instskip(NEXT) | instid1(VALU_DEP_1)
	v_add_nc_u32_e32 v0, s33, v1
	v_cmp_gt_i32_e32 vcc_lo, s22, v0
	s_and_b32 exec_lo, exec_lo, vcc_lo
	s_cbranch_execz .LBB17_81
; %bb.61:
	v_cmp_ne_u32_e32 vcc_lo, 1, v16
	v_mov_b32_e32 v0, 1.0
	s_cbranch_vccnz .LBB17_63
; %bb.62:
	v_div_scale_f32 v0, null, v11, v11, 1.0
	s_delay_alu instid0(VALU_DEP_1) | instskip(SKIP_1) | instid1(TRANS32_DEP_1)
	v_rcp_f32_e32 v2, v0
	v_nop
	v_fma_f32 v3, -v0, v2, 1.0
	s_delay_alu instid0(VALU_DEP_1) | instskip(SKIP_1) | instid1(VALU_DEP_1)
	v_fmac_f32_e32 v2, v3, v2
	v_div_scale_f32 v3, vcc_lo, 1.0, v11, 1.0
	v_mul_f32_e32 v4, v3, v2
	s_delay_alu instid0(VALU_DEP_1) | instskip(NEXT) | instid1(VALU_DEP_1)
	v_fma_f32 v10, -v0, v4, v3
	v_fmac_f32_e32 v4, v10, v2
	s_delay_alu instid0(VALU_DEP_1) | instskip(NEXT) | instid1(VALU_DEP_1)
	v_fma_f32 v0, -v0, v4, v3
	v_div_fmas_f32 v0, v0, v2, v4
	s_delay_alu instid0(VALU_DEP_1)
	v_div_fixup_f32 v0, v0, v11, 1.0
.LBB17_63:
	v_add_nc_u32_e32 v1, s1, v1
	s_delay_alu instid0(VALU_DEP_1) | instskip(NEXT) | instid1(VALU_DEP_1)
	v_mad_u32 v1, v1, s23, s6
	v_mad_u32 v1, s0, v1, s35
	s_and_saveexec_b32 s6, s2
	s_cbranch_execz .LBB17_65
; %bb.64:
	s_delay_alu instid0(VALU_DEP_1) | instskip(SKIP_4) | instid1(VALU_DEP_4)
	v_mad_u32 v2, 0x48, v1, v34
	v_dual_lshrrev_b32 v4, 16, v63 :: v_dual_lshrrev_b32 v10, 16, v64
	v_mov_b32_e32 v3, 0
	v_cvt_f32_f16_e32 v12, v63
	v_cvt_f32_f16_e32 v14, v64
	;; [unrolled: 1-line block ×4, first 2 shown]
	s_delay_alu instid0(VALU_DEP_2) | instskip(SKIP_1) | instid1(VALU_DEP_3)
	v_pk_mul_f32 v[12:13], v[0:1], v[12:13] op_sel_hi:[0,1]
	v_lshl_add_u64 v[2:3], v[2:3], 2, s[16:17]
	v_pk_mul_f32 v[14:15], v[0:1], v[14:15] op_sel_hi:[0,1]
	global_store_b128 v[2:3], v[12:15], off
.LBB17_65:
	s_wait_xcnt 0x0
	s_or_b32 exec_lo, exec_lo, s6
	s_and_saveexec_b32 s6, s3
	s_cbranch_execz .LBB17_67
; %bb.66:
	v_mov_b32_e32 v10, v5
	global_store_b64 v1, v[10:11], s[18:19] scale_offset
.LBB17_67:
	s_wait_xcnt 0x0
	s_or_b32 exec_lo, exec_lo, s6
	v_lshrrev_b32_e32 v1, 2, v36
	s_delay_alu instid0(VALU_DEP_1) | instskip(NEXT) | instid1(VALU_DEP_1)
	v_add_nc_u32_e32 v0, s33, v1
	v_cmp_gt_i32_e32 vcc_lo, s22, v0
	s_and_b32 exec_lo, exec_lo, vcc_lo
	s_cbranch_execz .LBB17_81
; %bb.68:
	v_cmp_ne_u32_e32 vcc_lo, 1, v16
	v_mov_b32_e32 v0, 1.0
	s_cbranch_vccnz .LBB17_70
; %bb.69:
	v_div_scale_f32 v0, null, v8, v8, 1.0
	s_delay_alu instid0(VALU_DEP_1) | instskip(SKIP_1) | instid1(TRANS32_DEP_1)
	v_rcp_f32_e32 v2, v0
	v_nop
	v_fma_f32 v3, -v0, v2, 1.0
	s_delay_alu instid0(VALU_DEP_1) | instskip(SKIP_1) | instid1(VALU_DEP_1)
	v_fmac_f32_e32 v2, v3, v2
	v_div_scale_f32 v3, vcc_lo, 1.0, v8, 1.0
	v_mul_f32_e32 v4, v3, v2
	s_delay_alu instid0(VALU_DEP_1) | instskip(NEXT) | instid1(VALU_DEP_1)
	v_fma_f32 v5, -v0, v4, v3
	v_fmac_f32_e32 v4, v5, v2
	s_delay_alu instid0(VALU_DEP_1) | instskip(NEXT) | instid1(VALU_DEP_1)
	v_fma_f32 v0, -v0, v4, v3
	v_div_fmas_f32 v0, v0, v2, v4
	s_delay_alu instid0(VALU_DEP_1)
	v_div_fixup_f32 v0, v0, v8, 1.0
.LBB17_70:
	v_add_nc_u32_e32 v1, s1, v1
	s_delay_alu instid0(VALU_DEP_1) | instskip(NEXT) | instid1(VALU_DEP_1)
	v_mad_u32 v1, v1, s23, s5
	v_mad_u32 v1, s0, v1, s35
	s_and_saveexec_b32 s5, s2
	s_cbranch_execz .LBB17_72
; %bb.71:
	s_delay_alu instid0(VALU_DEP_1) | instskip(SKIP_4) | instid1(VALU_DEP_4)
	v_mad_u32 v4, 0x48, v1, v34
	v_dual_lshrrev_b32 v3, 16, v61 :: v_dual_lshrrev_b32 v11, 16, v62
	v_mov_b32_e32 v5, 0
	v_cvt_f32_f16_e32 v2, v61
	v_cvt_f32_f16_e32 v10, v62
	;; [unrolled: 1-line block ×4, first 2 shown]
	s_delay_alu instid0(VALU_DEP_2) | instskip(SKIP_1) | instid1(VALU_DEP_3)
	v_pk_mul_f32 v[2:3], v[0:1], v[2:3] op_sel_hi:[0,1]
	v_lshl_add_u64 v[12:13], v[4:5], 2, s[16:17]
	v_pk_mul_f32 v[4:5], v[0:1], v[10:11] op_sel_hi:[0,1]
	global_store_b128 v[12:13], v[2:5], off
.LBB17_72:
	s_wait_xcnt 0x0
	s_or_b32 exec_lo, exec_lo, s5
	s_and_saveexec_b32 s5, s3
	s_cbranch_execz .LBB17_74
; %bb.73:
	v_dual_mov_b32 v2, v6 :: v_dual_mov_b32 v3, v8
	global_store_b64 v1, v[2:3], s[18:19] scale_offset
.LBB17_74:
	s_wait_xcnt 0x0
	s_or_b32 exec_lo, exec_lo, s5
	v_lshrrev_b32_e32 v1, 2, v35
	s_delay_alu instid0(VALU_DEP_1) | instskip(NEXT) | instid1(VALU_DEP_1)
	v_add_nc_u32_e32 v0, s33, v1
	v_cmp_gt_i32_e32 vcc_lo, s22, v0
	s_and_b32 exec_lo, exec_lo, vcc_lo
	s_cbranch_execz .LBB17_81
; %bb.75:
	v_cmp_ne_u32_e32 vcc_lo, 1, v16
	v_mov_b32_e32 v0, 1.0
	s_cbranch_vccnz .LBB17_77
; %bb.76:
	v_div_scale_f32 v0, null, v9, v9, 1.0
	s_delay_alu instid0(VALU_DEP_1) | instskip(SKIP_1) | instid1(TRANS32_DEP_1)
	v_rcp_f32_e32 v2, v0
	v_nop
	v_fma_f32 v3, -v0, v2, 1.0
	s_delay_alu instid0(VALU_DEP_1) | instskip(SKIP_1) | instid1(VALU_DEP_1)
	v_fmac_f32_e32 v2, v3, v2
	v_div_scale_f32 v3, vcc_lo, 1.0, v9, 1.0
	v_mul_f32_e32 v4, v3, v2
	s_delay_alu instid0(VALU_DEP_1) | instskip(NEXT) | instid1(VALU_DEP_1)
	v_fma_f32 v5, -v0, v4, v3
	v_fmac_f32_e32 v4, v5, v2
	s_delay_alu instid0(VALU_DEP_1) | instskip(NEXT) | instid1(VALU_DEP_1)
	v_fma_f32 v0, -v0, v4, v3
	v_div_fmas_f32 v0, v0, v2, v4
	s_delay_alu instid0(VALU_DEP_1)
	v_div_fixup_f32 v0, v0, v9, 1.0
.LBB17_77:
	v_add_nc_u32_e32 v1, s1, v1
	s_delay_alu instid0(VALU_DEP_1) | instskip(NEXT) | instid1(VALU_DEP_1)
	v_mad_u32 v1, v1, s23, s4
	v_mad_u32 v1, s0, v1, s35
	s_and_saveexec_b32 s0, s2
	s_cbranch_execz .LBB17_79
; %bb.78:
	s_delay_alu instid0(VALU_DEP_1) | instskip(SKIP_4) | instid1(VALU_DEP_4)
	v_mad_u32 v4, 0x48, v1, v34
	v_dual_lshrrev_b32 v3, 16, v59 :: v_dual_lshrrev_b32 v6, 16, v60
	v_mov_b32_e32 v5, 0
	v_cvt_f32_f16_e32 v2, v59
	v_cvt_f32_f16_e32 v10, v60
	v_cvt_f32_f16_e32 v3, v3
	v_cvt_f32_f16_e32 v11, v6
	s_delay_alu instid0(VALU_DEP_2) | instskip(SKIP_1) | instid1(VALU_DEP_3)
	v_pk_mul_f32 v[2:3], v[0:1], v[2:3] op_sel_hi:[0,1]
	v_lshl_add_u64 v[12:13], v[4:5], 2, s[16:17]
	v_pk_mul_f32 v[4:5], v[0:1], v[10:11] op_sel_hi:[0,1]
	global_store_b128 v[12:13], v[2:5], off
.LBB17_79:
	s_wait_xcnt 0x0
	s_or_b32 exec_lo, exec_lo, s0
	s_delay_alu instid0(SALU_CYCLE_1)
	s_and_b32 exec_lo, exec_lo, s3
	s_cbranch_execz .LBB17_81
; %bb.80:
	v_mov_b32_e32 v8, v7
	global_store_b64 v1, v[8:9], s[18:19] scale_offset
.LBB17_81:
	s_sendmsg sendmsg(MSG_DEALLOC_VGPRS)
	s_endpgm
	.section	.rodata,"a",@progbits
	.p2align	6, 0x0
	.amdhsa_kernel _ZL15flash_attn_tileILi72ELi72ELi16ELi4ELb0EEvPKcS1_S1_S1_S1_PKiPfP15HIP_vector_typeIfLj2EEffffjfiS5_IjLj3EEiiiiiiiiiiiliiliiiiil
		.amdhsa_group_segment_fixed_size 18656
		.amdhsa_private_segment_fixed_size 0
		.amdhsa_kernarg_size 464
		.amdhsa_user_sgpr_count 2
		.amdhsa_user_sgpr_dispatch_ptr 0
		.amdhsa_user_sgpr_queue_ptr 0
		.amdhsa_user_sgpr_kernarg_segment_ptr 1
		.amdhsa_user_sgpr_dispatch_id 0
		.amdhsa_user_sgpr_kernarg_preload_length 0
		.amdhsa_user_sgpr_kernarg_preload_offset 0
		.amdhsa_user_sgpr_private_segment_size 0
		.amdhsa_wavefront_size32 1
		.amdhsa_uses_dynamic_stack 0
		.amdhsa_enable_private_segment 0
		.amdhsa_system_sgpr_workgroup_id_x 1
		.amdhsa_system_sgpr_workgroup_id_y 1
		.amdhsa_system_sgpr_workgroup_id_z 1
		.amdhsa_system_sgpr_workgroup_info 0
		.amdhsa_system_vgpr_workitem_id 1
		.amdhsa_next_free_vgpr 143
		.amdhsa_next_free_sgpr 49
		.amdhsa_named_barrier_count 0
		.amdhsa_reserve_vcc 1
		.amdhsa_float_round_mode_32 0
		.amdhsa_float_round_mode_16_64 0
		.amdhsa_float_denorm_mode_32 3
		.amdhsa_float_denorm_mode_16_64 3
		.amdhsa_fp16_overflow 0
		.amdhsa_memory_ordered 1
		.amdhsa_forward_progress 1
		.amdhsa_inst_pref_size 167
		.amdhsa_round_robin_scheduling 0
		.amdhsa_exception_fp_ieee_invalid_op 0
		.amdhsa_exception_fp_denorm_src 0
		.amdhsa_exception_fp_ieee_div_zero 0
		.amdhsa_exception_fp_ieee_overflow 0
		.amdhsa_exception_fp_ieee_underflow 0
		.amdhsa_exception_fp_ieee_inexact 0
		.amdhsa_exception_int_div_zero 0
	.end_amdhsa_kernel
	.section	.text._ZL15flash_attn_tileILi72ELi72ELi16ELi4ELb0EEvPKcS1_S1_S1_S1_PKiPfP15HIP_vector_typeIfLj2EEffffjfiS5_IjLj3EEiiiiiiiiiiiliiliiiiil,"axG",@progbits,_ZL15flash_attn_tileILi72ELi72ELi16ELi4ELb0EEvPKcS1_S1_S1_S1_PKiPfP15HIP_vector_typeIfLj2EEffffjfiS5_IjLj3EEiiiiiiiiiiiliiliiiiil,comdat
.Lfunc_end17:
	.size	_ZL15flash_attn_tileILi72ELi72ELi16ELi4ELb0EEvPKcS1_S1_S1_S1_PKiPfP15HIP_vector_typeIfLj2EEffffjfiS5_IjLj3EEiiiiiiiiiiiliiliiiiil, .Lfunc_end17-_ZL15flash_attn_tileILi72ELi72ELi16ELi4ELb0EEvPKcS1_S1_S1_S1_PKiPfP15HIP_vector_typeIfLj2EEffffjfiS5_IjLj3EEiiiiiiiiiiiliiliiiiil
                                        ; -- End function
	.set _ZL15flash_attn_tileILi72ELi72ELi16ELi4ELb0EEvPKcS1_S1_S1_S1_PKiPfP15HIP_vector_typeIfLj2EEffffjfiS5_IjLj3EEiiiiiiiiiiiliiliiiiil.num_vgpr, 143
	.set _ZL15flash_attn_tileILi72ELi72ELi16ELi4ELb0EEvPKcS1_S1_S1_S1_PKiPfP15HIP_vector_typeIfLj2EEffffjfiS5_IjLj3EEiiiiiiiiiiiliiliiiiil.num_agpr, 0
	.set _ZL15flash_attn_tileILi72ELi72ELi16ELi4ELb0EEvPKcS1_S1_S1_S1_PKiPfP15HIP_vector_typeIfLj2EEffffjfiS5_IjLj3EEiiiiiiiiiiiliiliiiiil.numbered_sgpr, 49
	.set _ZL15flash_attn_tileILi72ELi72ELi16ELi4ELb0EEvPKcS1_S1_S1_S1_PKiPfP15HIP_vector_typeIfLj2EEffffjfiS5_IjLj3EEiiiiiiiiiiiliiliiiiil.num_named_barrier, 0
	.set _ZL15flash_attn_tileILi72ELi72ELi16ELi4ELb0EEvPKcS1_S1_S1_S1_PKiPfP15HIP_vector_typeIfLj2EEffffjfiS5_IjLj3EEiiiiiiiiiiiliiliiiiil.private_seg_size, 0
	.set _ZL15flash_attn_tileILi72ELi72ELi16ELi4ELb0EEvPKcS1_S1_S1_S1_PKiPfP15HIP_vector_typeIfLj2EEffffjfiS5_IjLj3EEiiiiiiiiiiiliiliiiiil.uses_vcc, 1
	.set _ZL15flash_attn_tileILi72ELi72ELi16ELi4ELb0EEvPKcS1_S1_S1_S1_PKiPfP15HIP_vector_typeIfLj2EEffffjfiS5_IjLj3EEiiiiiiiiiiiliiliiiiil.uses_flat_scratch, 0
	.set _ZL15flash_attn_tileILi72ELi72ELi16ELi4ELb0EEvPKcS1_S1_S1_S1_PKiPfP15HIP_vector_typeIfLj2EEffffjfiS5_IjLj3EEiiiiiiiiiiiliiliiiiil.has_dyn_sized_stack, 0
	.set _ZL15flash_attn_tileILi72ELi72ELi16ELi4ELb0EEvPKcS1_S1_S1_S1_PKiPfP15HIP_vector_typeIfLj2EEffffjfiS5_IjLj3EEiiiiiiiiiiiliiliiiiil.has_recursion, 0
	.set _ZL15flash_attn_tileILi72ELi72ELi16ELi4ELb0EEvPKcS1_S1_S1_S1_PKiPfP15HIP_vector_typeIfLj2EEffffjfiS5_IjLj3EEiiiiiiiiiiiliiliiiiil.has_indirect_call, 0
	.section	.AMDGPU.csdata,"",@progbits
; Kernel info:
; codeLenInByte = 21252
; TotalNumSgprs: 51
; NumVgprs: 143
; ScratchSize: 0
; MemoryBound: 0
; FloatMode: 240
; IeeeMode: 1
; LDSByteSize: 18656 bytes/workgroup (compile time only)
; SGPRBlocks: 0
; VGPRBlocks: 8
; NumSGPRsForWavesPerEU: 51
; NumVGPRsForWavesPerEU: 143
; NamedBarCnt: 0
; Occupancy: 7
; WaveLimiterHint : 1
; COMPUTE_PGM_RSRC2:SCRATCH_EN: 0
; COMPUTE_PGM_RSRC2:USER_SGPR: 2
; COMPUTE_PGM_RSRC2:TRAP_HANDLER: 0
; COMPUTE_PGM_RSRC2:TGID_X_EN: 1
; COMPUTE_PGM_RSRC2:TGID_Y_EN: 1
; COMPUTE_PGM_RSRC2:TGID_Z_EN: 1
; COMPUTE_PGM_RSRC2:TIDIG_COMP_CNT: 1
	.section	.text._ZL25flash_attn_mask_to_KV_maxILi16EEvPK7__half2Piiii,"axG",@progbits,_ZL25flash_attn_mask_to_KV_maxILi16EEvPK7__half2Piiii,comdat
	.globl	_ZL25flash_attn_mask_to_KV_maxILi16EEvPK7__half2Piiii ; -- Begin function _ZL25flash_attn_mask_to_KV_maxILi16EEvPK7__half2Piiii
	.p2align	8
	.type	_ZL25flash_attn_mask_to_KV_maxILi16EEvPK7__half2Piiii,@function
_ZL25flash_attn_mask_to_KV_maxILi16EEvPK7__half2Piiii: ; @_ZL25flash_attn_mask_to_KV_maxILi16EEvPK7__half2Piiii
; %bb.0:
	s_load_b128 s[4:7], s[0:1], 0x0
	s_mov_b32 s2, exec_lo
	v_cmpx_gt_u32_e32 32, v0
; %bb.1:
	v_dual_mov_b32 v2, 1 :: v_dual_lshlrev_b32 v1, 2, v0
	ds_store_b32 v1, v2
; %bb.2:
	s_or_b32 exec_lo, exec_lo, s2
	s_clause 0x1
	s_load_b96 s[8:10], s[0:1], 0x10
	s_load_b32 s11, s[0:1], 0x20
	s_wait_xcnt 0x0
	s_bfe_u32 s1, ttmp6, 0x4000c
	s_bfe_u32 s2, ttmp6, 0x40010
	s_add_co_i32 s1, s1, 1
	s_add_co_i32 s2, s2, 1
	s_and_b32 s0, ttmp6, 15
	s_bfe_u32 s3, ttmp6, 0x40004
	s_mul_i32 s1, ttmp9, s1
	s_mul_i32 s2, ttmp7, s2
	s_getreg_b32 s12, hwreg(HW_REG_IB_STS2, 6, 4)
	s_add_co_i32 s0, s0, s1
	s_add_co_i32 s3, s3, s2
	s_cmp_eq_u32 s12, 0
	v_dual_lshrrev_b32 v1, 3, v0 :: v_dual_bitop2_b32 v2, 31, v0 bitop3:0x40
	s_cselect_b32 s1, ttmp9, s0
	s_cselect_b32 s12, ttmp7, s3
	s_wait_dscnt 0x0
	s_barrier_signal -1
	s_wait_kmcnt 0x0
	s_mul_i32 s0, s1, s9
	s_mul_i32 s2, s10, s12
	s_lshl_b32 s0, s0, 4
	s_barrier_wait -1
	s_add_co_i32 s2, s2, s0
	v_cmp_eq_u32_e64 s0, 0, v2
	s_ashr_i32 s3, s2, 31
	v_lshlrev_b32_e32 v2, 2, v2
	s_lshl_b64 s[2:3], s[2:3], 2
	s_delay_alu instid0(SALU_CYCLE_1)
	s_add_nc_u64 s[2:3], s[4:5], s[2:3]
	s_lshl_b32 s5, s8, 8
	s_branch .LBB18_4
.LBB18_3:                               ;   in Loop: Header=BB18_4 Depth=1
	s_or_b32 exec_lo, exec_lo, s8
	s_wait_dscnt 0x0
	s_barrier_signal -1
	s_barrier_wait -1
	ds_load_b32 v3, v2
	s_wait_dscnt 0x0
	s_barrier_signal -1
	s_barrier_wait -1
	v_cmp_ne_u32_e32 vcc_lo, 0, v3
	s_cmp_lg_u32 vcc_lo, exec_lo
	s_cselect_b32 s8, -1, 0
	s_delay_alu instid0(SALU_CYCLE_1)
	s_and_b32 vcc_lo, exec_lo, s8
	s_cbranch_vccnz .LBB18_68
.LBB18_4:                               ; =>This Inner Loop Header: Depth=1
	s_mov_b32 s4, s5
	s_addk_co_i32 s5, 0xff00
	s_delay_alu instid0(SALU_CYCLE_1)
	s_cmp_lt_i32 s5, 0
	s_cbranch_scc1 .LBB18_67
; %bb.5:                                ;   in Loop: Header=BB18_4 Depth=1
	s_lshr_b32 s8, s5, 1
	s_delay_alu instid0(SALU_CYCLE_1) | instskip(SKIP_4) | instid1(VALU_DEP_2)
	v_add_nc_u32_e32 v3, s8, v0
	global_load_b32 v4, v3, s[2:3] scale_offset
	s_wait_loadcnt 0x0
	v_lshrrev_b32_e32 v5, 16, v4
	v_cmp_class_f16_e64 s8, v4, 0x204
	v_cmp_class_f16_e64 s10, v5, 0x204
	s_and_b32 s13, s8, s10
	s_mov_b32 s10, 0
	s_and_saveexec_b32 s8, s13
	s_cbranch_execz .LBB18_65
; %bb.6:                                ;   in Loop: Header=BB18_4 Depth=1
	v_add_nc_u32_e32 v3, s9, v3
	s_mov_b32 s13, 0
	global_load_b32 v4, v3, s[2:3] scale_offset
	s_wait_loadcnt 0x0
	v_cmp_class_f16_e64 s14, v4, 0x204
	s_and_saveexec_b32 s10, s14
	s_cbranch_execz .LBB18_64
; %bb.7:                                ;   in Loop: Header=BB18_4 Depth=1
	v_lshrrev_b32_e32 v4, 16, v4
	s_mov_b32 s14, 0
	s_delay_alu instid0(VALU_DEP_1)
	v_cmp_class_f16_e64 s15, v4, 0x204
	s_and_saveexec_b32 s13, s15
	s_cbranch_execz .LBB18_63
; %bb.8:                                ;   in Loop: Header=BB18_4 Depth=1
	v_add_nc_u32_e32 v3, s9, v3
	s_mov_b32 s15, 0
	global_load_b32 v4, v3, s[2:3] scale_offset
	s_wait_loadcnt 0x0
	v_cmp_class_f16_e64 s16, v4, 0x204
	s_and_saveexec_b32 s14, s16
	s_cbranch_execz .LBB18_62
; %bb.9:                                ;   in Loop: Header=BB18_4 Depth=1
	v_lshrrev_b32_e32 v4, 16, v4
	s_mov_b32 s16, 0
	s_delay_alu instid0(VALU_DEP_1)
	v_cmp_class_f16_e64 s17, v4, 0x204
	s_and_saveexec_b32 s15, s17
	s_cbranch_execz .LBB18_61
; %bb.10:                               ;   in Loop: Header=BB18_4 Depth=1
	v_add_nc_u32_e32 v3, s9, v3
	s_mov_b32 s17, 0
	global_load_b32 v4, v3, s[2:3] scale_offset
	s_wait_loadcnt 0x0
	v_cmp_class_f16_e64 s18, v4, 0x204
	s_and_saveexec_b32 s16, s18
	s_cbranch_execz .LBB18_60
; %bb.11:                               ;   in Loop: Header=BB18_4 Depth=1
	v_lshrrev_b32_e32 v4, 16, v4
	s_mov_b32 s18, 0
	s_delay_alu instid0(VALU_DEP_1)
	v_cmp_class_f16_e64 s19, v4, 0x204
	s_and_saveexec_b32 s17, s19
	s_cbranch_execz .LBB18_59
; %bb.12:                               ;   in Loop: Header=BB18_4 Depth=1
	v_add_nc_u32_e32 v3, s9, v3
	s_mov_b32 s19, 0
	global_load_b32 v4, v3, s[2:3] scale_offset
	s_wait_loadcnt 0x0
	v_cmp_class_f16_e64 s20, v4, 0x204
	s_and_saveexec_b32 s18, s20
	s_cbranch_execz .LBB18_58
; %bb.13:                               ;   in Loop: Header=BB18_4 Depth=1
	;; [unrolled: 15-line block ×12, first 2 shown]
	v_lshrrev_b32_e32 v4, 16, v4
	s_mov_b32 s41, 0
	s_delay_alu instid0(VALU_DEP_1)
	v_cmp_class_f16_e64 s42, v4, 0x204
	s_and_saveexec_b32 s40, s42
	s_cbranch_execz .LBB18_37
; %bb.34:                               ;   in Loop: Header=BB18_4 Depth=1
	v_add_nc_u32_e32 v3, s9, v3
	global_load_b32 v3, v3, s[2:3] scale_offset
	s_wait_loadcnt 0x0
	v_cmp_class_f16_e64 s43, v3, 0x204
	s_and_saveexec_b32 s42, s43
; %bb.35:                               ;   in Loop: Header=BB18_4 Depth=1
	v_lshrrev_b32_e32 v3, 16, v3
	s_delay_alu instid0(VALU_DEP_1)
	v_cmp_class_f16_e64 s41, v3, 0x204
	s_and_b32 s41, s41, exec_lo
; %bb.36:                               ;   in Loop: Header=BB18_4 Depth=1
	s_or_b32 exec_lo, exec_lo, s42
	s_delay_alu instid0(SALU_CYCLE_1)
	s_and_b32 s41, s41, exec_lo
.LBB18_37:                              ;   in Loop: Header=BB18_4 Depth=1
	s_or_b32 exec_lo, exec_lo, s40
	s_delay_alu instid0(SALU_CYCLE_1)
	s_and_b32 s40, s41, exec_lo
.LBB18_38:                              ;   in Loop: Header=BB18_4 Depth=1
	s_or_b32 exec_lo, exec_lo, s39
	s_delay_alu instid0(SALU_CYCLE_1)
	s_and_b32 s39, s40, exec_lo
.LBB18_39:                              ;   in Loop: Header=BB18_4 Depth=1
	s_or_b32 exec_lo, exec_lo, s38
	s_delay_alu instid0(SALU_CYCLE_1)
	s_and_b32 s38, s39, exec_lo
.LBB18_40:                              ;   in Loop: Header=BB18_4 Depth=1
	s_or_b32 exec_lo, exec_lo, s37
	s_delay_alu instid0(SALU_CYCLE_1)
	s_and_b32 s37, s38, exec_lo
.LBB18_41:                              ;   in Loop: Header=BB18_4 Depth=1
	s_or_b32 exec_lo, exec_lo, s36
	s_delay_alu instid0(SALU_CYCLE_1)
	s_and_b32 s36, s37, exec_lo
.LBB18_42:                              ;   in Loop: Header=BB18_4 Depth=1
	s_or_b32 exec_lo, exec_lo, s35
	s_delay_alu instid0(SALU_CYCLE_1)
	s_and_b32 s35, s36, exec_lo
.LBB18_43:                              ;   in Loop: Header=BB18_4 Depth=1
	s_or_b32 exec_lo, exec_lo, s34
	s_delay_alu instid0(SALU_CYCLE_1)
	s_and_b32 s34, s35, exec_lo
.LBB18_44:                              ;   in Loop: Header=BB18_4 Depth=1
	s_or_b32 exec_lo, exec_lo, s33
	s_delay_alu instid0(SALU_CYCLE_1)
	s_and_b32 s33, s34, exec_lo
.LBB18_45:                              ;   in Loop: Header=BB18_4 Depth=1
	s_or_b32 exec_lo, exec_lo, s31
	s_delay_alu instid0(SALU_CYCLE_1)
	s_and_b32 s31, s33, exec_lo
.LBB18_46:                              ;   in Loop: Header=BB18_4 Depth=1
	s_or_b32 exec_lo, exec_lo, s30
	s_delay_alu instid0(SALU_CYCLE_1)
	s_and_b32 s30, s31, exec_lo
.LBB18_47:                              ;   in Loop: Header=BB18_4 Depth=1
	s_or_b32 exec_lo, exec_lo, s29
	s_delay_alu instid0(SALU_CYCLE_1)
	s_and_b32 s29, s30, exec_lo
.LBB18_48:                              ;   in Loop: Header=BB18_4 Depth=1
	s_or_b32 exec_lo, exec_lo, s28
	s_delay_alu instid0(SALU_CYCLE_1)
	s_and_b32 s28, s29, exec_lo
.LBB18_49:                              ;   in Loop: Header=BB18_4 Depth=1
	s_or_b32 exec_lo, exec_lo, s27
	s_delay_alu instid0(SALU_CYCLE_1)
	s_and_b32 s27, s28, exec_lo
.LBB18_50:                              ;   in Loop: Header=BB18_4 Depth=1
	s_or_b32 exec_lo, exec_lo, s26
	s_delay_alu instid0(SALU_CYCLE_1)
	s_and_b32 s26, s27, exec_lo
.LBB18_51:                              ;   in Loop: Header=BB18_4 Depth=1
	s_or_b32 exec_lo, exec_lo, s25
	s_delay_alu instid0(SALU_CYCLE_1)
	s_and_b32 s25, s26, exec_lo
.LBB18_52:                              ;   in Loop: Header=BB18_4 Depth=1
	s_or_b32 exec_lo, exec_lo, s24
	s_delay_alu instid0(SALU_CYCLE_1)
	s_and_b32 s24, s25, exec_lo
.LBB18_53:                              ;   in Loop: Header=BB18_4 Depth=1
	s_or_b32 exec_lo, exec_lo, s23
	s_delay_alu instid0(SALU_CYCLE_1)
	s_and_b32 s23, s24, exec_lo
.LBB18_54:                              ;   in Loop: Header=BB18_4 Depth=1
	s_or_b32 exec_lo, exec_lo, s22
	s_delay_alu instid0(SALU_CYCLE_1)
	s_and_b32 s22, s23, exec_lo
.LBB18_55:                              ;   in Loop: Header=BB18_4 Depth=1
	s_or_b32 exec_lo, exec_lo, s21
	s_delay_alu instid0(SALU_CYCLE_1)
	s_and_b32 s21, s22, exec_lo
.LBB18_56:                              ;   in Loop: Header=BB18_4 Depth=1
	s_or_b32 exec_lo, exec_lo, s20
	s_delay_alu instid0(SALU_CYCLE_1)
	s_and_b32 s20, s21, exec_lo
.LBB18_57:                              ;   in Loop: Header=BB18_4 Depth=1
	s_or_b32 exec_lo, exec_lo, s19
	s_delay_alu instid0(SALU_CYCLE_1)
	s_and_b32 s19, s20, exec_lo
.LBB18_58:                              ;   in Loop: Header=BB18_4 Depth=1
	s_or_b32 exec_lo, exec_lo, s18
	s_delay_alu instid0(SALU_CYCLE_1)
	s_and_b32 s18, s19, exec_lo
.LBB18_59:                              ;   in Loop: Header=BB18_4 Depth=1
	s_or_b32 exec_lo, exec_lo, s17
	s_delay_alu instid0(SALU_CYCLE_1)
	s_and_b32 s17, s18, exec_lo
.LBB18_60:                              ;   in Loop: Header=BB18_4 Depth=1
	s_or_b32 exec_lo, exec_lo, s16
	s_delay_alu instid0(SALU_CYCLE_1)
	s_and_b32 s16, s17, exec_lo
.LBB18_61:                              ;   in Loop: Header=BB18_4 Depth=1
	s_or_b32 exec_lo, exec_lo, s15
	s_delay_alu instid0(SALU_CYCLE_1)
	s_and_b32 s15, s16, exec_lo
.LBB18_62:                              ;   in Loop: Header=BB18_4 Depth=1
	s_or_b32 exec_lo, exec_lo, s14
	s_delay_alu instid0(SALU_CYCLE_1)
	s_and_b32 s14, s15, exec_lo
.LBB18_63:                              ;   in Loop: Header=BB18_4 Depth=1
	s_or_b32 exec_lo, exec_lo, s13
	s_delay_alu instid0(SALU_CYCLE_1)
	s_and_b32 s13, s14, exec_lo
.LBB18_64:                              ;   in Loop: Header=BB18_4 Depth=1
	s_or_b32 exec_lo, exec_lo, s10
	s_delay_alu instid0(SALU_CYCLE_1)
	s_and_b32 s10, s13, exec_lo
.LBB18_65:                              ;   in Loop: Header=BB18_4 Depth=1
	s_or_b32 exec_lo, exec_lo, s8
	v_cndmask_b32_e64 v3, 0, 1, s10
	s_mov_b32 s13, exec_lo
	s_delay_alu instid0(VALU_DEP_1)
	v_cmp_ne_u32_e32 vcc_lo, 0, v3
	s_and_saveexec_b32 s8, s0
	s_cbranch_execz .LBB18_3
; %bb.66:                               ;   in Loop: Header=BB18_4 Depth=1
	s_cmp_eq_u32 vcc_lo, s13
	s_cselect_b32 s10, -1, 0
	s_delay_alu instid0(SALU_CYCLE_1)
	v_cndmask_b32_e64 v3, 0, 1, s10
	ds_store_b32 v1, v3
	s_branch .LBB18_3
.LBB18_67:                              ;   in Loop: Header=BB18_4 Depth=1
	s_cbranch_execz .LBB18_4
.LBB18_68:
	s_mov_b32 s0, exec_lo
	v_cmpx_eq_u32_e32 0, v0
	s_cbranch_execz .LBB18_70
; %bb.69:
	s_mul_i32 s0, s11, s12
	v_mov_b32_e32 v1, s4
	s_add_co_i32 s0, s0, s1
	s_delay_alu instid0(SALU_CYCLE_1)
	v_mov_b32_e32 v0, s0
	global_store_b32 v0, v1, s[6:7] scale_offset
.LBB18_70:
	s_endpgm
	.section	.rodata,"a",@progbits
	.p2align	6, 0x0
	.amdhsa_kernel _ZL25flash_attn_mask_to_KV_maxILi16EEvPK7__half2Piiii
		.amdhsa_group_segment_fixed_size 128
		.amdhsa_private_segment_fixed_size 0
		.amdhsa_kernarg_size 288
		.amdhsa_user_sgpr_count 2
		.amdhsa_user_sgpr_dispatch_ptr 0
		.amdhsa_user_sgpr_queue_ptr 0
		.amdhsa_user_sgpr_kernarg_segment_ptr 1
		.amdhsa_user_sgpr_dispatch_id 0
		.amdhsa_user_sgpr_kernarg_preload_length 0
		.amdhsa_user_sgpr_kernarg_preload_offset 0
		.amdhsa_user_sgpr_private_segment_size 0
		.amdhsa_wavefront_size32 1
		.amdhsa_uses_dynamic_stack 0
		.amdhsa_enable_private_segment 0
		.amdhsa_system_sgpr_workgroup_id_x 1
		.amdhsa_system_sgpr_workgroup_id_y 1
		.amdhsa_system_sgpr_workgroup_id_z 0
		.amdhsa_system_sgpr_workgroup_info 0
		.amdhsa_system_vgpr_workitem_id 0
		.amdhsa_next_free_vgpr 6
		.amdhsa_next_free_sgpr 44
		.amdhsa_named_barrier_count 0
		.amdhsa_reserve_vcc 1
		.amdhsa_float_round_mode_32 0
		.amdhsa_float_round_mode_16_64 0
		.amdhsa_float_denorm_mode_32 3
		.amdhsa_float_denorm_mode_16_64 3
		.amdhsa_fp16_overflow 0
		.amdhsa_memory_ordered 1
		.amdhsa_forward_progress 1
		.amdhsa_inst_pref_size 16
		.amdhsa_round_robin_scheduling 0
		.amdhsa_exception_fp_ieee_invalid_op 0
		.amdhsa_exception_fp_denorm_src 0
		.amdhsa_exception_fp_ieee_div_zero 0
		.amdhsa_exception_fp_ieee_overflow 0
		.amdhsa_exception_fp_ieee_underflow 0
		.amdhsa_exception_fp_ieee_inexact 0
		.amdhsa_exception_int_div_zero 0
	.end_amdhsa_kernel
	.section	.text._ZL25flash_attn_mask_to_KV_maxILi16EEvPK7__half2Piiii,"axG",@progbits,_ZL25flash_attn_mask_to_KV_maxILi16EEvPK7__half2Piiii,comdat
.Lfunc_end18:
	.size	_ZL25flash_attn_mask_to_KV_maxILi16EEvPK7__half2Piiii, .Lfunc_end18-_ZL25flash_attn_mask_to_KV_maxILi16EEvPK7__half2Piiii
                                        ; -- End function
	.set _ZL25flash_attn_mask_to_KV_maxILi16EEvPK7__half2Piiii.num_vgpr, 6
	.set _ZL25flash_attn_mask_to_KV_maxILi16EEvPK7__half2Piiii.num_agpr, 0
	.set _ZL25flash_attn_mask_to_KV_maxILi16EEvPK7__half2Piiii.numbered_sgpr, 44
	.set _ZL25flash_attn_mask_to_KV_maxILi16EEvPK7__half2Piiii.num_named_barrier, 0
	.set _ZL25flash_attn_mask_to_KV_maxILi16EEvPK7__half2Piiii.private_seg_size, 0
	.set _ZL25flash_attn_mask_to_KV_maxILi16EEvPK7__half2Piiii.uses_vcc, 1
	.set _ZL25flash_attn_mask_to_KV_maxILi16EEvPK7__half2Piiii.uses_flat_scratch, 0
	.set _ZL25flash_attn_mask_to_KV_maxILi16EEvPK7__half2Piiii.has_dyn_sized_stack, 0
	.set _ZL25flash_attn_mask_to_KV_maxILi16EEvPK7__half2Piiii.has_recursion, 0
	.set _ZL25flash_attn_mask_to_KV_maxILi16EEvPK7__half2Piiii.has_indirect_call, 0
	.section	.AMDGPU.csdata,"",@progbits
; Kernel info:
; codeLenInByte = 1948
; TotalNumSgprs: 46
; NumVgprs: 6
; ScratchSize: 0
; MemoryBound: 0
; FloatMode: 240
; IeeeMode: 1
; LDSByteSize: 128 bytes/workgroup (compile time only)
; SGPRBlocks: 0
; VGPRBlocks: 0
; NumSGPRsForWavesPerEU: 46
; NumVGPRsForWavesPerEU: 6
; NamedBarCnt: 0
; Occupancy: 16
; WaveLimiterHint : 0
; COMPUTE_PGM_RSRC2:SCRATCH_EN: 0
; COMPUTE_PGM_RSRC2:USER_SGPR: 2
; COMPUTE_PGM_RSRC2:TRAP_HANDLER: 0
; COMPUTE_PGM_RSRC2:TGID_X_EN: 1
; COMPUTE_PGM_RSRC2:TGID_Y_EN: 1
; COMPUTE_PGM_RSRC2:TGID_Z_EN: 0
; COMPUTE_PGM_RSRC2:TIDIG_COMP_CNT: 0
	.section	.text._ZL33flash_attn_stream_k_fixup_uniformILi72ELi16ELi4EEvPfPK15HIP_vector_typeIfLj2EEiiiiiiS1_IjLj3EES5_S5_,"axG",@progbits,_ZL33flash_attn_stream_k_fixup_uniformILi72ELi16ELi4EEvPfPK15HIP_vector_typeIfLj2EEiiiiiiS1_IjLj3EES5_S5_,comdat
	.globl	_ZL33flash_attn_stream_k_fixup_uniformILi72ELi16ELi4EEvPfPK15HIP_vector_typeIfLj2EEiiiiiiS1_IjLj3EES5_S5_ ; -- Begin function _ZL33flash_attn_stream_k_fixup_uniformILi72ELi16ELi4EEvPfPK15HIP_vector_typeIfLj2EEiiiiiiS1_IjLj3EES5_S5_
	.p2align	8
	.type	_ZL33flash_attn_stream_k_fixup_uniformILi72ELi16ELi4EEvPfPK15HIP_vector_typeIfLj2EEiiiiiiS1_IjLj3EES5_S5_,@function
_ZL33flash_attn_stream_k_fixup_uniformILi72ELi16ELi4EEvPfPK15HIP_vector_typeIfLj2EEiiiiiiS1_IjLj3EES5_S5_: ; @_ZL33flash_attn_stream_k_fixup_uniformILi72ELi16ELi4EEvPfPK15HIP_vector_typeIfLj2EEiiiiiiS1_IjLj3EES5_S5_
; %bb.0:
	s_load_b256 s[4:11], s[0:1], 0x1c
	s_bfe_u32 s2, ttmp6, 0x40014
	s_lshr_b32 s3, ttmp7, 16
	s_add_co_i32 s2, s2, 1
	s_bfe_u32 s13, ttmp6, 0x40010
	s_mul_i32 s2, s3, s2
	s_bfe_u32 s12, ttmp6, 0x40008
	s_and_b32 s15, ttmp7, 0xffff
	s_add_co_i32 s13, s13, 1
	s_bfe_u32 s14, ttmp6, 0x4000c
	s_add_co_i32 s2, s12, s2
	s_mul_i32 s12, s15, s13
	s_bfe_u32 s13, ttmp6, 0x40004
	s_add_co_i32 s14, s14, 1
	s_add_co_i32 s13, s13, s12
	s_and_b32 s12, ttmp6, 15
	s_mul_i32 s14, ttmp9, s14
	s_getreg_b32 s20, hwreg(HW_REG_IB_STS2, 6, 4)
	s_add_co_i32 s12, s12, s14
	s_load_b128 s[16:19], s[0:1], 0x3c
	s_cmp_eq_u32 s20, 0
	s_cselect_b32 s14, ttmp9, s12
	s_cselect_b32 s12, s15, s13
	s_wait_kmcnt 0x0
	s_mul_hi_u32 s7, s7, s14
	s_cselect_b32 s13, s3, s2
	s_add_co_i32 s2, s14, s7
	s_delay_alu instid0(SALU_CYCLE_1) | instskip(NEXT) | instid1(SALU_CYCLE_1)
	s_lshr_b32 s7, s2, s8
	s_mul_i32 s2, s7, s9
	s_delay_alu instid0(SALU_CYCLE_1) | instskip(NEXT) | instid1(SALU_CYCLE_1)
	s_sub_co_i32 s8, s14, s2
	s_mul_hi_u32 s2, s8, s10
	s_delay_alu instid0(SALU_CYCLE_1) | instskip(SKIP_2) | instid1(SALU_CYCLE_1)
	s_add_co_i32 s9, s8, s2
	s_load_b64 s[2:3], s[0:1], 0x10
	s_lshr_b32 s15, s9, s11
	s_mul_i32 s9, s15, s16
	s_delay_alu instid0(SALU_CYCLE_1) | instskip(NEXT) | instid1(SALU_CYCLE_1)
	s_sub_co_i32 s8, s8, s9
	s_mul_hi_u32 s9, s8, s17
	s_delay_alu instid0(SALU_CYCLE_1) | instskip(NEXT) | instid1(SALU_CYCLE_1)
	s_add_co_i32 s9, s8, s9
	s_lshr_b32 s9, s9, s18
	s_delay_alu instid0(SALU_CYCLE_1) | instskip(SKIP_2) | instid1(SALU_CYCLE_1)
	s_mul_i32 s10, s9, s19
	s_lshl_b32 s17, s9, 2
	s_sub_co_i32 s16, s8, s10
	s_lshl_b32 s8, s16, 4
	s_delay_alu instid0(SALU_CYCLE_1) | instskip(SKIP_4) | instid1(SALU_CYCLE_1)
	s_add_co_i32 s8, s8, s12
	s_wait_kmcnt 0x0
	s_cmp_lt_i32 s8, s2
	s_cselect_b32 s8, -1, 0
	s_add_co_i32 s17, s17, s13
	s_cmp_lt_i32 s17, s5
	s_cselect_b32 s9, -1, 0
	s_delay_alu instid0(SALU_CYCLE_1) | instskip(NEXT) | instid1(SALU_CYCLE_1)
	s_and_b32 s8, s8, s9
	s_and_not1_b32 vcc_lo, exec_lo, s8
	s_cbranch_vccnz .LBB19_6
; %bb.1:
	s_load_b128 s[8:11], s[0:1], 0x0
	s_wait_xcnt 0x0
	s_mul_i32 s0, s7, s2
	s_mul_i32 s15, s15, s5
	s_add_co_i32 s0, s0, s12
	s_add_co_i32 s1, s17, s15
	s_mul_i32 s0, s0, s3
	s_mul_i32 s2, s3, s16
	s_add_co_i32 s0, s1, s0
	s_mulk_i32 s2, 0x480
	s_mulk_i32 s0, 0x48
	s_mul_i32 s7, s6, s14
	v_add3_u32 v4, s0, s2, v0
	s_lshl_b32 s5, s12, 2
	s_add_co_i32 s15, s7, s6
	s_add_co_i32 s0, s5, s13
	s_lshl_b32 s1, s15, 6
	v_ashrrev_i32_e32 v5, 31, v4
	s_add_co_i32 s0, s0, s1
	s_add_co_i32 s2, s15, -2
	s_sub_co_i32 s0, s0, 64
	s_wait_kmcnt 0x0
	global_load_b32 v3, v4, s[8:9] scale_offset
	s_ashr_i32 s1, s0, 31
	s_delay_alu instid0(SALU_CYCLE_1)
	s_lshl_b64 s[0:1], s[0:1], 3
	s_cmp_lt_i32 s2, s7
	s_add_nc_u64 s[0:1], s[10:11], s[0:1]
	s_load_b32 s16, s[0:1], 0x4
	s_cbranch_scc1 .LBB19_4
; %bb.2:
	s_wait_xcnt 0x0
	s_load_b32 s0, s[0:1], 0x0
	s_add_co_i32 s14, s14, 1
	s_mulk_i32 s12, 0x120
	s_wait_xcnt 0x0
	s_mul_i32 s1, s6, s14
	s_lshl_b32 s2, s4, 8
	s_lshl_b32 s6, s1, 6
	s_mulk_i32 s1, 0x1200
	s_add_co_i32 s6, s13, s6
	s_mulk_i32 s13, 0x48
	s_lshl_b32 s4, s4, 6
	s_add_co_i32 s12, s13, s12
	s_ashr_i32 s3, s2, 31
	s_add_co_i32 s12, s12, s1
	s_add_co_i32 s1, s6, s4
	v_add3_u32 v0, s12, v0, 0xffffdc00
	s_wait_kmcnt 0x0
	v_mov_b32_e32 v2, s16
	s_lshl_b64 s[2:3], s[2:3], 2
	s_add_co_i32 s4, s1, s5
	s_add_nc_u64 s[2:3], s[10:11], s[2:3]
	s_add_co_i32 s1, s15, -1
	s_addk_co_i32 s4, 0xff80
.LBB19_3:                               ; =>This Inner Loop Header: Depth=1
	global_load_b32 v7, v0, s[2:3] scale_offset
	s_ashr_i32 s5, s4, 31
	v_max_num_f32_e64 v1, s0, s0
	s_lshl_b64 s[12:13], s[4:5], 3
	s_delay_alu instid0(SALU_CYCLE_1) | instskip(SKIP_1) | instid1(VALU_DEP_1)
	s_add_nc_u64 s[12:13], s[10:11], s[12:13]
	s_load_b64 s[12:13], s[12:13], 0x0
	v_readfirstlane_b32 s5, v1
	v_add_nc_u32_e32 v0, 0xffffee00, v0
	s_wait_kmcnt 0x0
	v_max_num_f32_e64 v1, s12, s12
	s_delay_alu instid0(VALU_DEP_1) | instskip(SKIP_1) | instid1(SALU_CYCLE_3)
	v_readfirstlane_b32 s6, v1
	s_max_num_f32 s5, s5, s6
	s_sub_f32 s0, s0, s5
	s_sub_f32 s6, s12, s5
	s_delay_alu instid0(SALU_CYCLE_2) | instskip(NEXT) | instid1(SALU_CYCLE_2)
	s_mul_f32 s12, s0, 0x3fb8aa3b
	s_mul_f32 s14, s6, 0x3fb8aa3b
	s_delay_alu instid0(SALU_CYCLE_2)
	s_xor_b32 s15, s12, 0x80000000
	s_rndne_f32 s16, s12
	s_fmamk_f32 s15, s0, 0x3fb8aa3b, s15
	s_cmp_nlt_f32 s0, 0xc2ce8ed0
	s_rndne_f32 s17, s14
	s_sub_f32 s12, s12, s16
	s_fmamk_f32 s15, s0, 0x32a5705f, s15
	s_cselect_b32 vcc_lo, -1, 0
	s_cmp_ngt_f32 s0, 0x42b17218
	s_delay_alu instid0(SALU_CYCLE_1) | instskip(SKIP_2) | instid1(SALU_CYCLE_1)
	s_add_f32 s12, s12, s15
	s_cvt_i32_f32 s15, s16
	s_sub_f32 s16, s14, s17
	v_s_exp_f32 s12, s12
	v_nop
	s_delay_alu instid0(TRANS32_DEP_1) | instskip(SKIP_1) | instid1(VALU_DEP_1)
	v_ldexp_f32 v1, s12, s15
	s_cvt_i32_f32 s12, s17
	v_cndmask_b32_e32 v1, 0, v1, vcc_lo
	s_cselect_b32 vcc_lo, -1, 0
	s_cmp_ge_f32 s0, 0xc1a00000
	s_delay_alu instid0(VALU_DEP_1)
	v_cndmask_b32_e32 v1, 0x7f800000, v1, vcc_lo
	s_cselect_b32 vcc_lo, -1, 0
	s_xor_b32 s0, s14, 0x80000000
	s_cmp_nlt_f32 s6, 0xc2ce8ed0
	s_fmamk_f32 s0, s6, 0x3fb8aa3b, s0
	v_cndmask_b32_e32 v10, 0, v1, vcc_lo
	s_delay_alu instid0(SALU_CYCLE_2) | instskip(NEXT) | instid1(SALU_CYCLE_3)
	s_fmamk_f32 s0, s6, 0x32a5705f, s0
	s_add_f32 s0, s16, s0
	s_delay_alu instid0(SALU_CYCLE_3) | instskip(SKIP_1) | instid1(TRANS32_DEP_1)
	v_s_exp_f32 s0, s0
	v_nop
	v_ldexp_f32 v6, s0, s12
	s_cselect_b32 s0, -1, 0
	s_cmp_ngt_f32 s6, 0x42b17218
	s_delay_alu instid0(VALU_DEP_1) | instskip(SKIP_2) | instid1(VALU_DEP_1)
	v_cndmask_b32_e64 v6, 0, v6, s0
	s_cselect_b32 s0, -1, 0
	s_cmp_ge_f32 s6, 0xc1a00000
	v_cndmask_b32_e64 v8, 0x7f800000, v6, s0
	s_cselect_b32 s0, -1, 0
	v_mov_b32_e32 v6, s13
	s_add_co_i32 s1, s1, -1
	s_sub_co_i32 s4, s4, 64
	v_cndmask_b32_e64 v8, 0, v8, s0
	s_cmp_le_i32 s1, s7
	s_mov_b32 s0, s5
	s_wait_loadcnt 0x0
	s_delay_alu instid0(VALU_DEP_1) | instskip(NEXT) | instid1(VALU_DEP_1)
	v_pk_mul_f32 v[6:7], v[6:7], v[8:9] op_sel_hi:[1,0]
	v_pk_fma_f32 v[2:3], v[2:3], v[10:11], v[6:7] op_sel_hi:[1,0,1]
	s_cbranch_scc0 .LBB19_3
	s_branch .LBB19_5
.LBB19_4:
	s_wait_kmcnt 0x0
	v_mov_b32_e32 v2, s16
.LBB19_5:
	v_lshl_add_u64 v[0:1], v[4:5], 2, s[8:9]
	s_wait_loadcnt 0x0
	s_delay_alu instid0(VALU_DEP_2) | instskip(NEXT) | instid1(VALU_DEP_1)
	v_div_scale_f32 v4, null, v2, v2, v3
	v_rcp_f32_e32 v5, v4
	v_nop
	s_delay_alu instid0(TRANS32_DEP_1) | instskip(NEXT) | instid1(VALU_DEP_1)
	v_fma_f32 v6, -v4, v5, 1.0
	v_fmac_f32_e32 v5, v6, v5
	v_div_scale_f32 v6, vcc_lo, v3, v2, v3
	s_delay_alu instid0(VALU_DEP_1) | instskip(NEXT) | instid1(VALU_DEP_1)
	v_mul_f32_e32 v7, v6, v5
	v_fma_f32 v8, -v4, v7, v6
	s_delay_alu instid0(VALU_DEP_1) | instskip(NEXT) | instid1(VALU_DEP_1)
	v_fmac_f32_e32 v7, v8, v5
	v_fma_f32 v4, -v4, v7, v6
	s_delay_alu instid0(VALU_DEP_1) | instskip(NEXT) | instid1(VALU_DEP_1)
	v_div_fmas_f32 v4, v4, v5, v7
	v_div_fixup_f32 v2, v4, v2, v3
	global_store_b32 v[0:1], v2, off
.LBB19_6:
	s_endpgm
	.section	.rodata,"a",@progbits
	.p2align	6, 0x0
	.amdhsa_kernel _ZL33flash_attn_stream_k_fixup_uniformILi72ELi16ELi4EEvPfPK15HIP_vector_typeIfLj2EEiiiiiiS1_IjLj3EES5_S5_
		.amdhsa_group_segment_fixed_size 0
		.amdhsa_private_segment_fixed_size 0
		.amdhsa_kernarg_size 76
		.amdhsa_user_sgpr_count 2
		.amdhsa_user_sgpr_dispatch_ptr 0
		.amdhsa_user_sgpr_queue_ptr 0
		.amdhsa_user_sgpr_kernarg_segment_ptr 1
		.amdhsa_user_sgpr_dispatch_id 0
		.amdhsa_user_sgpr_kernarg_preload_length 0
		.amdhsa_user_sgpr_kernarg_preload_offset 0
		.amdhsa_user_sgpr_private_segment_size 0
		.amdhsa_wavefront_size32 1
		.amdhsa_uses_dynamic_stack 0
		.amdhsa_enable_private_segment 0
		.amdhsa_system_sgpr_workgroup_id_x 1
		.amdhsa_system_sgpr_workgroup_id_y 1
		.amdhsa_system_sgpr_workgroup_id_z 1
		.amdhsa_system_sgpr_workgroup_info 0
		.amdhsa_system_vgpr_workitem_id 0
		.amdhsa_next_free_vgpr 12
		.amdhsa_next_free_sgpr 21
		.amdhsa_named_barrier_count 0
		.amdhsa_reserve_vcc 1
		.amdhsa_float_round_mode_32 0
		.amdhsa_float_round_mode_16_64 0
		.amdhsa_float_denorm_mode_32 3
		.amdhsa_float_denorm_mode_16_64 3
		.amdhsa_fp16_overflow 0
		.amdhsa_memory_ordered 1
		.amdhsa_forward_progress 1
		.amdhsa_inst_pref_size 9
		.amdhsa_round_robin_scheduling 0
		.amdhsa_exception_fp_ieee_invalid_op 0
		.amdhsa_exception_fp_denorm_src 0
		.amdhsa_exception_fp_ieee_div_zero 0
		.amdhsa_exception_fp_ieee_overflow 0
		.amdhsa_exception_fp_ieee_underflow 0
		.amdhsa_exception_fp_ieee_inexact 0
		.amdhsa_exception_int_div_zero 0
	.end_amdhsa_kernel
	.section	.text._ZL33flash_attn_stream_k_fixup_uniformILi72ELi16ELi4EEvPfPK15HIP_vector_typeIfLj2EEiiiiiiS1_IjLj3EES5_S5_,"axG",@progbits,_ZL33flash_attn_stream_k_fixup_uniformILi72ELi16ELi4EEvPfPK15HIP_vector_typeIfLj2EEiiiiiiS1_IjLj3EES5_S5_,comdat
.Lfunc_end19:
	.size	_ZL33flash_attn_stream_k_fixup_uniformILi72ELi16ELi4EEvPfPK15HIP_vector_typeIfLj2EEiiiiiiS1_IjLj3EES5_S5_, .Lfunc_end19-_ZL33flash_attn_stream_k_fixup_uniformILi72ELi16ELi4EEvPfPK15HIP_vector_typeIfLj2EEiiiiiiS1_IjLj3EES5_S5_
                                        ; -- End function
	.set _ZL33flash_attn_stream_k_fixup_uniformILi72ELi16ELi4EEvPfPK15HIP_vector_typeIfLj2EEiiiiiiS1_IjLj3EES5_S5_.num_vgpr, 12
	.set _ZL33flash_attn_stream_k_fixup_uniformILi72ELi16ELi4EEvPfPK15HIP_vector_typeIfLj2EEiiiiiiS1_IjLj3EES5_S5_.num_agpr, 0
	.set _ZL33flash_attn_stream_k_fixup_uniformILi72ELi16ELi4EEvPfPK15HIP_vector_typeIfLj2EEiiiiiiS1_IjLj3EES5_S5_.numbered_sgpr, 21
	.set _ZL33flash_attn_stream_k_fixup_uniformILi72ELi16ELi4EEvPfPK15HIP_vector_typeIfLj2EEiiiiiiS1_IjLj3EES5_S5_.num_named_barrier, 0
	.set _ZL33flash_attn_stream_k_fixup_uniformILi72ELi16ELi4EEvPfPK15HIP_vector_typeIfLj2EEiiiiiiS1_IjLj3EES5_S5_.private_seg_size, 0
	.set _ZL33flash_attn_stream_k_fixup_uniformILi72ELi16ELi4EEvPfPK15HIP_vector_typeIfLj2EEiiiiiiS1_IjLj3EES5_S5_.uses_vcc, 1
	.set _ZL33flash_attn_stream_k_fixup_uniformILi72ELi16ELi4EEvPfPK15HIP_vector_typeIfLj2EEiiiiiiS1_IjLj3EES5_S5_.uses_flat_scratch, 0
	.set _ZL33flash_attn_stream_k_fixup_uniformILi72ELi16ELi4EEvPfPK15HIP_vector_typeIfLj2EEiiiiiiS1_IjLj3EES5_S5_.has_dyn_sized_stack, 0
	.set _ZL33flash_attn_stream_k_fixup_uniformILi72ELi16ELi4EEvPfPK15HIP_vector_typeIfLj2EEiiiiiiS1_IjLj3EES5_S5_.has_recursion, 0
	.set _ZL33flash_attn_stream_k_fixup_uniformILi72ELi16ELi4EEvPfPK15HIP_vector_typeIfLj2EEiiiiiiS1_IjLj3EES5_S5_.has_indirect_call, 0
	.section	.AMDGPU.csdata,"",@progbits
; Kernel info:
; codeLenInByte = 1084
; TotalNumSgprs: 23
; NumVgprs: 12
; ScratchSize: 0
; MemoryBound: 0
; FloatMode: 240
; IeeeMode: 1
; LDSByteSize: 0 bytes/workgroup (compile time only)
; SGPRBlocks: 0
; VGPRBlocks: 0
; NumSGPRsForWavesPerEU: 23
; NumVGPRsForWavesPerEU: 12
; NamedBarCnt: 0
; Occupancy: 16
; WaveLimiterHint : 0
; COMPUTE_PGM_RSRC2:SCRATCH_EN: 0
; COMPUTE_PGM_RSRC2:USER_SGPR: 2
; COMPUTE_PGM_RSRC2:TRAP_HANDLER: 0
; COMPUTE_PGM_RSRC2:TGID_X_EN: 1
; COMPUTE_PGM_RSRC2:TGID_Y_EN: 1
; COMPUTE_PGM_RSRC2:TGID_Z_EN: 1
; COMPUTE_PGM_RSRC2:TIDIG_COMP_CNT: 0
	.section	.text._ZL33flash_attn_stream_k_fixup_generalILi72ELi16ELi4EEvPfPK15HIP_vector_typeIfLj2EEiiiiS1_IjLj3EES5_S5_S5_,"axG",@progbits,_ZL33flash_attn_stream_k_fixup_generalILi72ELi16ELi4EEvPfPK15HIP_vector_typeIfLj2EEiiiiS1_IjLj3EES5_S5_S5_,comdat
	.globl	_ZL33flash_attn_stream_k_fixup_generalILi72ELi16ELi4EEvPfPK15HIP_vector_typeIfLj2EEiiiiS1_IjLj3EES5_S5_S5_ ; -- Begin function _ZL33flash_attn_stream_k_fixup_generalILi72ELi16ELi4EEvPfPK15HIP_vector_typeIfLj2EEiiiiS1_IjLj3EES5_S5_S5_
	.p2align	8
	.type	_ZL33flash_attn_stream_k_fixup_generalILi72ELi16ELi4EEvPfPK15HIP_vector_typeIfLj2EEiiiiS1_IjLj3EES5_S5_S5_,@function
_ZL33flash_attn_stream_k_fixup_generalILi72ELi16ELi4EEvPfPK15HIP_vector_typeIfLj2EEiiiiS1_IjLj3EES5_S5_S5_: ; @_ZL33flash_attn_stream_k_fixup_generalILi72ELi16ELi4EEvPfPK15HIP_vector_typeIfLj2EEiiiiS1_IjLj3EES5_S5_S5_
; %bb.0:
	s_clause 0x1
	s_load_b128 s[4:7], s[0:1], 0x10
	s_load_b32 s16, s[0:1], 0x50
	s_bfe_u32 s2, ttmp6, 0x4000c
	s_and_b32 s3, ttmp6, 15
	s_add_co_i32 s2, s2, 1
	s_getreg_b32 s15, hwreg(HW_REG_IB_STS2, 6, 4)
	s_mul_i32 s2, ttmp9, s2
	s_mov_b32 s17, 0
	s_add_co_i32 s3, s3, s2
	s_cmp_eq_u32 s15, 0
	s_cselect_b32 s2, ttmp9, s3
	s_delay_alu instid0(SALU_CYCLE_1) | instskip(SKIP_3) | instid1(SALU_CYCLE_1)
	s_ashr_i32 s3, s2, 31
	s_wait_kmcnt 0x0
	s_ashr_i32 s19, s7, 31
	s_mov_b32 s18, s7
	s_mul_u64 s[8:9], s[18:19], s[2:3]
	s_delay_alu instid0(SALU_CYCLE_1) | instskip(NEXT) | instid1(SALU_CYCLE_1)
	s_and_b64 s[10:11], s[8:9], 0xffffffff00000000
	s_cmp_lg_u64 s[10:11], 0
	s_cbranch_scc0 .LBB20_21
; %bb.1:
	s_add_nc_u64 s[10:11], s[16:17], 0
	s_mov_b32 s23, s17
	s_xor_b64 s[10:11], s[10:11], 0
	s_mov_b32 s27, s17
	s_cvt_f32_u32 s3, s10
	s_cvt_f32_u32 s7, s11
	s_sub_nc_u64 s[20:21], 0, s[10:11]
	s_delay_alu instid0(SALU_CYCLE_2) | instskip(NEXT) | instid1(SALU_CYCLE_3)
	s_fmamk_f32 s3, s7, 0x4f800000, s3
	v_s_rcp_f32 s3, s3
	s_delay_alu instid0(TRANS32_DEP_1) | instskip(NEXT) | instid1(SALU_CYCLE_3)
	s_mul_f32 s3, s3, 0x5f7ffffc
	s_mul_f32 s7, s3, 0x2f800000
	s_delay_alu instid0(SALU_CYCLE_3) | instskip(NEXT) | instid1(SALU_CYCLE_3)
	s_trunc_f32 s7, s7
	s_fmamk_f32 s3, s7, 0xcf800000, s3
	s_cvt_u32_f32 s13, s7
	s_delay_alu instid0(SALU_CYCLE_2) | instskip(NEXT) | instid1(SALU_CYCLE_3)
	s_cvt_u32_f32 s12, s3
	s_mul_u64 s[24:25], s[20:21], s[12:13]
	s_delay_alu instid0(SALU_CYCLE_1)
	s_mul_hi_u32 s29, s12, s25
	s_mul_i32 s28, s12, s25
	s_mul_hi_u32 s22, s12, s24
	s_mul_i32 s7, s13, s24
	s_add_nc_u64 s[22:23], s[22:23], s[28:29]
	s_mul_hi_u32 s3, s13, s24
	s_mul_hi_u32 s14, s13, s25
	s_add_co_u32 s7, s22, s7
	s_add_co_ci_u32 s26, s23, s3
	s_mul_i32 s24, s13, s25
	s_add_co_ci_u32 s25, s14, 0
	s_delay_alu instid0(SALU_CYCLE_1) | instskip(SKIP_3) | instid1(SALU_CYCLE_1)
	s_add_nc_u64 s[22:23], s[26:27], s[24:25]
	s_mov_b32 s25, s17
	s_add_co_u32 s12, s12, s22
	s_cselect_b32 s3, -1, 0
	s_cmp_lg_u32 s3, 0
	s_add_co_ci_u32 s13, s13, s23
	s_mov_b32 s23, s17
	s_mul_u64 s[20:21], s[20:21], s[12:13]
	s_delay_alu instid0(SALU_CYCLE_1)
	s_mul_hi_u32 s27, s12, s21
	s_mul_i32 s26, s12, s21
	s_mul_hi_u32 s22, s12, s20
	s_mul_i32 s7, s13, s20
	s_add_nc_u64 s[22:23], s[22:23], s[26:27]
	s_mul_hi_u32 s3, s13, s20
	s_mul_hi_u32 s14, s13, s21
	s_add_co_u32 s7, s22, s7
	s_add_co_ci_u32 s24, s23, s3
	s_mul_i32 s20, s13, s21
	s_add_co_ci_u32 s21, s14, 0
	s_mov_b32 s23, s17
	s_add_nc_u64 s[20:21], s[24:25], s[20:21]
	s_delay_alu instid0(SALU_CYCLE_1) | instskip(SKIP_1) | instid1(SALU_CYCLE_1)
	s_add_co_u32 s3, s12, s20
	s_cselect_b32 s7, -1, 0
	s_cmp_lg_u32 s7, 0
	s_add_co_ci_u32 s7, s13, s21
	s_ashr_i32 s12, s9, 31
	s_delay_alu instid0(SALU_CYCLE_1) | instskip(NEXT) | instid1(SALU_CYCLE_1)
	s_mov_b32 s13, s12
	s_add_nc_u64 s[20:21], s[8:9], s[12:13]
	s_delay_alu instid0(SALU_CYCLE_1) | instskip(NEXT) | instid1(SALU_CYCLE_1)
	s_xor_b64 s[20:21], s[20:21], s[12:13]
	s_mul_hi_u32 s27, s20, s7
	s_mul_i32 s26, s20, s7
	s_mul_hi_u32 s22, s20, s3
	s_mul_hi_u32 s14, s21, s3
	s_mul_i32 s3, s21, s3
	s_add_nc_u64 s[22:23], s[22:23], s[26:27]
	s_mul_hi_u32 s9, s21, s7
	s_add_co_u32 s3, s22, s3
	s_add_co_ci_u32 s24, s23, s14
	s_mul_i32 s26, s21, s7
	s_add_co_ci_u32 s27, s9, 0
	s_delay_alu instid0(SALU_CYCLE_1) | instskip(NEXT) | instid1(SALU_CYCLE_1)
	s_add_nc_u64 s[22:23], s[24:25], s[26:27]
	s_and_b64 s[24:25], s[22:23], 0xffffffff00000000
	s_delay_alu instid0(SALU_CYCLE_1) | instskip(NEXT) | instid1(SALU_CYCLE_1)
	s_or_b32 s24, s24, s22
	s_mul_u64 s[22:23], s[10:11], s[24:25]
	s_add_nc_u64 s[26:27], s[24:25], 1
	s_sub_co_u32 s3, s20, s22
	s_cselect_b32 s7, -1, 0
	s_sub_co_i32 s9, s21, s23
	s_cmp_lg_u32 s7, 0
	s_add_nc_u64 s[28:29], s[24:25], 2
	s_sub_co_ci_u32 s9, s9, s11
	s_sub_co_u32 s14, s3, s10
	s_cselect_b32 s20, -1, 0
	s_delay_alu instid0(SALU_CYCLE_1) | instskip(SKIP_1) | instid1(SALU_CYCLE_1)
	s_cmp_lg_u32 s20, 0
	s_sub_co_ci_u32 s9, s9, 0
	s_cmp_ge_u32 s9, s11
	s_cselect_b32 s20, -1, 0
	s_cmp_ge_u32 s14, s10
	s_cselect_b32 s14, -1, 0
	s_cmp_eq_u32 s9, s11
	s_cselect_b32 s9, s14, s20
	s_delay_alu instid0(SALU_CYCLE_1) | instskip(SKIP_4) | instid1(SALU_CYCLE_1)
	s_cmp_lg_u32 s9, 0
	s_cselect_b32 s9, s28, s26
	s_cselect_b32 s14, s29, s27
	s_cmp_lg_u32 s7, 0
	s_sub_co_ci_u32 s7, s21, s23
	s_cmp_ge_u32 s7, s11
	s_cselect_b32 s20, -1, 0
	s_cmp_ge_u32 s3, s10
	s_cselect_b32 s3, -1, 0
	s_cmp_eq_u32 s7, s11
	s_cselect_b32 s3, s3, s20
	s_delay_alu instid0(SALU_CYCLE_1) | instskip(SKIP_4) | instid1(SALU_CYCLE_1)
	s_cmp_lg_u32 s3, 0
	s_mov_b32 s3, s17
	s_cselect_b32 s11, s14, s25
	s_cselect_b32 s10, s9, s24
	s_xor_b64 s[12:13], s[12:13], 0
	s_xor_b64 s[10:11], s[10:11], s[12:13]
	s_delay_alu instid0(SALU_CYCLE_1)
	s_sub_nc_u64 s[20:21], s[10:11], s[12:13]
	s_and_not1_b32 vcc_lo, exec_lo, s3
	s_cbranch_vccnz .LBB20_3
.LBB20_2:
	v_cvt_f32_u32_e32 v1, s16
	s_sub_co_i32 s7, 0, s16
	s_mov_b32 s21, 0
	s_delay_alu instid0(VALU_DEP_1) | instskip(SKIP_1) | instid1(TRANS32_DEP_1)
	v_rcp_iflag_f32_e32 v1, v1
	v_nop
	v_mul_f32_e32 v1, 0x4f7ffffe, v1
	s_delay_alu instid0(VALU_DEP_1) | instskip(NEXT) | instid1(VALU_DEP_1)
	v_cvt_u32_f32_e32 v1, v1
	v_readfirstlane_b32 s3, v1
	s_mul_i32 s7, s7, s3
	s_delay_alu instid0(SALU_CYCLE_1) | instskip(NEXT) | instid1(SALU_CYCLE_1)
	s_mul_hi_u32 s7, s3, s7
	s_add_co_i32 s3, s3, s7
	s_delay_alu instid0(SALU_CYCLE_1) | instskip(NEXT) | instid1(SALU_CYCLE_1)
	s_mul_hi_u32 s3, s8, s3
	s_mul_i32 s7, s3, s16
	s_delay_alu instid0(SALU_CYCLE_1)
	s_sub_co_i32 s7, s8, s7
	s_add_co_i32 s8, s3, 1
	s_sub_co_i32 s9, s7, s16
	s_cmp_ge_u32 s7, s16
	s_cselect_b32 s3, s8, s3
	s_cselect_b32 s7, s9, s7
	s_add_co_i32 s8, s3, 1
	s_cmp_ge_u32 s7, s16
	s_cselect_b32 s20, s8, s3
.LBB20_3:
	s_add_co_i32 s8, s2, 1
	s_delay_alu instid0(SALU_CYCLE_1) | instskip(NEXT) | instid1(SALU_CYCLE_1)
	s_ashr_i32 s9, s8, 31
	s_mul_u64 s[8:9], s[18:19], s[8:9]
	s_delay_alu instid0(SALU_CYCLE_1) | instskip(NEXT) | instid1(SALU_CYCLE_1)
	s_and_b64 s[10:11], s[8:9], 0xffffffff00000000
	s_cmp_lg_u64 s[10:11], 0
	s_cbranch_scc0 .LBB20_22
; %bb.4:
	s_add_nc_u64 s[10:11], s[16:17], 0
	s_delay_alu instid0(SALU_CYCLE_1) | instskip(SKIP_4) | instid1(SALU_CYCLE_2)
	s_xor_b64 s[12:13], s[10:11], 0
	s_mov_b32 s11, 0
	s_cvt_f32_u32 s3, s12
	s_cvt_f32_u32 s7, s13
	s_sub_nc_u64 s[24:25], 0, s[12:13]
	s_fmamk_f32 s3, s7, 0x4f800000, s3
	s_delay_alu instid0(SALU_CYCLE_3) | instskip(NEXT) | instid1(TRANS32_DEP_1)
	v_s_rcp_f32 s3, s3
	s_mul_f32 s3, s3, 0x5f7ffffc
	s_delay_alu instid0(SALU_CYCLE_3) | instskip(NEXT) | instid1(SALU_CYCLE_3)
	s_mul_f32 s7, s3, 0x2f800000
	s_trunc_f32 s7, s7
	s_delay_alu instid0(SALU_CYCLE_3) | instskip(SKIP_1) | instid1(SALU_CYCLE_2)
	s_fmamk_f32 s3, s7, 0xcf800000, s3
	s_cvt_u32_f32 s23, s7
	s_cvt_u32_f32 s22, s3
	s_delay_alu instid0(SALU_CYCLE_3) | instskip(NEXT) | instid1(SALU_CYCLE_1)
	s_mul_u64 s[26:27], s[24:25], s[22:23]
	s_mul_hi_u32 s29, s22, s27
	s_mul_i32 s28, s22, s27
	s_mul_hi_u32 s10, s22, s26
	s_mul_i32 s7, s23, s26
	s_add_nc_u64 s[28:29], s[10:11], s[28:29]
	s_mul_hi_u32 s3, s23, s26
	s_mul_hi_u32 s14, s23, s27
	s_add_co_u32 s7, s28, s7
	s_add_co_ci_u32 s10, s29, s3
	s_mul_i32 s26, s23, s27
	s_add_co_ci_u32 s27, s14, 0
	s_delay_alu instid0(SALU_CYCLE_1) | instskip(NEXT) | instid1(SALU_CYCLE_1)
	s_add_nc_u64 s[26:27], s[10:11], s[26:27]
	s_add_co_u32 s22, s22, s26
	s_cselect_b32 s3, -1, 0
	s_delay_alu instid0(SALU_CYCLE_1) | instskip(SKIP_1) | instid1(SALU_CYCLE_1)
	s_cmp_lg_u32 s3, 0
	s_add_co_ci_u32 s23, s23, s27
	s_mul_u64 s[24:25], s[24:25], s[22:23]
	s_delay_alu instid0(SALU_CYCLE_1)
	s_mul_hi_u32 s27, s22, s25
	s_mul_i32 s26, s22, s25
	s_mul_hi_u32 s10, s22, s24
	s_mul_i32 s7, s23, s24
	s_add_nc_u64 s[26:27], s[10:11], s[26:27]
	s_mul_hi_u32 s3, s23, s24
	s_mul_hi_u32 s14, s23, s25
	s_add_co_u32 s7, s26, s7
	s_add_co_ci_u32 s10, s27, s3
	s_mul_i32 s24, s23, s25
	s_add_co_ci_u32 s25, s14, 0
	s_delay_alu instid0(SALU_CYCLE_1) | instskip(NEXT) | instid1(SALU_CYCLE_1)
	s_add_nc_u64 s[24:25], s[10:11], s[24:25]
	s_add_co_u32 s3, s22, s24
	s_cselect_b32 s7, -1, 0
	s_delay_alu instid0(SALU_CYCLE_1) | instskip(SKIP_2) | instid1(SALU_CYCLE_1)
	s_cmp_lg_u32 s7, 0
	s_add_co_ci_u32 s7, s23, s25
	s_ashr_i32 s22, s9, 31
	s_mov_b32 s23, s22
	s_delay_alu instid0(SALU_CYCLE_1) | instskip(NEXT) | instid1(SALU_CYCLE_1)
	s_add_nc_u64 s[24:25], s[8:9], s[22:23]
	s_xor_b64 s[24:25], s[24:25], s[22:23]
	s_delay_alu instid0(SALU_CYCLE_1)
	s_mul_hi_u32 s27, s24, s7
	s_mul_i32 s26, s24, s7
	s_mul_hi_u32 s10, s24, s3
	s_mul_hi_u32 s14, s25, s3
	s_mul_i32 s3, s25, s3
	s_add_nc_u64 s[26:27], s[10:11], s[26:27]
	s_mul_hi_u32 s9, s25, s7
	s_add_co_u32 s3, s26, s3
	s_add_co_ci_u32 s10, s27, s14
	s_mul_i32 s28, s25, s7
	s_add_co_ci_u32 s29, s9, 0
	s_delay_alu instid0(SALU_CYCLE_1) | instskip(NEXT) | instid1(SALU_CYCLE_1)
	s_add_nc_u64 s[26:27], s[10:11], s[28:29]
	s_and_b64 s[28:29], s[26:27], 0xffffffff00000000
	s_delay_alu instid0(SALU_CYCLE_1) | instskip(NEXT) | instid1(SALU_CYCLE_1)
	s_or_b32 s28, s28, s26
	s_mul_u64 s[26:27], s[12:13], s[28:29]
	s_add_nc_u64 s[30:31], s[28:29], 1
	s_sub_co_u32 s3, s24, s26
	s_cselect_b32 s7, -1, 0
	s_sub_co_i32 s9, s25, s27
	s_cmp_lg_u32 s7, 0
	s_add_nc_u64 s[34:35], s[28:29], 2
	s_sub_co_ci_u32 s9, s9, s13
	s_sub_co_u32 s10, s3, s12
	s_cselect_b32 s14, -1, 0
	s_delay_alu instid0(SALU_CYCLE_1) | instskip(SKIP_1) | instid1(SALU_CYCLE_1)
	s_cmp_lg_u32 s14, 0
	s_sub_co_ci_u32 s9, s9, 0
	s_cmp_ge_u32 s9, s13
	s_cselect_b32 s14, -1, 0
	s_cmp_ge_u32 s10, s12
	s_cselect_b32 s10, -1, 0
	s_cmp_eq_u32 s9, s13
	s_cselect_b32 s9, s10, s14
	s_delay_alu instid0(SALU_CYCLE_1) | instskip(SKIP_4) | instid1(SALU_CYCLE_1)
	s_cmp_lg_u32 s9, 0
	s_cselect_b32 s9, s34, s30
	s_cselect_b32 s10, s35, s31
	s_cmp_lg_u32 s7, 0
	s_sub_co_ci_u32 s7, s25, s27
	s_cmp_ge_u32 s7, s13
	s_cselect_b32 s14, -1, 0
	s_cmp_ge_u32 s3, s12
	s_cselect_b32 s3, -1, 0
	s_cmp_eq_u32 s7, s13
	s_cselect_b32 s3, s3, s14
	s_delay_alu instid0(SALU_CYCLE_1) | instskip(SKIP_3) | instid1(SALU_CYCLE_1)
	s_cmp_lg_u32 s3, 0
	s_cselect_b32 s13, s10, s29
	s_cselect_b32 s12, s9, s28
	s_xor_b64 s[22:23], s[22:23], 0
	s_xor_b64 s[12:13], s[12:13], s[22:23]
	s_delay_alu instid0(SALU_CYCLE_1)
	s_sub_nc_u64 s[24:25], s[12:13], s[22:23]
	s_load_b96 s[12:14], s[0:1], 0x44
	s_cbranch_execnz .LBB20_6
.LBB20_5:
	v_cvt_f32_u32_e32 v1, s16
	s_sub_co_i32 s7, 0, s16
	s_delay_alu instid0(VALU_DEP_1) | instskip(SKIP_1) | instid1(TRANS32_DEP_1)
	v_rcp_iflag_f32_e32 v1, v1
	v_nop
	v_mul_f32_e32 v1, 0x4f7ffffe, v1
	s_delay_alu instid0(VALU_DEP_1) | instskip(NEXT) | instid1(VALU_DEP_1)
	v_cvt_u32_f32_e32 v1, v1
	v_readfirstlane_b32 s3, v1
	s_mul_i32 s7, s7, s3
	s_delay_alu instid0(SALU_CYCLE_1) | instskip(NEXT) | instid1(SALU_CYCLE_1)
	s_mul_hi_u32 s7, s3, s7
	s_add_co_i32 s3, s3, s7
	s_delay_alu instid0(SALU_CYCLE_1) | instskip(NEXT) | instid1(SALU_CYCLE_1)
	s_mul_hi_u32 s3, s8, s3
	s_mul_i32 s7, s3, s16
	s_delay_alu instid0(SALU_CYCLE_1)
	s_sub_co_i32 s7, s8, s7
	s_add_co_i32 s8, s3, 1
	s_sub_co_i32 s9, s7, s16
	s_cmp_ge_u32 s7, s16
	s_cselect_b32 s3, s8, s3
	s_cselect_b32 s7, s9, s7
	s_add_co_i32 s8, s3, 1
	s_cmp_ge_u32 s7, s16
	s_cselect_b32 s24, s8, s3
.LBB20_6:
	s_delay_alu instid0(SALU_CYCLE_1)
	s_cmp_eq_u32 s20, s24
	s_mov_b64 s[8:9], 0xffffffff
	s_cselect_b32 s3, -1, 0
	s_and_b64 s[8:9], s[20:21], s[8:9]
	s_mov_b32 s23, 0
	s_wait_kmcnt 0x0
	s_mov_b32 s22, s12
	s_mov_b32 s25, s23
	s_mul_u64 s[10:11], s[8:9], s[22:23]
	s_delay_alu instid0(SALU_CYCLE_1) | instskip(SKIP_2) | instid1(SALU_CYCLE_1)
	s_add_co_i32 s7, s11, s20
	s_mul_u64 s[10:11], s[24:25], s[22:23]
	s_lshr_b32 s12, s7, s13
	s_mul_i32 s7, s12, s14
	s_delay_alu instid0(SALU_CYCLE_1) | instskip(SKIP_2) | instid1(SALU_CYCLE_1)
	s_cmp_eq_u32 s7, s20
	s_cselect_b32 s7, -1, 0
	s_add_co_i32 s10, s11, s24
	s_lshr_b32 s10, s10, s13
	s_delay_alu instid0(SALU_CYCLE_1)
	s_cmp_eq_u32 s12, s10
	s_mul_i32 s10, s10, s14
	s_cselect_b32 s11, -1, 0
	s_cmp_lg_u32 s10, s24
	s_cselect_b32 s10, -1, 0
	s_or_b32 s3, s3, s7
	s_and_b32 s10, s11, s10
	s_delay_alu instid0(SALU_CYCLE_1) | instskip(NEXT) | instid1(SALU_CYCLE_1)
	s_or_b32 s3, s3, s10
	s_and_b32 vcc_lo, exec_lo, s3
	s_cbranch_vccnz .LBB20_24
; %bb.7:
	s_load_b256 s[24:31], s[0:1], 0x20
	s_bfe_u32 s7, ttmp6, 0x40014
	s_bfe_u32 s33, ttmp6, 0x40010
	s_lshr_b32 s3, ttmp7, 16
	s_add_co_i32 s7, s7, 1
	s_and_b32 s21, ttmp7, 0xffff
	s_add_co_i32 s33, s33, 1
	s_bfe_u32 s10, ttmp6, 0x40008
	s_mul_i32 s7, s3, s7
	s_bfe_u32 s34, ttmp6, 0x40004
	s_mul_i32 s33, s21, s33
	s_mov_b32 s11, s23
	s_add_co_i32 s35, s10, s7
	s_add_co_i32 s34, s34, s33
	s_cmp_eq_u32 s15, 0
	s_cselect_b32 s7, s21, s34
	s_cselect_b32 s3, s3, s35
	s_wait_kmcnt 0x0
	s_mov_b32 s10, s24
	s_delay_alu instid0(SALU_CYCLE_1) | instskip(NEXT) | instid1(SALU_CYCLE_1)
	s_mul_u64 s[8:9], s[8:9], s[10:11]
	s_add_co_i32 s8, s9, s20
	s_delay_alu instid0(SALU_CYCLE_1) | instskip(SKIP_2) | instid1(SALU_CYCLE_1)
	s_lshr_b32 s15, s8, s25
	s_load_b32 s8, s[0:1], 0x40
	s_mul_i32 s9, s15, s26
	s_sub_co_i32 s9, s20, s9
	s_delay_alu instid0(SALU_CYCLE_1) | instskip(NEXT) | instid1(SALU_CYCLE_1)
	s_mul_hi_u32 s10, s9, s27
	s_add_co_i32 s10, s9, s10
	s_delay_alu instid0(SALU_CYCLE_1) | instskip(NEXT) | instid1(SALU_CYCLE_1)
	s_lshr_b32 s21, s10, s28
	s_mul_i32 s10, s21, s29
	s_delay_alu instid0(SALU_CYCLE_1) | instskip(NEXT) | instid1(SALU_CYCLE_1)
	s_sub_co_i32 s10, s9, s10
	s_mul_hi_u32 s9, s10, s30
	s_delay_alu instid0(SALU_CYCLE_1) | instskip(NEXT) | instid1(SALU_CYCLE_1)
	s_add_co_i32 s9, s10, s9
	s_lshr_b32 s25, s9, s31
	s_mov_b32 s9, s23
	s_wait_kmcnt 0x0
	s_mul_i32 s8, s25, s8
	s_lshl_b32 s25, s25, 2
	s_sub_co_i32 s8, s10, s8
	s_delay_alu instid0(SALU_CYCLE_1) | instskip(NEXT) | instid1(SALU_CYCLE_1)
	s_mul_u64 s[10:11], s[8:9], s[22:23]
	s_add_co_i32 s8, s8, s11
	s_delay_alu instid0(SALU_CYCLE_1) | instskip(NEXT) | instid1(SALU_CYCLE_1)
	s_lshr_b32 s24, s8, s13
	s_lshl_b32 s8, s24, 4
	s_delay_alu instid0(SALU_CYCLE_1) | instskip(NEXT) | instid1(SALU_CYCLE_1)
	s_add_co_i32 s8, s8, s7
	s_cmp_lt_i32 s8, s4
	s_cselect_b32 s8, -1, 0
	s_add_co_i32 s25, s25, s3
	s_delay_alu instid0(SALU_CYCLE_1) | instskip(SKIP_1) | instid1(SALU_CYCLE_1)
	s_cmp_lt_i32 s25, s6
	s_cselect_b32 s9, -1, 0
	s_and_b32 s8, s8, s9
	s_delay_alu instid0(SALU_CYCLE_1)
	s_and_not1_b32 vcc_lo, exec_lo, s8
	s_cbranch_vccnz .LBB20_24
; %bb.8:
	s_load_b128 s[8:11], s[0:1], 0x0
	s_wait_xcnt 0x0
	s_mul_i32 s0, s15, s4
	s_mul_i32 s21, s21, s6
	s_add_co_i32 s0, s0, s7
	s_add_co_i32 s1, s25, s21
	s_mul_i32 s0, s0, s5
	s_mul_i32 s4, s5, s24
	s_add_co_i32 s0, s1, s0
	s_mulk_i32 s4, 0x480
	s_mulk_i32 s0, 0x48
	s_lshl_b32 s15, s7, 2
	v_add3_u32 v2, s4, s0, v0
	s_add_nc_u64 s[0:1], s[16:17], 0
	s_add_co_i32 s15, s15, s3
	s_xor_b64 s[6:7], s[0:1], 0
	s_lshl_b32 s0, s2, 6
	s_cvt_f32_u32 s3, s6
	s_cvt_f32_u32 s4, s7
	s_add_co_i32 s0, s15, s0
	v_cvt_f32_u32_e32 v4, s16
	s_wait_kmcnt 0x0
	global_load_b32 v1, v2, s[8:9] scale_offset
	s_fmamk_f32 s3, s4, 0x4f800000, s3
	s_ashr_i32 s1, s0, 31
	s_lshl_b32 s24, s16, 8
	s_lshl_b64 s[0:1], s[0:1], 3
	v_s_rcp_f32 s3, s3
	s_add_nc_u64 s[0:1], s[10:11], s[0:1]
	v_rcp_iflag_f32_e32 v4, v4
	s_load_b64 s[28:29], s[0:1], 0x0
	s_mov_b32 s25, 0
	v_mad_u32 v6, 0x48, s15, v0
	v_ashrrev_i32_e32 v3, 31, v2
	s_wait_xcnt 0x0
	s_lshl_b64 s[0:1], s[24:25], 2
	s_mul_f32 s3, s3, 0x5f7ffffc
	v_mul_f32_e32 v4, 0x4f7ffffe, v4
	s_add_nc_u64 s[26:27], s[10:11], s[0:1]
	v_lshl_add_u64 v[2:3], v[2:3], 2, s[8:9]
	s_mul_f32 s4, s3, 0x2f800000
	s_mov_b64 s[8:9], 0xffffffff
	v_cvt_u32_f32_e32 v7, v4
	s_add_co_i32 s36, s2, -1
	s_trunc_f32 s4, s4
	s_sub_nc_u64 s[34:35], 0, s[6:7]
	s_delay_alu instid0(SALU_CYCLE_2)
	s_fmamk_f32 s0, s4, 0xcf800000, s3
	s_cvt_u32_f32 s31, s4
	s_wait_kmcnt 0x0
	v_mov_b32_e32 v0, s29
	s_cvt_u32_f32 s30, s0
.LBB20_9:                               ; =>This Inner Loop Header: Depth=1
	s_ashr_i32 s37, s36, 31
                                        ; implicit-def: $sgpr40_sgpr41
	s_delay_alu instid0(SALU_CYCLE_1) | instskip(NEXT) | instid1(SALU_CYCLE_1)
	s_mul_u64 s[0:1], s[36:37], s[18:19]
	s_and_b64 s[2:3], s[0:1], 0xffffffff00000000
	s_delay_alu instid0(SALU_CYCLE_1)
	s_cmp_lg_u64 s[2:3], 0
	s_mov_b32 s2, -1
	s_cbranch_scc0 .LBB20_11
; %bb.10:                               ;   in Loop: Header=BB20_9 Depth=1
	s_mul_u64 s[2:3], s[34:35], s[30:31]
	s_delay_alu instid0(SALU_CYCLE_1)
	s_mul_hi_u32 s5, s30, s3
	s_mul_i32 s4, s30, s3
	s_mul_hi_u32 s24, s30, s2
	s_mul_hi_u32 s17, s31, s2
	s_add_nc_u64 s[4:5], s[24:25], s[4:5]
	s_mul_i32 s2, s31, s2
	s_mul_hi_u32 s21, s31, s3
	s_add_co_u32 s2, s4, s2
	s_add_co_ci_u32 s24, s5, s17
	s_add_co_ci_u32 s5, s21, 0
	s_mul_i32 s4, s31, s3
	s_delay_alu instid0(SALU_CYCLE_1) | instskip(NEXT) | instid1(SALU_CYCLE_1)
	s_add_nc_u64 s[2:3], s[24:25], s[4:5]
	s_add_co_u32 s2, s30, s2
	s_cselect_b32 s4, -1, 0
	s_delay_alu instid0(SALU_CYCLE_1) | instskip(SKIP_1) | instid1(SALU_CYCLE_1)
	s_cmp_lg_u32 s4, 0
	s_add_co_ci_u32 s3, s31, s3
	s_mul_u64 s[4:5], s[34:35], s[2:3]
	s_delay_alu instid0(SALU_CYCLE_1)
	s_mul_hi_u32 s39, s2, s5
	s_mul_i32 s38, s2, s5
	s_mul_hi_u32 s24, s2, s4
	s_mul_hi_u32 s17, s3, s4
	s_mul_i32 s4, s3, s4
	s_add_nc_u64 s[38:39], s[24:25], s[38:39]
	s_mul_hi_u32 s21, s3, s5
	s_add_co_u32 s4, s38, s4
	s_add_co_ci_u32 s24, s39, s17
	s_mul_i32 s4, s3, s5
	s_add_co_ci_u32 s5, s21, 0
	s_delay_alu instid0(SALU_CYCLE_1) | instskip(NEXT) | instid1(SALU_CYCLE_1)
	s_add_nc_u64 s[4:5], s[24:25], s[4:5]
	s_add_co_u32 s17, s2, s4
	s_cselect_b32 s2, -1, 0
	s_delay_alu instid0(SALU_CYCLE_1) | instskip(SKIP_2) | instid1(SALU_CYCLE_1)
	s_cmp_lg_u32 s2, 0
	s_add_co_ci_u32 s21, s3, s5
	s_ashr_i32 s2, s1, 31
	s_mov_b32 s3, s2
	s_delay_alu instid0(SALU_CYCLE_1) | instskip(NEXT) | instid1(SALU_CYCLE_1)
	s_add_nc_u64 s[4:5], s[0:1], s[2:3]
	s_xor_b64 s[4:5], s[4:5], s[2:3]
	s_delay_alu instid0(SALU_CYCLE_1)
	s_mul_hi_u32 s39, s4, s21
	s_mul_i32 s38, s4, s21
	s_mul_hi_u32 s24, s4, s17
	s_mul_hi_u32 s29, s5, s17
	s_mul_i32 s17, s5, s17
	s_add_nc_u64 s[38:39], s[24:25], s[38:39]
	s_mul_hi_u32 s1, s5, s21
	s_add_co_u32 s17, s38, s17
	s_add_co_ci_u32 s24, s39, s29
	s_mul_i32 s40, s5, s21
	s_add_co_ci_u32 s41, s1, 0
	s_delay_alu instid0(SALU_CYCLE_1) | instskip(NEXT) | instid1(SALU_CYCLE_1)
	s_add_nc_u64 s[38:39], s[24:25], s[40:41]
	s_and_b64 s[40:41], s[38:39], 0xffffffff00000000
	s_delay_alu instid0(SALU_CYCLE_1) | instskip(NEXT) | instid1(SALU_CYCLE_1)
	s_or_b32 s40, s40, s38
	s_mul_u64 s[38:39], s[6:7], s[40:41]
	s_add_nc_u64 s[42:43], s[40:41], 1
	s_sub_co_u32 s1, s4, s38
	s_cselect_b32 s4, -1, 0
	s_sub_co_i32 s17, s5, s39
	s_cmp_lg_u32 s4, 0
	s_add_nc_u64 s[44:45], s[40:41], 2
	s_sub_co_ci_u32 s17, s17, s7
	s_sub_co_u32 s21, s1, s6
	s_cselect_b32 s24, -1, 0
	s_delay_alu instid0(SALU_CYCLE_1) | instskip(SKIP_1) | instid1(SALU_CYCLE_1)
	s_cmp_lg_u32 s24, 0
	s_sub_co_ci_u32 s17, s17, 0
	s_cmp_ge_u32 s17, s7
	s_cselect_b32 s24, -1, 0
	s_cmp_ge_u32 s21, s6
	s_cselect_b32 s21, -1, 0
	s_cmp_eq_u32 s17, s7
	s_cselect_b32 s17, s21, s24
	s_delay_alu instid0(SALU_CYCLE_1) | instskip(SKIP_4) | instid1(SALU_CYCLE_1)
	s_cmp_lg_u32 s17, 0
	s_cselect_b32 s17, s44, s42
	s_cselect_b32 s21, s45, s43
	s_cmp_lg_u32 s4, 0
	s_sub_co_ci_u32 s4, s5, s39
	s_cmp_ge_u32 s4, s7
	s_cselect_b32 s5, -1, 0
	s_cmp_ge_u32 s1, s6
	s_cselect_b32 s1, -1, 0
	s_cmp_eq_u32 s4, s7
	s_cselect_b32 s1, s1, s5
	s_delay_alu instid0(SALU_CYCLE_1) | instskip(SKIP_3) | instid1(SALU_CYCLE_1)
	s_cmp_lg_u32 s1, 0
	s_cselect_b32 s5, s21, s41
	s_cselect_b32 s4, s17, s40
	s_xor_b64 s[2:3], s[2:3], 0
	s_xor_b64 s[4:5], s[4:5], s[2:3]
	s_delay_alu instid0(SALU_CYCLE_1)
	s_sub_nc_u64 s[40:41], s[4:5], s[2:3]
	s_mov_b32 s2, 0
.LBB20_11:                              ;   in Loop: Header=BB20_9 Depth=1
	s_delay_alu instid0(SALU_CYCLE_1)
	s_and_not1_b32 vcc_lo, exec_lo, s2
	s_cbranch_vccnz .LBB20_13
; %bb.12:                               ;   in Loop: Header=BB20_9 Depth=1
	v_readfirstlane_b32 s1, v7
	s_sub_co_i32 s2, 0, s16
	s_delay_alu instid0(SALU_CYCLE_1) | instskip(NEXT) | instid1(SALU_CYCLE_1)
	s_mul_i32 s2, s2, s1
	s_mul_hi_u32 s2, s1, s2
	s_delay_alu instid0(SALU_CYCLE_1) | instskip(NEXT) | instid1(SALU_CYCLE_1)
	s_add_co_i32 s1, s1, s2
	s_mul_hi_u32 s1, s0, s1
	s_delay_alu instid0(SALU_CYCLE_1) | instskip(NEXT) | instid1(SALU_CYCLE_1)
	s_mul_i32 s2, s1, s16
	s_sub_co_i32 s0, s0, s2
	s_add_co_i32 s2, s1, 1
	s_sub_co_i32 s3, s0, s16
	s_cmp_ge_u32 s0, s16
	s_cselect_b32 s1, s2, s1
	s_cselect_b32 s0, s3, s0
	s_add_co_i32 s2, s1, 1
	s_cmp_ge_u32 s0, s16
	s_cselect_b32 s24, s2, s1
	s_delay_alu instid0(SALU_CYCLE_1)
	s_mov_b64 s[40:41], s[24:25]
.LBB20_13:                              ;   in Loop: Header=BB20_9 Depth=1
	s_delay_alu instid0(SALU_CYCLE_1)
	s_cmp_lg_u32 s20, s40
	s_mov_b32 s0, -1
                                        ; implicit-def: $vgpr4_vgpr5
                                        ; implicit-def: $sgpr24
                                        ; implicit-def: $sgpr17
                                        ; implicit-def: $sgpr21
                                        ; implicit-def: $sgpr29
	s_cbranch_scc0 .LBB20_18
; %bb.14:                               ;   in Loop: Header=BB20_9 Depth=1
	s_add_co_i32 s0, s36, s16
	v_max_num_f32_e64 v4, s28, s28
	s_lshl_b32 s0, s0, 6
	s_mov_b32 s29, s20
	s_add_co_i32 s0, s0, s15
	s_load_b64 s[38:39], s[10:11], s0 offset:0x0 scale_offset
	s_wait_xcnt 0x0
	v_readfirstlane_b32 s0, v4
	s_wait_kmcnt 0x0
	v_max_num_f32_e64 v5, s38, s38
	s_delay_alu instid0(VALU_DEP_1) | instskip(SKIP_1) | instid1(SALU_CYCLE_3)
	v_readfirstlane_b32 s1, v5
	s_max_num_f32 s17, s0, s1
	s_sub_f32 s33, s28, s17
	s_sub_f32 s37, s38, s17
	s_delay_alu instid0(SALU_CYCLE_2)
	s_cmp_nlt_f32 s33, 0xc2ce8ed0
	s_cselect_b32 s1, -1, 0
	s_cmp_ngt_f32 s33, 0x42b17218
	s_cselect_b32 s2, -1, 0
	s_cmp_ge_f32 s33, 0xc1a00000
	s_cselect_b32 s0, -1, 0
	s_cmp_nlt_f32 s37, 0xc2ce8ed0
	s_cselect_b32 s3, -1, 0
	s_cmp_ngt_f32 s37, 0x42b17218
	s_cselect_b32 s4, -1, 0
	s_cmp_ge_f32 s37, 0xc1a00000
	s_cselect_b32 s5, -1, 0
	s_and_b64 s[42:43], s[40:41], s[8:9]
	s_delay_alu instid0(SALU_CYCLE_1) | instskip(NEXT) | instid1(SALU_CYCLE_1)
	s_mul_u64 s[42:43], s[42:43], s[22:23]
	s_add_co_i32 s21, s43, s40
	s_delay_alu instid0(SALU_CYCLE_1) | instskip(NEXT) | instid1(SALU_CYCLE_1)
	s_lshr_b32 s21, s21, s13
	s_mul_i32 s24, s21, s14
	s_delay_alu instid0(SALU_CYCLE_1) | instskip(SKIP_3) | instid1(SALU_CYCLE_1)
	s_cmp_eq_u32 s24, s40
	s_cselect_b32 s24, -1, 0
	s_cmp_lt_u32 s21, s12
	s_cselect_b32 s21, -1, 0
	s_or_b32 s21, s21, s24
	s_mov_b32 s24, -1
	s_and_b32 vcc_lo, exec_lo, s21
	s_mov_b32 s21, s36
	s_cbranch_vccnz .LBB20_16
; %bb.15:                               ;   in Loop: Header=BB20_9 Depth=1
	s_add_co_i32 s21, s36, -1
	s_mov_b32 s24, 0
	s_mov_b32 s29, s40
.LBB20_16:                              ;   in Loop: Header=BB20_9 Depth=1
	v_mad_u32 v4, 0x1200, s36, v6
	s_mul_f32 s40, s33, 0x3fb8aa3b
	s_mul_f32 s38, s37, 0x3fb8aa3b
	s_delay_alu instid0(SALU_CYCLE_2)
	s_xor_b32 s42, s40, 0x80000000
	s_rndne_f32 s44, s40
	s_fmamk_f32 s42, s33, 0x3fb8aa3b, s42
	s_xor_b32 s41, s38, 0x80000000
	s_rndne_f32 s43, s38
	s_sub_f32 s40, s40, s44
	global_load_b32 v5, v4, s[26:27] scale_offset
	s_fmamk_f32 s33, s33, 0x32a5705f, s42
	s_fmamk_f32 s41, s37, 0x3fb8aa3b, s41
	s_sub_f32 s38, s38, s43
	s_delay_alu instid0(SALU_CYCLE_1) | instskip(NEXT) | instid1(SALU_CYCLE_1)
	s_add_f32 s33, s40, s33
	s_fmamk_f32 s37, s37, 0x32a5705f, s41
	s_cvt_i32_f32 s40, s44
	s_delay_alu instid0(SALU_CYCLE_1) | instskip(NEXT) | instid1(SALU_CYCLE_1)
	v_s_exp_f32 s33, s33
	s_add_f32 s37, s38, s37
	s_cvt_i32_f32 s38, s43
	s_delay_alu instid0(SALU_CYCLE_2) | instskip(NEXT) | instid1(TRANS32_DEP_2)
	v_s_exp_f32 s37, s37
	v_ldexp_f32 v8, s33, s40
	s_wait_xcnt 0x0
	s_delay_alu instid0(TRANS32_DEP_1) | instskip(NEXT) | instid1(VALU_DEP_2)
	v_ldexp_f32 v4, s37, s38
	v_cndmask_b32_e64 v8, 0, v8, s1
	s_delay_alu instid0(VALU_DEP_1) | instskip(NEXT) | instid1(VALU_DEP_1)
	v_cndmask_b32_e64 v9, 0x7f800000, v8, s2
	v_dual_cndmask_b32 v4, 0, v4, s3 :: v_dual_cndmask_b32 v10, 0, v9, s0
	s_delay_alu instid0(VALU_DEP_1) | instskip(NEXT) | instid1(VALU_DEP_1)
	v_cndmask_b32_e64 v4, 0x7f800000, v4, s4
	v_dual_cndmask_b32 v8, 0, v4, s5 :: v_dual_mov_b32 v4, s39
	s_wait_loadcnt 0x0
	s_delay_alu instid0(VALU_DEP_1) | instskip(NEXT) | instid1(VALU_DEP_1)
	v_pk_mul_f32 v[4:5], v[4:5], v[8:9] op_sel_hi:[1,0]
	v_pk_fma_f32 v[4:5], v[0:1], v[10:11], v[4:5] op_sel_hi:[1,0,1]
	s_cbranch_execz .LBB20_19
.LBB20_17:                              ;   in Loop: Header=BB20_9 Depth=1
	s_and_not1_b32 vcc_lo, exec_lo, s24
	s_cbranch_vccnz .LBB20_20
	s_branch .LBB20_23
.LBB20_18:                              ;   in Loop: Header=BB20_9 Depth=1
	s_and_not1_b32 vcc_lo, exec_lo, s0
	s_cbranch_vccnz .LBB20_17
.LBB20_19:                              ;   in Loop: Header=BB20_9 Depth=1
	s_wait_loadcnt 0x0
	v_mov_b64_e32 v[4:5], v[0:1]
	s_add_co_i32 s21, s36, -1
	s_mov_b32 s29, s20
	s_mov_b32 s17, s28
	s_cbranch_execz .LBB20_23
.LBB20_20:                              ;   in Loop: Header=BB20_9 Depth=1
	s_wait_loadcnt 0x0
	s_delay_alu instid0(VALU_DEP_1)
	v_mov_b64_e32 v[0:1], v[4:5]
	s_mov_b32 s20, s29
	s_mov_b32 s36, s21
	;; [unrolled: 1-line block ×3, first 2 shown]
	s_branch .LBB20_9
.LBB20_21:
                                        ; implicit-def: $sgpr20_sgpr21
	s_branch .LBB20_2
.LBB20_22:
                                        ; implicit-def: $sgpr24_sgpr25
	s_load_b96 s[12:14], s[0:1], 0x44
	s_branch .LBB20_5
.LBB20_23:
	s_delay_alu instid0(VALU_DEP_1) | instskip(SKIP_1) | instid1(VALU_DEP_1)
	v_div_scale_f32 v0, null, v4, v4, v5
	s_wait_loadcnt 0x0
	v_rcp_f32_e32 v1, v0
	v_nop
	s_delay_alu instid0(TRANS32_DEP_1) | instskip(NEXT) | instid1(VALU_DEP_1)
	v_fma_f32 v6, -v0, v1, 1.0
	v_fmac_f32_e32 v1, v6, v1
	v_div_scale_f32 v6, vcc_lo, v5, v4, v5
	s_delay_alu instid0(VALU_DEP_1) | instskip(NEXT) | instid1(VALU_DEP_1)
	v_mul_f32_e32 v7, v6, v1
	v_fma_f32 v8, -v0, v7, v6
	s_delay_alu instid0(VALU_DEP_1) | instskip(NEXT) | instid1(VALU_DEP_1)
	v_fmac_f32_e32 v7, v8, v1
	v_fma_f32 v0, -v0, v7, v6
	s_delay_alu instid0(VALU_DEP_1) | instskip(NEXT) | instid1(VALU_DEP_1)
	v_div_fmas_f32 v0, v0, v1, v7
	v_div_fixup_f32 v0, v0, v4, v5
	global_store_b32 v[2:3], v0, off
.LBB20_24:
	s_endpgm
	.section	.rodata,"a",@progbits
	.p2align	6, 0x0
	.amdhsa_kernel _ZL33flash_attn_stream_k_fixup_generalILi72ELi16ELi4EEvPfPK15HIP_vector_typeIfLj2EEiiiiS1_IjLj3EES5_S5_S5_
		.amdhsa_group_segment_fixed_size 0
		.amdhsa_private_segment_fixed_size 0
		.amdhsa_kernarg_size 336
		.amdhsa_user_sgpr_count 2
		.amdhsa_user_sgpr_dispatch_ptr 0
		.amdhsa_user_sgpr_queue_ptr 0
		.amdhsa_user_sgpr_kernarg_segment_ptr 1
		.amdhsa_user_sgpr_dispatch_id 0
		.amdhsa_user_sgpr_kernarg_preload_length 0
		.amdhsa_user_sgpr_kernarg_preload_offset 0
		.amdhsa_user_sgpr_private_segment_size 0
		.amdhsa_wavefront_size32 1
		.amdhsa_uses_dynamic_stack 0
		.amdhsa_enable_private_segment 0
		.amdhsa_system_sgpr_workgroup_id_x 1
		.amdhsa_system_sgpr_workgroup_id_y 1
		.amdhsa_system_sgpr_workgroup_id_z 1
		.amdhsa_system_sgpr_workgroup_info 0
		.amdhsa_system_vgpr_workitem_id 0
		.amdhsa_next_free_vgpr 12
		.amdhsa_next_free_sgpr 46
		.amdhsa_named_barrier_count 0
		.amdhsa_reserve_vcc 1
		.amdhsa_float_round_mode_32 0
		.amdhsa_float_round_mode_16_64 0
		.amdhsa_float_denorm_mode_32 3
		.amdhsa_float_denorm_mode_16_64 3
		.amdhsa_fp16_overflow 0
		.amdhsa_memory_ordered 1
		.amdhsa_forward_progress 1
		.amdhsa_inst_pref_size 27
		.amdhsa_round_robin_scheduling 0
		.amdhsa_exception_fp_ieee_invalid_op 0
		.amdhsa_exception_fp_denorm_src 0
		.amdhsa_exception_fp_ieee_div_zero 0
		.amdhsa_exception_fp_ieee_overflow 0
		.amdhsa_exception_fp_ieee_underflow 0
		.amdhsa_exception_fp_ieee_inexact 0
		.amdhsa_exception_int_div_zero 0
	.end_amdhsa_kernel
	.section	.text._ZL33flash_attn_stream_k_fixup_generalILi72ELi16ELi4EEvPfPK15HIP_vector_typeIfLj2EEiiiiS1_IjLj3EES5_S5_S5_,"axG",@progbits,_ZL33flash_attn_stream_k_fixup_generalILi72ELi16ELi4EEvPfPK15HIP_vector_typeIfLj2EEiiiiS1_IjLj3EES5_S5_S5_,comdat
.Lfunc_end20:
	.size	_ZL33flash_attn_stream_k_fixup_generalILi72ELi16ELi4EEvPfPK15HIP_vector_typeIfLj2EEiiiiS1_IjLj3EES5_S5_S5_, .Lfunc_end20-_ZL33flash_attn_stream_k_fixup_generalILi72ELi16ELi4EEvPfPK15HIP_vector_typeIfLj2EEiiiiS1_IjLj3EES5_S5_S5_
                                        ; -- End function
	.set _ZL33flash_attn_stream_k_fixup_generalILi72ELi16ELi4EEvPfPK15HIP_vector_typeIfLj2EEiiiiS1_IjLj3EES5_S5_S5_.num_vgpr, 12
	.set _ZL33flash_attn_stream_k_fixup_generalILi72ELi16ELi4EEvPfPK15HIP_vector_typeIfLj2EEiiiiS1_IjLj3EES5_S5_S5_.num_agpr, 0
	.set _ZL33flash_attn_stream_k_fixup_generalILi72ELi16ELi4EEvPfPK15HIP_vector_typeIfLj2EEiiiiS1_IjLj3EES5_S5_S5_.numbered_sgpr, 46
	.set _ZL33flash_attn_stream_k_fixup_generalILi72ELi16ELi4EEvPfPK15HIP_vector_typeIfLj2EEiiiiS1_IjLj3EES5_S5_S5_.num_named_barrier, 0
	.set _ZL33flash_attn_stream_k_fixup_generalILi72ELi16ELi4EEvPfPK15HIP_vector_typeIfLj2EEiiiiS1_IjLj3EES5_S5_S5_.private_seg_size, 0
	.set _ZL33flash_attn_stream_k_fixup_generalILi72ELi16ELi4EEvPfPK15HIP_vector_typeIfLj2EEiiiiS1_IjLj3EES5_S5_S5_.uses_vcc, 1
	.set _ZL33flash_attn_stream_k_fixup_generalILi72ELi16ELi4EEvPfPK15HIP_vector_typeIfLj2EEiiiiS1_IjLj3EES5_S5_S5_.uses_flat_scratch, 0
	.set _ZL33flash_attn_stream_k_fixup_generalILi72ELi16ELi4EEvPfPK15HIP_vector_typeIfLj2EEiiiiS1_IjLj3EES5_S5_S5_.has_dyn_sized_stack, 0
	.set _ZL33flash_attn_stream_k_fixup_generalILi72ELi16ELi4EEvPfPK15HIP_vector_typeIfLj2EEiiiiS1_IjLj3EES5_S5_S5_.has_recursion, 0
	.set _ZL33flash_attn_stream_k_fixup_generalILi72ELi16ELi4EEvPfPK15HIP_vector_typeIfLj2EEiiiiS1_IjLj3EES5_S5_S5_.has_indirect_call, 0
	.section	.AMDGPU.csdata,"",@progbits
; Kernel info:
; codeLenInByte = 3352
; TotalNumSgprs: 48
; NumVgprs: 12
; ScratchSize: 0
; MemoryBound: 0
; FloatMode: 240
; IeeeMode: 1
; LDSByteSize: 0 bytes/workgroup (compile time only)
; SGPRBlocks: 0
; VGPRBlocks: 0
; NumSGPRsForWavesPerEU: 48
; NumVGPRsForWavesPerEU: 12
; NamedBarCnt: 0
; Occupancy: 16
; WaveLimiterHint : 0
; COMPUTE_PGM_RSRC2:SCRATCH_EN: 0
; COMPUTE_PGM_RSRC2:USER_SGPR: 2
; COMPUTE_PGM_RSRC2:TRAP_HANDLER: 0
; COMPUTE_PGM_RSRC2:TGID_X_EN: 1
; COMPUTE_PGM_RSRC2:TGID_Y_EN: 1
; COMPUTE_PGM_RSRC2:TGID_Z_EN: 1
; COMPUTE_PGM_RSRC2:TIDIG_COMP_CNT: 0
	.section	.text._ZL15flash_attn_tileILi72ELi72ELi8ELi4ELb0EEvPKcS1_S1_S1_S1_PKiPfP15HIP_vector_typeIfLj2EEffffjfiS5_IjLj3EEiiiiiiiiiiiliiliiiiil,"axG",@progbits,_ZL15flash_attn_tileILi72ELi72ELi8ELi4ELb0EEvPKcS1_S1_S1_S1_PKiPfP15HIP_vector_typeIfLj2EEffffjfiS5_IjLj3EEiiiiiiiiiiiliiliiiiil,comdat
	.globl	_ZL15flash_attn_tileILi72ELi72ELi8ELi4ELb0EEvPKcS1_S1_S1_S1_PKiPfP15HIP_vector_typeIfLj2EEffffjfiS5_IjLj3EEiiiiiiiiiiiliiliiiiil ; -- Begin function _ZL15flash_attn_tileILi72ELi72ELi8ELi4ELb0EEvPKcS1_S1_S1_S1_PKiPfP15HIP_vector_typeIfLj2EEffffjfiS5_IjLj3EEiiiiiiiiiiiliiliiiiil
	.p2align	8
	.type	_ZL15flash_attn_tileILi72ELi72ELi8ELi4ELb0EEvPKcS1_S1_S1_S1_PKiPfP15HIP_vector_typeIfLj2EEffffjfiS5_IjLj3EEiiiiiiiiiiiliiliiiiil,@function
_ZL15flash_attn_tileILi72ELi72ELi8ELi4ELb0EEvPKcS1_S1_S1_S1_PKiPfP15HIP_vector_typeIfLj2EEffffjfiS5_IjLj3EEiiiiiiiiiiiliiliiiiil: ; @_ZL15flash_attn_tileILi72ELi72ELi8ELi4ELb0EEvPKcS1_S1_S1_S1_PKiPfP15HIP_vector_typeIfLj2EEffffjfiS5_IjLj3EEiiiiiiiiiiiliiliiiiil
; %bb.0:
	s_clause 0x1
	s_load_b128 s[20:23], s[0:1], 0x5c
	s_load_b64 s[30:31], s[0:1], 0x80
	s_bfe_u32 s5, ttmp6, 0x40014
	s_lshr_b32 s4, ttmp7, 16
	s_add_co_i32 s5, s5, 1
	s_bfe_u32 s6, ttmp6, 0x40008
	s_mul_i32 s5, s4, s5
	s_getreg_b32 s24, hwreg(HW_REG_IB_STS2, 6, 4)
	s_add_co_i32 s6, s6, s5
	s_mov_b32 s37, 0
	s_mov_b64 s[34:35], 0
	s_wait_kmcnt 0x0
	s_ashr_i32 s2, s23, 31
	s_delay_alu instid0(SALU_CYCLE_1) | instskip(NEXT) | instid1(SALU_CYCLE_1)
	s_lshr_b32 s2, s2, 30
	s_add_co_i32 s2, s23, s2
	s_delay_alu instid0(SALU_CYCLE_1) | instskip(NEXT) | instid1(SALU_CYCLE_1)
	s_ashr_i32 s2, s2, 2
	s_cvt_f32_u32 s3, s2
	s_sub_co_i32 s7, 0, s2
	s_delay_alu instid0(SALU_CYCLE_2) | instskip(SKIP_1) | instid1(TRANS32_DEP_1)
	v_rcp_iflag_f32_e32 v1, s3
	v_nop
	v_readfirstlane_b32 s3, v1
	s_mul_f32 s3, s3, 0x4f7ffffe
	s_delay_alu instid0(SALU_CYCLE_3) | instskip(NEXT) | instid1(SALU_CYCLE_3)
	s_cvt_u32_f32 s3, s3
	s_mul_i32 s7, s7, s3
	s_delay_alu instid0(SALU_CYCLE_1) | instskip(NEXT) | instid1(SALU_CYCLE_1)
	s_mul_hi_u32 s7, s3, s7
	s_add_co_i32 s3, s3, s7
	s_cmp_eq_u32 s24, 0
	s_cselect_b32 s4, s4, s6
	s_delay_alu instid0(SALU_CYCLE_1) | instskip(NEXT) | instid1(SALU_CYCLE_1)
	s_mul_hi_u32 s3, s4, s3
	s_mul_i32 s5, s3, s2
	s_add_co_i32 s6, s3, 1
	s_sub_co_i32 s5, s4, s5
	s_delay_alu instid0(SALU_CYCLE_1)
	s_sub_co_i32 s7, s5, s2
	s_cmp_ge_u32 s5, s2
	s_cselect_b32 s3, s6, s3
	s_cselect_b32 s5, s7, s5
	s_add_co_i32 s6, s3, 1
	s_cmp_ge_u32 s5, s2
	s_cselect_b32 s28, s6, s3
	s_abs_i32 s2, s31
	s_abs_i32 s6, s23
	s_cvt_f32_u32 s3, s2
	s_sub_co_i32 s5, 0, s2
	s_lshl_b32 s25, s4, 2
	s_xor_b32 s4, s23, s31
	v_rcp_iflag_f32_e32 v1, s3
	s_ashr_i32 s26, s4, 31
	v_nop
	s_delay_alu instid0(TRANS32_DEP_1) | instskip(SKIP_1) | instid1(SALU_CYCLE_3)
	v_readfirstlane_b32 s3, v1
	s_mul_f32 s3, s3, 0x4f7ffffe
	s_cvt_u32_f32 s3, s3
	s_delay_alu instid0(SALU_CYCLE_3) | instskip(NEXT) | instid1(SALU_CYCLE_1)
	s_mul_i32 s5, s5, s3
	s_mul_hi_u32 s5, s3, s5
	s_delay_alu instid0(SALU_CYCLE_1) | instskip(NEXT) | instid1(SALU_CYCLE_1)
	s_add_co_i32 s3, s3, s5
	s_mul_hi_u32 s3, s6, s3
	s_delay_alu instid0(SALU_CYCLE_1) | instskip(NEXT) | instid1(SALU_CYCLE_1)
	s_mul_i32 s5, s3, s2
	s_sub_co_i32 s4, s6, s5
	s_add_co_i32 s5, s3, 1
	s_sub_co_i32 s6, s4, s2
	s_cmp_ge_u32 s4, s2
	s_cselect_b32 s3, s5, s3
	s_cselect_b32 s4, s6, s4
	s_add_co_i32 s5, s3, 1
	s_cmp_ge_u32 s4, s2
	s_cselect_b32 s2, s5, s3
	s_load_b512 s[4:19], s[0:1], 0x0
	s_xor_b32 s27, s2, s26
	s_load_b64 s[2:3], s[0:1], 0xb8
	s_sub_co_i32 s29, s27, s26
	s_delay_alu instid0(SALU_CYCLE_1) | instskip(NEXT) | instid1(SALU_CYCLE_1)
	s_abs_i32 s33, s29
	s_cvt_f32_u32 s26, s33
	s_delay_alu instid0(SALU_CYCLE_3) | instskip(SKIP_2) | instid1(TRANS32_DEP_1)
	v_rcp_iflag_f32_e32 v1, s26
	s_mul_i32 s26, s28, s23
	v_nop
	v_readfirstlane_b32 s36, v1
	s_wait_kmcnt 0x0
	s_cmp_eq_u64 s[10:11], 0
	s_cbranch_scc1 .LBB21_2
; %bb.1:
	s_abs_i32 s2, s2
	s_abs_i32 s38, s28
	s_cvt_f32_u32 s27, s2
	s_sub_co_i32 s31, 0, s2
	s_load_b64 s[34:35], s[0:1], 0xc8
	s_delay_alu instid0(SALU_CYCLE_1) | instskip(SKIP_1) | instid1(TRANS32_DEP_1)
	v_rcp_iflag_f32_e32 v1, s27
	v_nop
	v_readfirstlane_b32 s27, v1
	s_mul_f32 s27, s27, 0x4f7ffffe
	s_delay_alu instid0(SALU_CYCLE_3) | instskip(NEXT) | instid1(SALU_CYCLE_3)
	s_cvt_u32_f32 s27, s27
	s_mul_i32 s31, s31, s27
	s_delay_alu instid0(SALU_CYCLE_1) | instskip(NEXT) | instid1(SALU_CYCLE_1)
	s_mul_hi_u32 s31, s27, s31
	s_add_co_i32 s27, s27, s31
	s_ashr_i32 s31, s28, 31
	s_mul_hi_u32 s27, s38, s27
	s_delay_alu instid0(SALU_CYCLE_1) | instskip(NEXT) | instid1(SALU_CYCLE_1)
	s_mul_i32 s27, s27, s2
	s_sub_co_i32 s27, s38, s27
	s_delay_alu instid0(SALU_CYCLE_1) | instskip(SKIP_2) | instid1(SALU_CYCLE_1)
	s_sub_co_i32 s38, s27, s2
	s_cmp_ge_u32 s27, s2
	s_cselect_b32 s27, s38, s27
	s_sub_co_i32 s38, s27, s2
	s_cmp_ge_u32 s27, s2
	s_cselect_b32 s2, s38, s27
	s_delay_alu instid0(SALU_CYCLE_1) | instskip(NEXT) | instid1(SALU_CYCLE_1)
	s_xor_b32 s2, s2, s31
	s_sub_co_i32 s38, s2, s31
	s_delay_alu instid0(SALU_CYCLE_1) | instskip(SKIP_2) | instid1(SALU_CYCLE_1)
	s_ashr_i32 s39, s38, 31
	s_wait_kmcnt 0x0
	s_mul_u64 s[34:35], s[34:35], s[38:39]
	s_add_nc_u64 s[34:35], s[10:11], s[34:35]
.LBB21_2:
	s_bfe_u32 s2, ttmp6, 0x4000c
	s_and_b32 s11, ttmp6, 15
	s_add_co_i32 s2, s2, 1
	s_sub_co_i32 s10, s25, s26
	s_mul_i32 s2, ttmp9, s2
	v_bfe_u32 v2, v0, 10, 10
	s_add_co_i32 s11, s11, s2
	s_cmp_eq_u32 s24, 0
	v_and_b32_e32 v35, 0x3ff, v0
	s_cselect_b32 s11, ttmp9, s11
	s_delay_alu instid0(SALU_CYCLE_1) | instskip(NEXT) | instid1(VALU_DEP_2)
	v_lshl_add_u32 v36, s11, 3, v2
	v_cmp_gt_u32_e64 s2, 18, v35
	v_dual_lshlrev_b32 v34, 2, v35 :: v_dual_lshlrev_b32 v37, 3, v35
	s_delay_alu instid0(VALU_DEP_3) | instskip(NEXT) | instid1(VALU_DEP_1)
	v_mul_hi_u32 v1, s20, v36
	v_add_nc_u32_e32 v1, v36, v1
	s_delay_alu instid0(VALU_DEP_1) | instskip(NEXT) | instid1(VALU_DEP_1)
	v_lshrrev_b32_e32 v1, s21, v1
	v_mul_lo_u32 v1, v1, s22
	s_delay_alu instid0(VALU_DEP_1)
	v_sub_nc_u32_e32 v0, v36, v1
	s_and_saveexec_b32 s20, s2
	s_cbranch_execz .LBB21_4
; %bb.3:
	s_load_b96 s[40:42], s[0:1], 0x70
	v_dual_mov_b32 v1, 0 :: v_dual_lshlrev_b32 v6, 2, v34
	s_delay_alu instid0(VALU_DEP_1)
	v_mov_b32_e32 v7, v1
	s_wait_kmcnt 0x0
	s_ashr_i32 s27, s40, 31
	s_mov_b32 s26, s40
	s_mul_i32 s38, s10, s41
	s_lshr_b64 s[26:27], s[26:27], 2
	s_ashr_i32 s39, s38, 31
	v_mul_u64_e32 v[4:5], s[26:27], v[0:1]
	s_mul_i32 s26, s28, s42
	s_delay_alu instid0(SALU_CYCLE_1) | instskip(NEXT) | instid1(SALU_CYCLE_1)
	s_ashr_i32 s27, s26, 31
	s_add_nc_u64 s[4:5], s[4:5], s[26:27]
	s_delay_alu instid0(SALU_CYCLE_1)
	s_add_nc_u64 s[4:5], s[4:5], s[38:39]
	s_delay_alu instid0(VALU_DEP_1) | instid1(SALU_CYCLE_1)
	v_lshl_add_u64 v[4:5], v[4:5], 2, s[4:5]
	s_ashr_i32 s5, s41, 31
	s_mov_b32 s4, s41
	s_delay_alu instid0(SALU_CYCLE_1) | instskip(NEXT) | instid1(VALU_DEP_1)
	s_lshr_b64 s[26:27], s[4:5], 2
	v_add_nc_u64_e32 v[8:9], v[4:5], v[6:7]
	s_and_b64 s[38:39], s[4:5], -4
	s_load_b32 s4, s[0:1], 0x40
	s_delay_alu instid0(VALU_DEP_1)
	v_mad_nc_u64_u32 v[20:21], s26, 12, v[8:9]
	v_add_nc_u64_e32 v[18:19], s[38:39], v[8:9]
	global_load_b128 v[4:7], v[8:9], off
	v_lshl_add_u64 v[16:17], s[26:27], 3, v[8:9]
	s_clause 0x1
	global_load_b128 v[8:11], v[16:17], off
	global_load_b128 v[12:15], v[18:19], off
	v_mad_u32 v21, s5, 12, v21
	global_load_b128 v[16:19], v[20:21], off
	s_wait_xcnt 0x0
	v_mad_u32_u24 v20, 0x240, v2, v37
	s_wait_loadcnt 0x3
	s_wait_kmcnt 0x0
	v_fma_mixlo_f16 v1, s4, v5, 0
	v_fma_mixlo_f16 v3, s4, v4, 0
	;; [unrolled: 1-line block ×4, first 2 shown]
	s_delay_alu instid0(VALU_DEP_4) | instskip(NEXT) | instid1(VALU_DEP_4)
	v_lshlrev_b32_e32 v1, 16, v1
	v_and_b32_e32 v3, 0xffff, v3
	s_wait_loadcnt 0x2
	v_fma_mixlo_f16 v6, s4, v8, 0
	v_fma_mixlo_f16 v7, s4, v9, 0
	;; [unrolled: 1-line block ×4, first 2 shown]
	s_wait_loadcnt 0x1
	v_fma_mixlo_f16 v10, s4, v12, 0
	v_fma_mixlo_f16 v11, s4, v13, 0
	;; [unrolled: 1-line block ×4, first 2 shown]
	v_dual_lshlrev_b32 v4, 16, v4 :: v_dual_bitop2_b32 v1, v1, v3 bitop3:0x54
	v_and_b32_e32 v5, 0xffff, v5
	v_lshlrev_b32_e32 v3, 16, v7
	v_and_b32_e32 v6, 0xffff, v6
	v_lshlrev_b32_e32 v7, 16, v11
	v_and_b32_e32 v10, 0xffff, v10
	v_lshlrev_b32_e32 v11, 16, v13
	v_and_b32_e32 v12, 0xffff, v12
	v_or3_b32 v5, v4, v5, 0
	v_or3_b32 v4, 0, 0, v1
	v_or_b32_e32 v3, v3, v6
	v_or_b32_e32 v1, v7, v10
	v_or3_b32 v7, v11, v12, 0
	s_wait_loadcnt 0x0
	v_fma_mixlo_f16 v10, s4, v17, 0
	v_fma_mixlo_f16 v11, s4, v16, 0
	;; [unrolled: 1-line block ×3, first 2 shown]
	v_lshlrev_b32_e32 v9, 16, v9
	v_and_b32_e32 v8, 0xffff, v8
	v_lshlrev_b32_e32 v10, 16, v10
	v_or3_b32 v6, 0, 0, v1
	v_fma_mixlo_f16 v1, s4, v18, 0
	v_and_b32_e32 v11, 0xffff, v11
	v_lshlrev_b32_e32 v12, 16, v12
	v_add_nc_u32_e32 v13, 0x1000, v20
	v_or3_b32 v9, v9, v8, 0
	v_and_b32_e32 v1, 0xffff, v1
	v_or_b32_e32 v10, v10, v11
	v_or3_b32 v8, 0, 0, v3
	s_delay_alu instid0(VALU_DEP_3) | instskip(NEXT) | instid1(VALU_DEP_3)
	v_or3_b32 v11, v12, v1, 0
	v_or3_b32 v10, 0, 0, v10
	ds_store_2addr_b64 v13, v[4:5], v[6:7] offset0:156 offset1:174
	ds_store_2addr_b64 v13, v[8:9], v[10:11] offset0:192 offset1:210
.LBB21_4:
	s_or_b32 exec_lo, exec_lo, s20
	s_cmp_eq_u64 s[14:15], 0
	s_wait_dscnt 0x0
	s_barrier_signal -1
	s_barrier_wait -1
	s_cbranch_scc1 .LBB21_6
; %bb.5:
	s_load_b32 s4, s[0:1], 0xd0
	s_wait_kmcnt 0x0
	s_mul_i32 s4, s4, s28
	s_delay_alu instid0(SALU_CYCLE_1)
	s_add_co_i32 s4, s4, s11
	s_load_b32 s30, s[14:15], s4 offset:0x0 scale_offset
.LBB21_6:
	s_wait_xcnt 0x0
	s_bfe_u32 s4, ttmp6, 0x40010
	s_and_b32 s5, ttmp7, 0xffff
	s_add_co_i32 s4, s4, 1
	s_bfe_u32 s11, ttmp6, 0x40004
	s_mul_i32 s4, s5, s4
	v_mbcnt_lo_u32_b32 v38, -1, 0
	s_add_co_i32 s11, s11, s4
	s_cmp_eq_u32 s24, 0
	s_cselect_b32 s31, s5, s11
	s_mov_b32 s5, 0
	s_lshl_b32 s4, s31, 5
	s_wait_kmcnt 0x0
	s_cmp_lt_i32 s4, s30
	s_cbranch_scc1 .LBB21_9
; %bb.7:
	v_mbcnt_lo_u32_b32 v4, -1, 0
	s_delay_alu instid0(VALU_DEP_1)
	v_dual_mov_b32 v39, 32 :: v_dual_bitop2_b32 v44, 16, v4 bitop3:0x14
	v_xor_b32_e32 v43, 8, v4
	v_xor_b32_e32 v42, 4, v4
	;; [unrolled: 1-line block ×4, first 2 shown]
	s_and_not1_b32 vcc_lo, exec_lo, s5
	s_cbranch_vccz .LBB21_10
; %bb.8:
	v_dual_mov_b32 v56, 0 :: v_dual_mov_b32 v21, 0
	v_dual_mov_b32 v3, 0xfeffffff :: v_dual_mov_b32 v2, 0xfeffffff
	;; [unrolled: 1-line block ×3, first 2 shown]
	s_delay_alu instid0(VALU_DEP_3)
	v_dual_mov_b32 v20, v21 :: v_dual_mov_b32 v23, v21
	v_dual_mov_b32 v22, v21 :: v_dual_mov_b32 v13, 0
	;; [unrolled: 1-line block ×5, first 2 shown]
	s_branch .LBB21_18
.LBB21_9:
                                        ; implicit-def: $vgpr4
                                        ; implicit-def: $vgpr39
                                        ; implicit-def: $vgpr44
                                        ; implicit-def: $vgpr43
                                        ; implicit-def: $vgpr42
                                        ; implicit-def: $vgpr41
                                        ; implicit-def: $vgpr40
.LBB21_10:
	s_clause 0x1
	s_load_b64 s[20:21], s[0:1], 0x8c
	s_load_b128 s[24:27], s[0:1], 0x98
	s_mul_f32 s5, s36, 0x4f7ffffe
	s_sub_co_i32 s11, 0, s33
	s_abs_i32 s36, s10
	s_mov_b32 s15, s37
	s_cvt_u32_f32 s5, s5
	s_load_b64 s[38:39], s[0:1], 0xa8
	v_dual_lshrrev_b32 v1, 3, v35 :: v_dual_bitop2_b32 v4, 28, v34 bitop3:0x40
	s_delay_alu instid0(SALU_CYCLE_1)
	s_mul_i32 s11, s11, s5
	s_ashr_i32 s40, s10, 31
	s_mul_hi_u32 s11, s5, s11
	s_ashr_i32 s41, s29, 31
	s_add_co_i32 s14, s5, s11
	s_ashr_i32 s3, s3, 1
	s_mul_u64 s[14:15], s[36:37], s[14:15]
	s_ashr_i32 s29, s28, 31
	s_mul_i32 s5, s15, s33
	s_xor_b32 s11, s40, s41
	s_sub_co_i32 s5, s36, s5
	s_wait_kmcnt 0x0
	s_ashr_i32 s14, s26, 2
	s_ashr_i32 s20, s20, 2
	s_add_co_i32 s26, s15, 1
	s_sub_co_i32 s36, s5, s33
	v_lshl_add_u32 v1, v2, 2, v1
	v_lshl_add_u32 v3, v2, 5, v35
	s_cmp_ge_u32 s5, s33
	v_mad_u32 v49, v0, s3, v35
	s_cselect_b32 s15, s26, s15
	s_cselect_b32 s5, s36, s5
	s_add_co_i32 s26, s15, 1
	v_mul_lo_u32 v24, s20, v1
	v_mul_lo_u32 v26, s20, v3
	;; [unrolled: 1-line block ×4, first 2 shown]
	s_cmp_ge_u32 s5, s33
	v_dual_lshlrev_b32 v5, 2, v4 :: v_dual_mov_b32 v29, 0
	s_cselect_b32 s5, s26, s15
	v_lshl_add_u32 v50, v2, 8, 0x26e0
	s_xor_b32 s5, s5, s11
	s_mul_u64 s[24:25], s[24:25], s[28:29]
	s_sub_co_i32 s5, s5, s11
	s_movk_i32 s11, 0x240
	s_mul_i32 s36, s5, s21
	s_mul_i32 s26, s5, s27
	s_movk_i32 s5, 0x80
	s_movk_i32 s3, 0x90
	s_add_nc_u64 s[6:7], s[6:7], s[24:25]
	s_mul_u64 s[24:25], s[38:39], s[28:29]
	v_mad_u32_u24 v45, 0xa0, v1, v5
	v_dual_ashrrev_i32 v25, 31, v24 :: v_dual_ashrrev_i32 v27, 31, v26
	v_mul_u32_u24_e32 v46, 0xa0, v35
	v_mad_u32_u24 v47, 0xa0, v3, s5
	v_mad_u32_u24 v48, v2, s11, 0x14e0
	v_dual_ashrrev_i32 v31, 31, v30 :: v_dual_ashrrev_i32 v33, 31, v32
	v_mad_u32_u24 v51, v3, s3, 0x80
	v_mad_u32_u24 v52, 0x90, v1, v5
	v_dual_mov_b32 v8, 0xfeffffff :: v_dual_mov_b32 v39, 32
	v_dual_lshlrev_b32 v28, 2, v4 :: v_dual_bitop2_b32 v44, 16, v38 bitop3:0x14
	v_dual_add_nc_u32 v53, v50, v37 :: v_dual_bitop2_b32 v43, 8, v38 bitop3:0x14
	v_dual_mov_b32 v10, v29 :: v_dual_bitop2_b32 v42, 4, v38 bitop3:0x14
	v_dual_mov_b32 v9, v29 :: v_dual_bitop2_b32 v41, 2, v38 bitop3:0x14
	;; [unrolled: 1-line block ×3, first 2 shown]
	v_dual_mov_b32 v54, v29 :: v_dual_mov_b32 v12, v29
	v_dual_mov_b32 v55, v29 :: v_dual_mov_b32 v13, v29
	;; [unrolled: 1-line block ×6, first 2 shown]
	s_ashr_i32 s37, s36, 31
	s_add_nc_u64 s[8:9], s[8:9], s[24:25]
	s_ashr_i32 s27, s26, 31
	s_add_nc_u64 s[6:7], s[6:7], s[36:37]
	s_add_nc_u64 s[8:9], s[8:9], s[26:27]
	s_ashr_i32 s21, s20, 31
	s_ashr_i32 s15, s14, 31
	s_add_nc_u64 s[24:25], s[0:1], 0xd0
	v_cmp_gt_u32_e32 vcc_lo, 32, v3
.LBB21_11:                              ; =>This Inner Loop Header: Depth=1
	s_ashr_i32 s5, s4, 31
	s_delay_alu instid0(SALU_CYCLE_1) | instskip(NEXT) | instid1(SALU_CYCLE_1)
	s_mul_u64 s[26:27], s[4:5], s[20:21]
	s_lshl_b64 s[26:27], s[26:27], 2
	s_delay_alu instid0(SALU_CYCLE_1)
	s_add_nc_u64 s[26:27], s[6:7], s[26:27]
	s_and_saveexec_b32 s3, vcc_lo
	s_cbranch_execz .LBB21_13
; %bb.12:                               ;   in Loop: Header=BB21_11 Depth=1
	v_lshl_add_u64 v[0:1], v[26:27], 2, s[26:27]
	global_load_b128 v[0:3], v[0:1], off offset:128
	s_wait_loadcnt 0x0
	ds_store_b128 v47, v[0:3]
.LBB21_13:                              ;   in Loop: Header=BB21_11 Depth=1
	s_or_b32 exec_lo, exec_lo, s3
	v_lshl_add_u64 v[0:1], v[24:25], 2, s[26:27]
	v_cmp_gt_i32_e64 s3, 32, v44
	v_add_nc_u32_e32 v17, s4, v49
	s_mul_u64 s[26:27], s[4:5], s[14:15]
	s_delay_alu instid0(SALU_CYCLE_1)
	s_lshl_b64 s[26:27], s[26:27], 2
	v_add_nc_u64_e32 v[0:1], v[0:1], v[28:29]
	s_add_nc_u64 s[26:27], s[8:9], s[26:27]
	global_load_b128 v[0:3], v[0:1], off
	s_wait_loadcnt 0x0
	ds_store_b128 v45, v[0:3]
	s_wait_dscnt 0x0
	s_barrier_signal -1
	s_barrier_wait -1
	ds_load_b128 v[4:7], v46
	ds_load_b128 v[58:61], v48
	ds_load_b128 v[62:65], v48 offset:144
	ds_load_b128 v[66:69], v48 offset:288
	;; [unrolled: 1-line block ×3, first 2 shown]
	v_dual_mov_b32 v1, 0 :: v_dual_mov_b32 v0, 0
	v_dual_mov_b32 v2, 0 :: v_dual_mov_b32 v3, 0
	s_wait_dscnt 0x3
	;;#ASMSTART
	v_dot2_f32_f16 v1, v4, v58, v1
	;;#ASMEND
	;;#ASMSTART
	v_dot2_f32_f16 v1, v5, v59, v1
	;;#ASMEND
	;;#ASMSTART
	v_dot2_f32_f16 v1, v6, v60, v1
	;;#ASMEND
	;;#ASMSTART
	v_dot2_f32_f16 v1, v7, v61, v1
	;;#ASMEND
	s_wait_dscnt 0x2
	;;#ASMSTART
	v_dot2_f32_f16 v0, v4, v62, v0
	;;#ASMEND
	;;#ASMSTART
	v_dot2_f32_f16 v0, v5, v63, v0
	;;#ASMEND
	;;#ASMSTART
	v_dot2_f32_f16 v0, v6, v64, v0
	;;#ASMEND
	;;#ASMSTART
	v_dot2_f32_f16 v0, v7, v65, v0
	;;#ASMEND
	s_wait_dscnt 0x1
	;;#ASMSTART
	v_dot2_f32_f16 v2, v4, v66, v2
	;;#ASMEND
	;;#ASMSTART
	v_dot2_f32_f16 v2, v5, v67, v2
	;;#ASMEND
	;;#ASMSTART
	v_dot2_f32_f16 v2, v6, v68, v2
	;;#ASMEND
	;;#ASMSTART
	v_dot2_f32_f16 v2, v7, v69, v2
	;;#ASMEND
	s_wait_dscnt 0x0
	;;#ASMSTART
	v_dot2_f32_f16 v3, v4, v70, v3
	;;#ASMEND
	;;#ASMSTART
	v_dot2_f32_f16 v3, v5, v71, v3
	;;#ASMEND
	;;#ASMSTART
	v_dot2_f32_f16 v3, v6, v72, v3
	;;#ASMEND
	;;#ASMSTART
	v_dot2_f32_f16 v3, v7, v73, v3
	;;#ASMEND
	ds_load_b128 v[4:7], v46 offset:16
	ds_load_b128 v[58:61], v48 offset:16
	ds_load_b128 v[62:65], v48 offset:160
	ds_load_b128 v[66:69], v48 offset:304
	ds_load_b128 v[70:73], v48 offset:448
	s_wait_dscnt 0x3
	;;#ASMSTART
	v_dot2_f32_f16 v1, v4, v58, v1
	;;#ASMEND
	;;#ASMSTART
	v_dot2_f32_f16 v1, v5, v59, v1
	;;#ASMEND
	;;#ASMSTART
	v_dot2_f32_f16 v1, v6, v60, v1
	;;#ASMEND
	;;#ASMSTART
	v_dot2_f32_f16 v1, v7, v61, v1
	;;#ASMEND
	s_wait_dscnt 0x2
	;;#ASMSTART
	v_dot2_f32_f16 v0, v4, v62, v0
	;;#ASMEND
	;;#ASMSTART
	v_dot2_f32_f16 v0, v5, v63, v0
	;;#ASMEND
	;;#ASMSTART
	v_dot2_f32_f16 v0, v6, v64, v0
	;;#ASMEND
	;;#ASMSTART
	v_dot2_f32_f16 v0, v7, v65, v0
	;;#ASMEND
	s_wait_dscnt 0x1
	;;#ASMSTART
	v_dot2_f32_f16 v2, v4, v66, v2
	;;#ASMEND
	;;#ASMSTART
	v_dot2_f32_f16 v2, v5, v67, v2
	;;#ASMEND
	;;#ASMSTART
	v_dot2_f32_f16 v2, v6, v68, v2
	;;#ASMEND
	;;#ASMSTART
	v_dot2_f32_f16 v2, v7, v69, v2
	;;#ASMEND
	s_wait_dscnt 0x0
	;;#ASMSTART
	v_dot2_f32_f16 v3, v4, v70, v3
	;;#ASMEND
	;;#ASMSTART
	v_dot2_f32_f16 v3, v5, v71, v3
	;;#ASMEND
	;;#ASMSTART
	v_dot2_f32_f16 v3, v6, v72, v3
	;;#ASMEND
	;;#ASMSTART
	v_dot2_f32_f16 v3, v7, v73, v3
	;;#ASMEND
	ds_load_b128 v[4:7], v46 offset:32
	ds_load_b128 v[58:61], v48 offset:32
	ds_load_b128 v[62:65], v48 offset:176
	ds_load_b128 v[66:69], v48 offset:320
	ds_load_b128 v[70:73], v48 offset:464
	;; [unrolled: 57-line block ×8, first 2 shown]
	s_wait_dscnt 0x3
	;;#ASMSTART
	v_dot2_f32_f16 v1, v4, v58, v1
	;;#ASMEND
	;;#ASMSTART
	v_dot2_f32_f16 v1, v5, v59, v1
	;;#ASMEND
	;;#ASMSTART
	v_dot2_f32_f16 v1, v6, v60, v1
	;;#ASMEND
	;;#ASMSTART
	v_dot2_f32_f16 v1, v7, v61, v1
	;;#ASMEND
	s_wait_dscnt 0x2
	;;#ASMSTART
	v_dot2_f32_f16 v0, v4, v62, v0
	;;#ASMEND
	;;#ASMSTART
	v_dot2_f32_f16 v0, v5, v63, v0
	;;#ASMEND
	;;#ASMSTART
	v_dot2_f32_f16 v0, v6, v64, v0
	;;#ASMEND
	;;#ASMSTART
	v_dot2_f32_f16 v0, v7, v65, v0
	;;#ASMEND
	;; [unrolled: 13-line block ×4, first 2 shown]
	v_cndmask_b32_e64 v5, v38, v44, s3
	global_load_u16 v4, v17, s[34:35] scale_offset
	v_dual_max_num_f32 v6, v8, v8 :: v_dual_max_num_f32 v7, v14, v14
	v_cmp_gt_i32_e64 s3, 32, v43
	s_wait_loadcnt 0x0
	s_barrier_signal -1
	s_barrier_wait -1
	v_cvt_f32_f16_e32 v4, v4
	s_wait_xcnt 0x0
	s_delay_alu instid0(VALU_DEP_1) | instskip(SKIP_3) | instid1(VALU_DEP_2)
	v_dual_max_num_f32 v17, v15, v15 :: v_dual_add_f32 v18, v1, v4
	v_max_num_f32_e32 v1, v16, v16
	v_dual_add_f32 v19, v0, v4 :: v_dual_add_f32 v57, v2, v4
	v_dual_add_f32 v4, v3, v4 :: v_dual_lshlrev_b32 v2, 2, v5
	v_dual_add_f32 v0, 0x40051340, v18 :: v_dual_add_f32 v3, 0x40051340, v19
	s_delay_alu instid0(VALU_DEP_2) | instskip(NEXT) | instid1(VALU_DEP_2)
	v_dual_add_f32 v5, 0x40051340, v57 :: v_dual_add_f32 v58, 0x40051340, v4
	v_dual_max_num_f32 v0, v6, v0 :: v_dual_max_num_f32 v3, v7, v3
	s_delay_alu instid0(VALU_DEP_2) | instskip(NEXT) | instid1(VALU_DEP_3)
	v_max_num_f32_e32 v5, v17, v5
	v_dual_max_num_f32 v1, v1, v58 :: v_dual_cndmask_b32 v58, v38, v43, s3
	ds_bpermute_b32 v6, v2, v0
	ds_bpermute_b32 v7, v2, v3
	;; [unrolled: 1-line block ×4, first 2 shown]
	v_lshlrev_b32_e32 v58, 2, v58
	v_cmp_gt_i32_e64 s3, 32, v42
	s_wait_dscnt 0x2
	v_dual_max_num_f32 v6, v6, v6 :: v_dual_max_num_f32 v7, v7, v7
	s_wait_dscnt 0x0
	v_dual_max_num_f32 v17, v17, v17 :: v_dual_max_num_f32 v2, v2, v2
	s_delay_alu instid0(VALU_DEP_2) | instskip(NEXT) | instid1(VALU_DEP_2)
	v_dual_max_num_f32 v0, v0, v6 :: v_dual_max_num_f32 v3, v3, v7
	v_max_num_f32_e32 v5, v5, v17
	s_delay_alu instid0(VALU_DEP_3)
	v_max_num_f32_e32 v1, v1, v2
	ds_bpermute_b32 v2, v58, v0
	ds_bpermute_b32 v6, v58, v3
	;; [unrolled: 1-line block ×3, first 2 shown]
	s_wait_dscnt 0x2
	v_max_num_f32_e32 v2, v2, v2
	ds_bpermute_b32 v17, v58, v1
	s_wait_dscnt 0x1
	v_dual_cndmask_b32 v58, v38, v42, s3 :: v_dual_max_num_f32 v7, v7, v7
	v_max_num_f32_e32 v6, v6, v6
	v_cmp_gt_i32_e64 s3, 32, v41
	s_wait_dscnt 0x0
	s_delay_alu instid0(VALU_DEP_3) | instskip(SKIP_2) | instid1(VALU_DEP_3)
	v_dual_max_num_f32 v17, v17, v17 :: v_dual_lshlrev_b32 v58, 2, v58
	v_max_num_f32_e32 v0, v0, v2
	v_dual_max_num_f32 v2, v3, v6 :: v_dual_max_num_f32 v3, v5, v7
	v_max_num_f32_e32 v1, v1, v17
	ds_bpermute_b32 v5, v58, v0
	ds_bpermute_b32 v6, v58, v2
	ds_bpermute_b32 v7, v58, v3
	ds_bpermute_b32 v17, v58, v1
	v_cndmask_b32_e64 v58, v38, v41, s3
	v_cmp_gt_i32_e64 s3, 32, v40
	s_wait_dscnt 0x3
	s_delay_alu instid0(VALU_DEP_2) | instskip(SKIP_4) | instid1(VALU_DEP_2)
	v_dual_max_num_f32 v5, v5, v5 :: v_dual_lshlrev_b32 v58, 2, v58
	s_wait_dscnt 0x1
	v_dual_max_num_f32 v6, v6, v6 :: v_dual_max_num_f32 v7, v7, v7
	s_wait_dscnt 0x0
	v_max_num_f32_e32 v17, v17, v17
	v_dual_max_num_f32 v0, v0, v5 :: v_dual_max_num_f32 v2, v2, v6
	s_delay_alu instid0(VALU_DEP_2)
	v_dual_max_num_f32 v3, v3, v7 :: v_dual_max_num_f32 v1, v1, v17
	ds_bpermute_b32 v5, v58, v0
	ds_bpermute_b32 v6, v58, v2
	;; [unrolled: 1-line block ×4, first 2 shown]
	v_cndmask_b32_e64 v58, v38, v40, s3
	s_wait_dscnt 0x3
	s_delay_alu instid0(VALU_DEP_1) | instskip(SKIP_4) | instid1(VALU_DEP_2)
	v_dual_max_num_f32 v5, v5, v5 :: v_dual_lshlrev_b32 v58, 2, v58
	s_wait_dscnt 0x1
	v_dual_max_num_f32 v6, v6, v6 :: v_dual_max_num_f32 v7, v7, v7
	s_wait_dscnt 0x0
	v_max_num_f32_e32 v17, v17, v17
	v_dual_max_num_f32 v0, v0, v5 :: v_dual_max_num_f32 v2, v2, v6
	s_delay_alu instid0(VALU_DEP_3)
	v_max_num_f32_e32 v3, v3, v7
	ds_bpermute_b32 v6, v58, v2
	v_max_num_f32_e32 v5, v1, v17
	ds_bpermute_b32 v1, v58, v0
	ds_bpermute_b32 v7, v58, v3
	s_wait_dscnt 0x2
	v_max_num_f32_e32 v6, v6, v6
	ds_bpermute_b32 v17, v58, v5
	s_wait_dscnt 0x1
	v_dual_max_num_f32 v1, v1, v1 :: v_dual_max_num_f32 v7, v7, v7
	s_delay_alu instid0(VALU_DEP_1) | instskip(NEXT) | instid1(VALU_DEP_2)
	v_dual_max_num_f32 v0, v0, v1 :: v_dual_max_num_f32 v1, v2, v6
	v_max_num_f32_e32 v2, v3, v7
	s_delay_alu instid0(VALU_DEP_1) | instskip(SKIP_2) | instid1(VALU_DEP_1)
	v_sub_f32_e32 v6, v57, v2
	s_wait_dscnt 0x0
	v_max_num_f32_e32 v17, v17, v17
	v_dual_max_num_f32 v3, v5, v17 :: v_dual_sub_f32 v5, v18, v0
	v_sub_f32_e32 v17, v19, v1
	v_mul_f32_e32 v19, 0x3fb8aa3b, v6
	s_delay_alu instid0(VALU_DEP_3) | instskip(NEXT) | instid1(VALU_DEP_3)
	v_dual_sub_f32 v7, v4, v3 :: v_dual_mul_f32 v4, 0x3fb8aa3b, v5
	v_mul_f32_e32 v18, 0x3fb8aa3b, v17
	s_delay_alu instid0(VALU_DEP_3)
	v_fma_f32 v62, 0x3fb8aa3b, v6, -v19
	v_rndne_f32_e32 v63, v19
	v_cmp_ngt_f32_e64 s3, 0xc2ce8ed0, v5
	v_fma_f32 v58, 0x3fb8aa3b, v5, -v4
	v_rndne_f32_e32 v61, v18
	v_mul_f32_e32 v57, 0x3fb8aa3b, v7
	v_rndne_f32_e32 v59, v4
	v_fma_f32 v60, 0x3fb8aa3b, v17, -v18
	v_dual_fmac_f32 v58, 0x32a5705f, v5 :: v_dual_sub_f32 v19, v19, v63
	v_sub_f32_e32 v18, v18, v61
	v_fma_f32 v64, 0x3fb8aa3b, v7, -v57
	v_rndne_f32_e32 v65, v57
	v_sub_f32_e32 v4, v4, v59
	v_cvt_i32_f32_e32 v59, v59
	s_delay_alu instid0(VALU_DEP_3) | instskip(NEXT) | instid1(VALU_DEP_1)
	v_dual_fmac_f32 v64, 0x32a5705f, v7 :: v_dual_sub_f32 v57, v57, v65
	v_dual_fmac_f32 v62, 0x32a5705f, v6 :: v_dual_add_f32 v57, v57, v64
	s_delay_alu instid0(VALU_DEP_1) | instskip(SKIP_2) | instid1(VALU_DEP_4)
	v_dual_fmac_f32 v60, 0x32a5705f, v17 :: v_dual_add_f32 v19, v19, v62
	v_add_f32_e32 v4, v4, v58
	v_cvt_i32_f32_e32 v58, v61
	v_exp_f32_e32 v57, v57
	s_delay_alu instid0(VALU_DEP_3)
	v_add_f32_e32 v18, v18, v60
	v_exp_f32_e32 v19, v19
	v_exp_f32_e32 v4, v4
	v_cvt_i32_f32_e32 v60, v63
	v_cvt_i32_f32_e32 v61, v65
	v_exp_f32_e32 v18, v18
	s_delay_alu instid0(TRANS32_DEP_3) | instid1(VALU_DEP_2)
	v_ldexp_f32 v19, v19, v60
	s_delay_alu instid0(TRANS32_DEP_2) | instskip(NEXT) | instid1(VALU_DEP_3)
	v_ldexp_f32 v4, v4, v59
	v_ldexp_f32 v57, v57, v61
	s_delay_alu instid0(TRANS32_DEP_1) | instskip(NEXT) | instid1(VALU_DEP_3)
	v_ldexp_f32 v18, v18, v58
	v_cndmask_b32_e64 v4, 0, v4, s3
	v_cmp_ngt_f32_e64 s3, 0xc2ce8ed0, v17
	s_delay_alu instid0(VALU_DEP_1) | instskip(SKIP_1) | instid1(VALU_DEP_1)
	v_cndmask_b32_e64 v18, 0, v18, s3
	v_cmp_ngt_f32_e64 s3, 0xc2ce8ed0, v6
	v_cndmask_b32_e64 v19, 0, v19, s3
	v_cmp_ngt_f32_e64 s3, 0xc2ce8ed0, v7
	s_delay_alu instid0(VALU_DEP_1) | instskip(SKIP_1) | instid1(VALU_DEP_1)
	v_cndmask_b32_e64 v57, 0, v57, s3
	v_cmp_nlt_f32_e64 s3, 0x42b17218, v5
	v_cndmask_b32_e64 v4, 0x7f800000, v4, s3
	v_cmp_nlt_f32_e64 s3, 0x42b17218, v6
	s_delay_alu instid0(VALU_DEP_1) | instskip(SKIP_1) | instid1(VALU_DEP_1)
	v_cndmask_b32_e64 v6, 0x7f800000, v19, s3
	v_cmp_nlt_f32_e64 s3, 0x42b17218, v7
	v_cndmask_b32_e64 v7, 0x7f800000, v57, s3
	v_cmp_nlt_f32_e64 s3, 0x42b17218, v17
	s_delay_alu instid0(VALU_DEP_2) | instskip(NEXT) | instid1(VALU_DEP_2)
	v_cvt_pk_f16_f32 v19, v6, v7
	v_cndmask_b32_e64 v5, 0x7f800000, v18, s3
	s_delay_alu instid0(VALU_DEP_1)
	v_cvt_pk_f16_f32 v18, v4, v5
	ds_store_b64 v53, v[18:19]
	s_and_saveexec_b32 s3, vcc_lo
	s_cbranch_execz .LBB21_15
; %bb.14:                               ;   in Loop: Header=BB21_11 Depth=1
	v_lshl_add_u64 v[18:19], v[30:31], 2, s[26:27]
	global_load_b128 v[58:61], v[18:19], off offset:128
	s_wait_loadcnt 0x0
	ds_store_b128 v51, v[58:61]
.LBB21_15:                              ;   in Loop: Header=BB21_11 Depth=1
	s_or_b32 exec_lo, exec_lo, s3
	v_lshl_add_u64 v[18:19], v[32:33], 2, s[26:27]
	v_dual_sub_f32 v8, v8, v0 :: v_dual_sub_f32 v17, v14, v1
	v_add_nc_u32_e32 v90, 0x400, v37
	s_delay_alu instid0(VALU_DEP_3) | instskip(NEXT) | instid1(VALU_DEP_3)
	v_add_nc_u64_e32 v[18:19], v[18:19], v[28:29]
	v_mul_f32_e32 v14, 0x3fb8aa3b, v8
	v_cmp_ngt_f32_e64 s3, 0xc2ce8ed0, v8
	global_load_b128 v[58:61], v[18:19], off
	s_wait_xcnt 0x0
	v_dual_sub_f32 v18, v15, v2 :: v_dual_sub_f32 v19, v16, v3
	v_mul_f32_e32 v15, 0x3fb8aa3b, v17
	v_fma_f32 v62, 0x3fb8aa3b, v8, -v14
	v_rndne_f32_e32 v63, v14
	s_delay_alu instid0(VALU_DEP_4) | instskip(NEXT) | instid1(VALU_DEP_4)
	v_dual_mul_f32 v16, 0x3fb8aa3b, v18 :: v_dual_mul_f32 v57, 0x3fb8aa3b, v19
	v_fma_f32 v64, 0x3fb8aa3b, v17, -v15
	v_rndne_f32_e32 v65, v15
	v_fmac_f32_e32 v62, 0x32a5705f, v8
	s_delay_alu instid0(VALU_DEP_4)
	v_rndne_f32_e32 v67, v16
	v_fma_f32 v68, 0x3fb8aa3b, v19, -v57
	v_rndne_f32_e32 v69, v57
	v_sub_f32_e32 v14, v14, v63
	v_fma_f32 v66, 0x3fb8aa3b, v18, -v16
	v_sub_f32_e32 v15, v15, v65
	v_cvt_i32_f32_e32 v63, v63
	v_dual_sub_f32 v57, v57, v69 :: v_dual_sub_f32 v16, v16, v67
	v_add_f32_e32 v14, v14, v62
	v_cvt_i32_f32_e32 v62, v65
	v_cvt_i32_f32_e32 v65, v69
	s_delay_alu instid0(VALU_DEP_3) | instskip(SKIP_1) | instid1(TRANS32_DEP_1)
	v_exp_f32_e32 v14, v14
	v_nop
	v_ldexp_f32 v14, v14, v63
	s_delay_alu instid0(VALU_DEP_1)
	v_cndmask_b32_e64 v14, 0, v14, s3
	v_cmp_ngt_f32_e64 s3, 0xc2ce8ed0, v17
	s_wait_loadcnt 0x0
	ds_store_b128 v52, v[58:61]
	s_wait_dscnt 0x0
	s_barrier_signal -1
	s_barrier_wait -1
	ds_load_b128 v[58:61], v50
	v_fmac_f32_e32 v68, 0x32a5705f, v19
	s_delay_alu instid0(VALU_DEP_1) | instskip(NEXT) | instid1(VALU_DEP_1)
	v_dual_fmac_f32 v64, 0x32a5705f, v17 :: v_dual_add_f32 v57, v57, v68
	v_dual_fmac_f32 v66, 0x32a5705f, v18 :: v_dual_add_f32 v15, v15, v64
	v_cvt_i32_f32_e32 v64, v67
	s_delay_alu instid0(VALU_DEP_3) | instskip(NEXT) | instid1(VALU_DEP_2)
	v_exp_f32_e32 v57, v57
	v_exp_f32_e32 v15, v15
	s_delay_alu instid0(TRANS32_DEP_2) | instskip(NEXT) | instid1(TRANS32_DEP_1)
	v_ldexp_f32 v57, v57, v65
	v_ldexp_f32 v15, v15, v62
	s_delay_alu instid0(VALU_DEP_1) | instskip(NEXT) | instid1(VALU_DEP_1)
	v_dual_add_f32 v16, v16, v66 :: v_dual_cndmask_b32 v15, 0, v15, s3
	v_exp_f32_e32 v16, v16
	v_cmp_ngt_f32_e64 s3, 0xc2ce8ed0, v18
	s_delay_alu instid0(TRANS32_DEP_1) | instskip(NEXT) | instid1(VALU_DEP_1)
	v_ldexp_f32 v16, v16, v64
	v_cndmask_b32_e64 v16, 0, v16, s3
	v_cmp_ngt_f32_e64 s3, 0xc2ce8ed0, v19
	s_delay_alu instid0(VALU_DEP_1) | instskip(SKIP_1) | instid1(VALU_DEP_1)
	v_cndmask_b32_e64 v57, 0, v57, s3
	v_cmp_nlt_f32_e64 s3, 0x42b17218, v8
	v_cndmask_b32_e64 v14, 0x7f800000, v14, s3
	v_cmp_nlt_f32_e64 s3, 0x42b17218, v17
	s_delay_alu instid0(VALU_DEP_2) | instskip(NEXT) | instid1(VALU_DEP_2)
	v_cvt_f16_f32_e32 v8, v14
	v_cndmask_b32_e64 v15, 0x7f800000, v15, s3
	v_cmp_nlt_f32_e64 s3, 0x42b17218, v18
	s_delay_alu instid0(VALU_DEP_3) | instskip(NEXT) | instid1(VALU_DEP_3)
	v_and_b32_e32 v8, 0xffff, v8
	v_cvt_f16_f32_e32 v18, v15
	s_delay_alu instid0(VALU_DEP_3)
	v_cndmask_b32_e64 v16, 0x7f800000, v16, s3
	v_cmp_nlt_f32_e64 s3, 0x42b17218, v19
	v_pk_fma_f32 v[22:23], v[22:23], v[14:15], v[4:5]
	v_mul_u32_u24_e32 v91, 0x10001, v8
	v_and_b32_e32 v18, 0xffff, v18
	v_cvt_f16_f32_e32 v19, v16
	v_cndmask_b32_e64 v17, 0x7f800000, v57, s3
	v_add_nc_u32_e32 v57, 0x800, v37
	v_pk_mul_f16 v94, v13, v91
	v_mul_u32_u24_e32 v92, 0x10001, v18
	s_delay_alu instid0(VALU_DEP_4) | instskip(SKIP_2) | instid1(VALU_DEP_4)
	v_cvt_f16_f32_e32 v62, v17
	v_pk_fma_f32 v[20:21], v[20:21], v[16:17], v[6:7]
	v_and_b32_e32 v6, 0xffff, v19
	v_pk_mul_f16 v95, v12, v92
	s_delay_alu instid0(VALU_DEP_4)
	v_and_b32_e32 v7, 0xffff, v62
	ds_load_b128 v[62:65], v50 offset:16
	v_mul_u32_u24_e32 v93, 0x10001, v6
	s_wait_dscnt 0x1
	v_dual_lshrrev_b32 v99, 16, v58 :: v_dual_lshrrev_b32 v100, 16, v59
	v_mul_u32_u24_e32 v6, 0x10001, v7
	v_and_b32_e32 v101, 0xffff, v58
	v_pk_mul_f16 v96, v11, v93
	v_and_b32_e32 v102, 0xffff, v59
	v_dual_lshrrev_b32 v103, 16, v60 :: v_dual_lshrrev_b32 v104, 16, v61
	v_pk_mul_f16 v97, v9, v6
	v_pk_mul_f16 v98, v10, v6
	ds_load_2addr_b64 v[4:7], v37 offset1:18
	ds_load_b128 v[66:69], v50 offset:32
	ds_load_b128 v[70:73], v50 offset:48
	;; [unrolled: 1-line block ×4, first 2 shown]
	ds_load_2addr_b64 v[16:19], v37 offset0:36 offset1:54
	ds_load_b128 v[82:85], v50 offset:96
	ds_load_b128 v[12:15], v50 offset:112
	ds_load_2addr_b64 v[8:11], v37 offset0:72 offset1:90
	ds_load_2addr_b64 v[86:89], v37 offset0:108 offset1:126
	v_and_b32_e32 v105, 0xffff, v60
	v_and_b32_e32 v106, 0xffff, v61
	s_wait_dscnt 0xa
	v_dual_lshrrev_b32 v107, 16, v62 :: v_dual_lshrrev_b32 v108, 16, v63
	v_and_b32_e32 v109, 0xffff, v62
	v_and_b32_e32 v110, 0xffff, v63
	s_wait_dscnt 0x8
	v_dual_lshrrev_b32 v115, 16, v66 :: v_dual_lshrrev_b32 v116, 16, v67
	v_and_b32_e32 v117, 0xffff, v66
	v_and_b32_e32 v118, 0xffff, v67
	v_dual_lshrrev_b32 v119, 16, v68 :: v_dual_lshrrev_b32 v120, 16, v69
	v_and_b32_e32 v121, 0xffff, v68
	s_wait_dscnt 0x7
	v_dual_lshrrev_b32 v123, 16, v70 :: v_dual_lshrrev_b32 v124, 16, v71
	v_and_b32_e32 v125, 0xffff, v70
	v_mul_u32_u24_e32 v66, 0x10001, v101
	v_mul_u32_u24_e32 v67, 0x10001, v99
	;; [unrolled: 1-line block ×4, first 2 shown]
	v_dual_lshrrev_b32 v127, 16, v72 :: v_dual_lshrrev_b32 v128, 16, v73
	v_and_b32_e32 v129, 0xffff, v72
	s_wait_dscnt 0x6
	v_dual_lshrrev_b32 v131, 16, v74 :: v_dual_lshrrev_b32 v132, 16, v75
	v_and_b32_e32 v133, 0xffff, v74
	v_and_b32_e32 v134, 0xffff, v75
	v_pk_fma_f16 v74, v5, v66, v94
	v_pk_mul_f16 v66, v4, v66
	v_pk_fma_f16 v75, v5, v67, v95
	v_pk_mul_f16 v67, v4, v67
	;; [unrolled: 2-line block ×3, first 2 shown]
	v_and_b32_e32 v126, 0xffff, v71
	v_and_b32_e32 v130, 0xffff, v73
	v_dual_lshrrev_b32 v135, 16, v76 :: v_dual_lshrrev_b32 v136, 16, v77
	v_and_b32_e32 v137, 0xffff, v76
	s_wait_dscnt 0x5
	v_dual_lshrrev_b32 v139, 16, v78 :: v_dual_lshrrev_b32 v140, 16, v79
	v_and_b32_e32 v141, 0xffff, v78
	v_and_b32_e32 v142, 0xffff, v79
	v_mul_u32_u24_e32 v71, 0x10001, v104
	v_pk_fma_f16 v73, v5, v68, v98
	v_pk_fma_f16 v56, v56, v91, v66
	;; [unrolled: 1-line block ×3, first 2 shown]
	v_mul_u32_u24_e32 v76, 0x10001, v105
	v_pk_fma_f16 v5, v5, v70, v96
	v_pk_fma_f16 v4, v54, v93, v4
	v_mul_u32_u24_e32 v78, 0x10001, v103
	v_mul_u32_u24_e32 v79, 0x10001, v106
	v_dual_lshrrev_b32 v111, 16, v64 :: v_dual_lshrrev_b32 v112, 16, v65
	v_and_b32_e32 v113, 0xffff, v64
	v_and_b32_e32 v114, 0xffff, v65
	;; [unrolled: 1-line block ×3, first 2 shown]
	v_dual_lshrrev_b32 v143, 16, v80 :: v_dual_lshrrev_b32 v144, 16, v81
	v_and_b32_e32 v145, 0xffff, v80
	v_and_b32_e32 v146, 0xffff, v81
	v_pk_fma_f16 v54, v6, v71, v72
	v_pk_fma_f16 v77, v7, v71, v73
	;; [unrolled: 1-line block ×8, first 2 shown]
	v_mul_u32_u24_e32 v4, 0x10001, v108
	v_mul_u32_u24_e32 v79, 0x10001, v109
	;; [unrolled: 1-line block ×5, first 2 shown]
	s_wait_dscnt 0x4
	v_pk_fma_f16 v54, v16, v4, v54
	v_pk_fma_f16 v95, v17, v4, v77
	;; [unrolled: 1-line block ×8, first 2 shown]
	v_mul_u32_u24_e32 v78, 0x10001, v113
	v_mul_u32_u24_e32 v80, 0x10001, v111
	;; [unrolled: 1-line block ×3, first 2 shown]
	ds_load_b128 v[58:61], v50 offset:128
	ds_load_b128 v[62:65], v50 offset:144
	v_and_b32_e32 v122, 0xffff, v69
	v_pk_fma_f16 v54, v18, v96, v54
	v_pk_fma_f16 v79, v19, v96, v95
	;; [unrolled: 1-line block ×8, first 2 shown]
	v_mul_u32_u24_e32 v18, 0x10001, v116
	v_mul_u32_u24_e32 v19, 0x10001, v117
	;; [unrolled: 1-line block ×5, first 2 shown]
	s_wait_dscnt 0x3
	v_pk_fma_f16 v54, v8, v18, v54
	v_pk_fma_f16 v79, v9, v18, v79
	;; [unrolled: 1-line block ×8, first 2 shown]
	v_mul_u32_u24_e32 v80, 0x10001, v121
	v_mul_u32_u24_e32 v81, 0x10001, v119
	;; [unrolled: 1-line block ×3, first 2 shown]
	ds_load_2addr_b64 v[66:69], v37 offset0:144 offset1:162
	v_pk_fma_f16 v54, v10, v103, v54
	v_pk_fma_f16 v79, v11, v103, v79
	;; [unrolled: 1-line block ×5, first 2 shown]
	v_mul_u32_u24_e32 v10, 0x10001, v124
	s_wait_dscnt 0x2
	v_dual_lshrrev_b32 v103, 16, v58 :: v_dual_lshrrev_b32 v105, 16, v59
	v_pk_fma_f16 v95, v11, v80, v95
	v_pk_fma_f16 v78, v11, v81, v78
	v_and_b32_e32 v106, 0xffff, v58
	v_pk_fma_f16 v9, v11, v104, v9
	v_and_b32_e32 v104, 0xffff, v59
	v_mul_u32_u24_e32 v11, 0x10001, v125
	v_mul_u32_u24_e32 v58, 0x10001, v123
	;; [unrolled: 1-line block ×4, first 2 shown]
	v_pk_fma_f16 v54, v86, v10, v54
	v_pk_fma_f16 v79, v87, v10, v79
	ds_load_2addr_b64 v[70:73], v37 offset0:180 offset1:198
	v_pk_fma_f16 v81, v87, v11, v95
	v_pk_fma_f16 v78, v87, v58, v78
	;; [unrolled: 1-line block ×6, first 2 shown]
	v_mul_u32_u24_e32 v87, 0x10001, v129
	v_pk_fma_f16 v54, v88, v80, v54
	v_pk_fma_f16 v79, v89, v80, v79
	v_mul_u32_u24_e32 v80, 0x10001, v127
	v_mul_u32_u24_e32 v112, 0x10001, v130
	v_pk_fma_f16 v81, v89, v87, v81
	v_pk_fma_f16 v56, v88, v87, v56
	v_mul_u32_u24_e32 v115, 0x10001, v132
	v_pk_fma_f16 v78, v89, v80, v78
	v_pk_fma_f16 v55, v88, v80, v55
	;; [unrolled: 1-line block ×4, first 2 shown]
	v_mul_u32_u24_e32 v116, 0x10001, v133
	v_mul_u32_u24_e32 v117, 0x10001, v131
	;; [unrolled: 1-line block ×3, first 2 shown]
	ds_load_2addr_b64 v[4:7], v37 offset0:216 offset1:234
	v_mul_u32_u24_e32 v119, 0x10001, v136
	s_wait_dscnt 0x2
	v_pk_fma_f16 v54, v66, v115, v54
	v_pk_fma_f16 v120, v67, v116, v81
	;; [unrolled: 1-line block ×8, first 2 shown]
	v_mul_u32_u24_e32 v86, 0x10001, v137
	v_mul_u32_u24_e32 v116, 0x10001, v135
	;; [unrolled: 1-line block ×3, first 2 shown]
	v_pk_fma_f16 v54, v68, v119, v54
	v_pk_fma_f16 v67, v69, v119, v67
	v_pk_fma_f16 v118, v69, v86, v120
	v_pk_fma_f16 v56, v68, v86, v56
	v_pk_fma_f16 v119, v69, v116, v121
	v_pk_fma_f16 v55, v68, v116, v55
	v_pk_fma_f16 v69, v69, v117, v122
	v_pk_fma_f16 v66, v68, v117, v66
	v_mul_u32_u24_e32 v121, 0x10001, v140
	v_mul_u32_u24_e32 v124, 0x10001, v141
	;; [unrolled: 1-line block ×4, first 2 shown]
	v_dual_lshrrev_b32 v91, 16, v82 :: v_dual_lshrrev_b32 v92, 16, v83
	v_and_b32_e32 v82, 0xffff, v82
	v_and_b32_e32 v83, 0xffff, v83
	ds_load_2addr_b64 v[74:77], v90 offset0:124 offset1:142
	s_wait_dscnt 0x2
	v_pk_fma_f16 v54, v70, v121, v54
	v_pk_fma_f16 v67, v71, v121, v67
	;; [unrolled: 1-line block ×8, first 2 shown]
	v_mul_u32_u24_e32 v70, 0x10001, v144
	v_mul_u32_u24_e32 v71, 0x10001, v145
	;; [unrolled: 1-line block ×4, first 2 shown]
	v_dual_lshrrev_b32 v93, 16, v84 :: v_dual_lshrrev_b32 v94, 16, v85
	v_and_b32_e32 v84, 0xffff, v84
	v_and_b32_e32 v85, 0xffff, v85
	v_mul_u32_u24_e32 v92, 0x10001, v92
	v_mul_u32_u24_e32 v82, 0x10001, v82
	;; [unrolled: 1-line block ×4, first 2 shown]
	v_pk_fma_f16 v54, v72, v70, v54
	v_pk_fma_f16 v67, v73, v70, v67
	;; [unrolled: 1-line block ×8, first 2 shown]
	v_dual_lshrrev_b32 v90, 16, v12 :: v_dual_lshrrev_b32 v96, 16, v13
	v_and_b32_e32 v97, 0xffff, v12
	v_and_b32_e32 v98, 0xffff, v13
	v_dual_lshrrev_b32 v99, 16, v14 :: v_dual_lshrrev_b32 v100, 16, v15
	v_and_b32_e32 v101, 0xffff, v14
	v_and_b32_e32 v102, 0xffff, v15
	ds_load_2addr_b64 v[12:15], v57 offset0:32 offset1:50
	v_mul_u32_u24_e32 v94, 0x10001, v94
	v_mul_u32_u24_e32 v84, 0x10001, v84
	;; [unrolled: 1-line block ×4, first 2 shown]
	s_wait_dscnt 0x2
	v_pk_fma_f16 v54, v4, v92, v54
	v_pk_fma_f16 v70, v5, v82, v70
	;; [unrolled: 1-line block ×8, first 2 shown]
	v_mul_u32_u24_e32 v96, 0x10001, v96
	v_mul_u32_u24_e32 v97, 0x10001, v97
	;; [unrolled: 1-line block ×3, first 2 shown]
	v_pk_fma_f16 v54, v6, v94, v54
	v_pk_fma_f16 v66, v7, v94, v67
	;; [unrolled: 1-line block ×7, first 2 shown]
	ds_load_2addr_b64 v[16:19], v57 offset0:68 offset1:86
	v_mul_u32_u24_e32 v100, 0x10001, v100
	v_mul_u32_u24_e32 v101, 0x10001, v101
	;; [unrolled: 1-line block ×3, first 2 shown]
	v_pk_fma_f16 v55, v6, v93, v55
	s_wait_dscnt 0x2
	v_pk_fma_f16 v6, v74, v96, v54
	v_pk_fma_f16 v7, v74, v97, v7
	v_pk_fma_f16 v4, v74, v98, v4
	v_dual_lshrrev_b32 v107, 16, v60 :: v_dual_lshrrev_b32 v108, 16, v61
	v_and_b32_e32 v109, 0xffff, v60
	v_and_b32_e32 v110, 0xffff, v61
	ds_load_b128 v[8:11], v50 offset:160
	ds_load_b128 v[58:61], v50 offset:176
	v_mul_u32_u24_e32 v90, 0x10001, v90
	v_mul_u32_u24_e32 v106, 0x10001, v106
	;; [unrolled: 1-line block ×4, first 2 shown]
	v_pk_fma_f16 v56, v75, v97, v67
	v_pk_fma_f16 v5, v75, v98, v5
	;; [unrolled: 1-line block ×5, first 2 shown]
	v_dual_lshrrev_b32 v111, 16, v62 :: v_dual_lshrrev_b32 v87, 16, v63
	v_and_b32_e32 v113, 0xffff, v62
	v_and_b32_e32 v88, 0xffff, v63
	v_dual_lshrrev_b32 v89, 16, v64 :: v_dual_lshrrev_b32 v95, 16, v65
	v_and_b32_e32 v112, 0xffff, v64
	v_and_b32_e32 v114, 0xffff, v65
	ds_load_2addr_b64 v[62:65], v57 offset0:104 offset1:122
	v_mul_u32_u24_e32 v99, 0x10001, v99
	v_mul_u32_u24_e32 v109, 0x10001, v109
	;; [unrolled: 1-line block ×4, first 2 shown]
	v_pk_fma_f16 v54, v75, v96, v66
	v_pk_fma_f16 v66, v75, v90, v69
	;; [unrolled: 1-line block ×5, first 2 shown]
	s_wait_dscnt 0x4
	v_pk_fma_f16 v6, v12, v105, v6
	v_pk_fma_f16 v7, v12, v106, v7
	;; [unrolled: 1-line block ×3, first 2 shown]
	v_mul_u32_u24_e32 v103, 0x10001, v103
	v_mul_u32_u24_e32 v113, 0x10001, v113
	;; [unrolled: 1-line block ×4, first 2 shown]
	v_pk_fma_f16 v54, v77, v100, v54
	v_pk_fma_f16 v66, v77, v99, v66
	;; [unrolled: 1-line block ×8, first 2 shown]
	ds_load_2addr_b64 v[78:81], v57 offset0:140 offset1:158
	s_wait_dscnt 0x3
	v_dual_lshrrev_b32 v115, 16, v8 :: v_dual_lshrrev_b32 v86, 16, v9
	v_and_b32_e32 v116, 0xffff, v8
	v_and_b32_e32 v68, 0xffff, v9
	v_mul_u32_u24_e32 v107, 0x10001, v107
	v_mul_u32_u24_e32 v112, 0x10001, v112
	;; [unrolled: 1-line block ×4, first 2 shown]
	v_pk_fma_f16 v66, v13, v103, v66
	v_pk_fma_f16 v13, v13, v105, v54
	;; [unrolled: 1-line block ×8, first 2 shown]
	v_dual_lshrrev_b32 v117, 16, v10 :: v_dual_lshrrev_b32 v120, 16, v11
	v_and_b32_e32 v122, 0xffff, v10
	v_and_b32_e32 v123, 0xffff, v11
	v_mul_u32_u24_e32 v111, 0x10001, v111
	v_mul_u32_u24_e32 v116, 0x10001, v116
	;; [unrolled: 1-line block ×4, first 2 shown]
	v_pk_fma_f16 v55, v15, v107, v66
	v_pk_fma_f16 v13, v15, v108, v13
	;; [unrolled: 1-line block ×8, first 2 shown]
	s_wait_dscnt 0x2
	v_dual_lshrrev_b32 v121, 16, v58 :: v_dual_lshrrev_b32 v124, 16, v59
	v_and_b32_e32 v58, 0xffff, v58
	v_and_b32_e32 v59, 0xffff, v59
	v_mul_u32_u24_e32 v89, 0x10001, v89
	v_mul_u32_u24_e32 v122, 0x10001, v122
	;; [unrolled: 1-line block ×4, first 2 shown]
	v_pk_fma_f16 v14, v17, v111, v55
	v_pk_fma_f16 v15, v16, v111, v15
	;; [unrolled: 1-line block ×4, first 2 shown]
	s_wait_dscnt 0x1
	v_pk_fma_f16 v6, v62, v86, v6
	v_pk_fma_f16 v7, v62, v116, v7
	;; [unrolled: 1-line block ×3, first 2 shown]
	ds_load_b128 v[8:11], v50 offset:192
	v_mul_u32_u24_e32 v115, 0x10001, v115
	v_mul_u32_u24_e32 v58, 0x10001, v58
	;; [unrolled: 1-line block ×4, first 2 shown]
	v_pk_fma_f16 v13, v17, v87, v13
	v_pk_fma_f16 v14, v19, v89, v14
	;; [unrolled: 1-line block ×8, first 2 shown]
	v_mul_u32_u24_e32 v117, 0x10001, v117
	v_pk_fma_f16 v13, v19, v95, v13
	v_pk_fma_f16 v14, v63, v115, v14
	;; [unrolled: 1-line block ×5, first 2 shown]
	s_wait_dscnt 0x1
	v_pk_fma_f16 v16, v78, v124, v6
	v_pk_fma_f16 v17, v78, v58, v7
	;; [unrolled: 1-line block ×3, first 2 shown]
	v_and_b32_e32 v4, 0xffff, v60
	v_dual_lshrrev_b32 v6, 16, v60 :: v_dual_lshrrev_b32 v54, 16, v61
	v_and_b32_e32 v7, 0xffff, v61
	v_mul_u32_u24_e32 v121, 0x10001, v121
	v_pk_fma_f16 v13, v63, v86, v13
	v_pk_fma_f16 v14, v65, v117, v14
	;; [unrolled: 1-line block ×5, first 2 shown]
	v_mul_u32_u24_e32 v55, 0x10001, v4
	v_mul_u32_u24_e32 v56, 0x10001, v6
	;; [unrolled: 1-line block ×3, first 2 shown]
	ds_load_2addr_b64 v[4:7], v57 offset0:176 offset1:194
	v_pk_fma_f16 v13, v65, v120, v13
	v_pk_fma_f16 v15, v78, v121, v15
	;; [unrolled: 1-line block ×3, first 2 shown]
	v_mul_u32_u24_e32 v54, 0x10001, v54
	v_pk_fma_f16 v17, v80, v55, v17
	v_pk_fma_f16 v59, v79, v124, v13
	;; [unrolled: 1-line block ×5, first 2 shown]
	ds_load_b128 v[12:15], v50 offset:208
	s_wait_dscnt 0x2
	v_and_b32_e32 v61, 0xffff, v8
	v_lshrrev_b32_e32 v8, 16, v8
	v_and_b32_e32 v62, 0xffff, v9
	v_lshrrev_b32_e32 v9, 16, v9
	v_pk_fma_f16 v18, v80, v58, v18
	v_pk_fma_f16 v16, v80, v54, v16
	;; [unrolled: 1-line block ×3, first 2 shown]
	v_mul_u32_u24_e32 v58, 0x10001, v61
	v_mul_u32_u24_e32 v8, 0x10001, v8
	;; [unrolled: 1-line block ×4, first 2 shown]
	v_pk_fma_f16 v54, v81, v54, v59
	s_wait_dscnt 0x1
	v_pk_fma_f16 v17, v4, v58, v17
	v_pk_fma_f16 v59, v4, v8, v60
	;; [unrolled: 1-line block ×6, first 2 shown]
	v_and_b32_e32 v8, 0xffff, v10
	v_dual_lshrrev_b32 v9, 16, v10 :: v_dual_lshrrev_b32 v58, 16, v11
	v_pk_fma_f16 v19, v5, v61, v19
	v_and_b32_e32 v56, 0xffff, v11
	s_delay_alu instid0(VALU_DEP_4) | instskip(NEXT) | instid1(VALU_DEP_4)
	v_mul_u32_u24_e32 v60, 0x10001, v8
	v_mul_u32_u24_e32 v61, 0x10001, v9
	ds_load_2addr_b64 v[8:11], v57 offset0:212 offset1:230
	v_mul_u32_u24_e32 v57, 0x10001, v58
	v_mul_u32_u24_e32 v56, 0x10001, v56
	v_pk_fma_f16 v5, v5, v62, v54
	v_pk_fma_f16 v17, v6, v60, v17
	;; [unrolled: 1-line block ×7, first 2 shown]
	s_wait_dscnt 0x1
	v_and_b32_e32 v55, 0xffff, v12
	v_lshrrev_b32_e32 v12, 16, v12
	v_and_b32_e32 v58, 0xffff, v13
	v_lshrrev_b32_e32 v13, 16, v13
	v_pk_fma_f16 v19, v7, v56, v19
	v_mul_u32_u24_e32 v55, 0x10001, v55
	v_mul_u32_u24_e32 v12, 0x10001, v12
	;; [unrolled: 1-line block ×4, first 2 shown]
	v_pk_fma_f16 v57, v7, v57, v5
	s_wait_dscnt 0x0
	v_pk_fma_f16 v17, v8, v55, v17
	v_pk_fma_f16 v54, v8, v12, v54
	;; [unrolled: 1-line block ×5, first 2 shown]
	ds_load_b128 v[4:7], v50 offset:224
	v_pk_fma_f16 v16, v9, v12, v16
	v_pk_fma_f16 v56, v9, v56, v19
	v_and_b32_e32 v12, 0xffff, v14
	v_dual_lshrrev_b32 v13, 16, v14 :: v_dual_lshrrev_b32 v59, 16, v15
	v_and_b32_e32 v14, 0xffff, v15
	v_add_nc_u32_e32 v19, 0xc00, v37
	s_delay_alu instid0(VALU_DEP_4) | instskip(NEXT) | instid1(VALU_DEP_4)
	v_mul_u32_u24_e32 v60, 0x10001, v12
	v_mul_u32_u24_e32 v61, 0x10001, v13
	;; [unrolled: 1-line block ×4, first 2 shown]
	ds_load_2addr_b64 v[12:15], v19 offset0:120 offset1:138
	v_pk_fma_f16 v9, v9, v58, v57
	v_pk_fma_f16 v57, v10, v60, v17
	;; [unrolled: 1-line block ×7, first 2 shown]
	ds_load_b128 v[16:19], v50 offset:240
	s_wait_dscnt 0x2
	v_and_b32_e32 v60, 0xffff, v4
	v_lshrrev_b32_e32 v4, 16, v4
	v_and_b32_e32 v61, 0xffff, v5
	v_lshrrev_b32_e32 v5, 16, v5
	v_pk_fma_f16 v56, v11, v62, v56
	v_mul_u32_u24_e32 v60, 0x10001, v60
	v_mul_u32_u24_e32 v4, 0x10001, v4
	v_mul_u32_u24_e32 v61, 0x10001, v61
	v_mul_u32_u24_e32 v62, 0x10001, v5
	v_pk_fma_f16 v9, v11, v59, v9
	v_lshrrev_b32_e32 v5, 16, v6
	s_wait_dscnt 0x1
	v_pk_fma_f16 v11, v12, v60, v57
	v_pk_fma_f16 v54, v12, v4, v54
	;; [unrolled: 1-line block ×5, first 2 shown]
	v_and_b32_e32 v4, 0xffff, v6
	v_add_nc_u32_e32 v6, 0x1000, v37
	v_pk_fma_f16 v10, v13, v60, v10
	v_pk_fma_f16 v55, v13, v61, v56
	v_and_b32_e32 v56, 0xffff, v7
	v_lshrrev_b32_e32 v58, 16, v7
	v_mul_u32_u24_e32 v59, 0x10001, v4
	v_mul_u32_u24_e32 v60, 0x10001, v5
	ds_load_2addr_b64 v[4:7], v6 offset0:28 offset1:46
	v_mul_u32_u24_e32 v56, 0x10001, v56
	v_mul_u32_u24_e32 v58, 0x10001, v58
	s_wait_dscnt 0x0
	s_barrier_signal -1
	s_barrier_wait -1
	s_load_b32 s3, s[24:25], 0x4
	v_pk_fma_f16 v9, v13, v62, v9
	v_pk_fma_f16 v11, v14, v59, v11
	v_pk_fma_f16 v13, v14, v60, v54
	v_pk_fma_f16 v54, v14, v56, v57
	v_pk_fma_f16 v8, v14, v58, v8
	v_and_b32_e32 v14, 0xffff, v16
	v_lshrrev_b32_e32 v16, 16, v16
	v_and_b32_e32 v57, 0xffff, v17
	v_lshrrev_b32_e32 v17, 16, v17
	v_pk_fma_f16 v10, v15, v59, v10
	v_pk_fma_f16 v12, v15, v60, v12
	;; [unrolled: 1-line block ×3, first 2 shown]
	v_mul_u32_u24_e32 v14, 0x10001, v14
	v_mul_u32_u24_e32 v16, 0x10001, v16
	v_mul_u32_u24_e32 v56, 0x10001, v57
	v_mul_u32_u24_e32 v17, 0x10001, v17
	v_pk_fma_f16 v9, v15, v58, v9
	v_pk_fma_f16 v11, v4, v14, v11
	;; [unrolled: 1-line block ×7, first 2 shown]
	v_and_b32_e32 v12, 0xffff, v18
	v_dual_lshrrev_b32 v14, 16, v18 :: v_dual_lshrrev_b32 v18, 16, v19
	v_and_b32_e32 v16, 0xffff, v19
	v_pk_fma_f16 v19, v5, v56, v55
	s_delay_alu instid0(VALU_DEP_4) | instskip(NEXT) | instid1(VALU_DEP_4)
	v_mul_u32_u24_e32 v12, 0x10001, v12
	v_mul_u32_u24_e32 v14, 0x10001, v14
	;; [unrolled: 1-line block ×4, first 2 shown]
	v_pk_fma_f16 v5, v5, v17, v9
	s_wait_kmcnt 0x0
	s_lshl_b32 s3, s3, 5
	v_pk_fma_f16 v56, v6, v12, v11
	v_pk_fma_f16 v55, v6, v14, v13
	;; [unrolled: 1-line block ×8, first 2 shown]
	s_add_co_i32 s4, s3, s4
	s_delay_alu instid0(SALU_CYCLE_1)
	s_cmp_ge_i32 s4, s30
	s_cbranch_scc1 .LBB21_17
; %bb.16:                               ;   in Loop: Header=BB21_11 Depth=1
	v_dual_mov_b32 v8, v0 :: v_dual_mov_b32 v14, v1
	v_dual_mov_b32 v15, v2 :: v_dual_mov_b32 v16, v3
	s_branch .LBB21_11
.LBB21_17:
	v_mov_b32_e32 v4, v38
.LBB21_18:
	v_cmp_lt_i32_e32 vcc_lo, v44, v39
	s_cmp_lg_u64 s[12:13], 0
	s_cselect_b32 s3, -1, 0
	s_cmp_eq_u32 s31, 0
	v_cndmask_b32_e32 v5, v4, v44, vcc_lo
	v_cmp_lt_i32_e32 vcc_lo, v43, v39
	s_cselect_b32 s4, -1, 0
	s_delay_alu instid0(SALU_CYCLE_1) | instskip(NEXT) | instid1(VALU_DEP_2)
	s_and_b32 s3, s4, s3
	v_lshlrev_b32_e32 v5, 2, v5
	ds_bpermute_b32 v6, v5, v22
	ds_bpermute_b32 v7, v5, v23
	;; [unrolled: 1-line block ×4, first 2 shown]
	v_cndmask_b32_e32 v5, v4, v43, vcc_lo
	v_cmp_lt_i32_e32 vcc_lo, v42, v39
	s_delay_alu instid0(VALU_DEP_2)
	v_lshlrev_b32_e32 v5, 2, v5
	s_wait_dscnt 0x2
	v_pk_add_f32 v[6:7], v[22:23], v[6:7]
	s_wait_dscnt 0x0
	v_pk_add_f32 v[14:15], v[20:21], v[14:15]
	ds_bpermute_b32 v16, v5, v6
	ds_bpermute_b32 v17, v5, v7
	;; [unrolled: 1-line block ×4, first 2 shown]
	v_cndmask_b32_e32 v5, v4, v42, vcc_lo
	v_cmp_lt_i32_e32 vcc_lo, v41, v39
	s_delay_alu instid0(VALU_DEP_2)
	v_lshlrev_b32_e32 v5, 2, v5
	s_wait_dscnt 0x2
	v_pk_add_f32 v[6:7], v[6:7], v[16:17]
	s_wait_dscnt 0x0
	v_pk_add_f32 v[14:15], v[14:15], v[18:19]
	ds_bpermute_b32 v16, v5, v6
	ds_bpermute_b32 v17, v5, v7
	ds_bpermute_b32 v18, v5, v14
	ds_bpermute_b32 v19, v5, v15
	v_cndmask_b32_e32 v5, v4, v41, vcc_lo
	v_cmp_lt_i32_e32 vcc_lo, v40, v39
	s_delay_alu instid0(VALU_DEP_2) | instskip(SKIP_1) | instid1(VALU_DEP_1)
	v_dual_cndmask_b32 v4, v4, v40 :: v_dual_lshlrev_b32 v5, 2, v5
	s_and_b32 vcc_lo, exec_lo, s3
	v_lshlrev_b32_e32 v8, 2, v4
	s_wait_dscnt 0x2
	v_pk_add_f32 v[6:7], v[6:7], v[16:17]
	s_wait_dscnt 0x0
	v_pk_add_f32 v[14:15], v[14:15], v[18:19]
	ds_bpermute_b32 v16, v5, v6
	ds_bpermute_b32 v17, v5, v7
	;; [unrolled: 1-line block ×4, first 2 shown]
	s_wait_dscnt 0x2
	v_pk_add_f32 v[4:5], v[6:7], v[16:17]
	s_wait_dscnt 0x0
	v_pk_add_f32 v[14:15], v[14:15], v[18:19]
	ds_bpermute_b32 v6, v8, v4
	ds_bpermute_b32 v7, v8, v5
	;; [unrolled: 1-line block ×4, first 2 shown]
	s_wait_dscnt 0x2
	v_pk_add_f32 v[6:7], v[4:5], v[6:7]
	s_wait_dscnt 0x0
	v_pk_add_f32 v[4:5], v[14:15], v[16:17]
	s_cbranch_vccz .LBB21_20
; %bb.19:
	s_ashr_i32 s11, s10, 31
	v_dual_mov_b32 v8, 0 :: v_dual_max_num_f32 v19, v1, v1
	s_lshl_b64 s[4:5], s[10:11], 2
	v_max_num_f32_e32 v20, v2, v2
	s_add_nc_u64 s[4:5], s[12:13], s[4:5]
	v_max_num_f32_e32 v21, v3, v3
	global_load_b128 v[14:17], v8, s[4:5]
	s_wait_loadcnt 0x0
	v_dual_max_num_f32 v8, v0, v0 :: v_dual_max_num_f32 v18, v14, v14
	v_dual_max_num_f32 v22, v15, v15 :: v_dual_max_num_f32 v23, v16, v16
	s_delay_alu instid0(VALU_DEP_2) | instskip(NEXT) | instid1(VALU_DEP_2)
	v_dual_max_num_f32 v24, v17, v17 :: v_dual_max_num_f32 v18, v8, v18
	v_dual_max_num_f32 v19, v19, v22 :: v_dual_max_num_f32 v20, v20, v23
	s_delay_alu instid0(VALU_DEP_2) | instskip(NEXT) | instid1(VALU_DEP_2)
	v_dual_max_num_f32 v21, v21, v24 :: v_dual_sub_f32 v0, v0, v18
	v_dual_sub_f32 v8, v14, v18 :: v_dual_sub_f32 v1, v1, v19
	s_delay_alu instid0(VALU_DEP_3) | instskip(NEXT) | instid1(VALU_DEP_3)
	v_dual_sub_f32 v14, v15, v19 :: v_dual_sub_f32 v15, v2, v20
	v_dual_sub_f32 v17, v17, v21 :: v_dual_mul_f32 v2, 0x3fb8aa3b, v0
	v_dual_sub_f32 v16, v16, v20 :: v_dual_sub_f32 v22, v3, v21
	s_delay_alu instid0(VALU_DEP_3) | instskip(NEXT) | instid1(VALU_DEP_2)
	v_dual_mul_f32 v3, 0x3fb8aa3b, v8 :: v_dual_mul_f32 v24, 0x3fb8aa3b, v14
	v_dual_mul_f32 v23, 0x3fb8aa3b, v1 :: v_dual_mul_f32 v26, 0x3fb8aa3b, v16
	s_delay_alu instid0(VALU_DEP_4)
	v_fma_f32 v29, 0x3fb8aa3b, v0, -v2
	v_rndne_f32_e32 v30, v2
	v_dual_mul_f32 v25, 0x3fb8aa3b, v15 :: v_dual_mul_f32 v28, 0x3fb8aa3b, v17
	v_fma_f32 v31, 0x3fb8aa3b, v8, -v3
	v_rndne_f32_e32 v32, v3
	v_fma_f32 v33, 0x3fb8aa3b, v1, -v23
	v_rndne_f32_e32 v37, v23
	;; [unrolled: 2-line block ×3, first 2 shown]
	v_mul_f32_e32 v27, 0x3fb8aa3b, v22
	v_dual_fmac_f32 v29, 0x32a5705f, v0 :: v_dual_sub_f32 v2, v2, v30
	v_fma_f32 v40, 0x3fb8aa3b, v15, -v25
	v_rndne_f32_e32 v41, v25
	v_fma_f32 v42, 0x3fb8aa3b, v16, -v26
	v_rndne_f32_e32 v43, v26
	v_fma_f32 v46, 0x3fb8aa3b, v17, -v28
	v_dual_fmac_f32 v31, 0x32a5705f, v8 :: v_dual_fmac_f32 v38, 0x32a5705f, v14
	v_dual_sub_f32 v3, v3, v32 :: v_dual_fmac_f32 v40, 0x32a5705f, v15
	v_dual_fmac_f32 v33, 0x32a5705f, v1 :: v_dual_fmac_f32 v42, 0x32a5705f, v16
	v_dual_sub_f32 v23, v23, v37 :: v_dual_sub_f32 v26, v26, v43
	v_sub_f32_e32 v24, v24, v39
	v_fma_f32 v44, 0x3fb8aa3b, v22, -v27
	v_add_f32_e32 v2, v2, v29
	v_sub_f32_e32 v25, v25, v41
	v_dual_fmac_f32 v46, 0x32a5705f, v17 :: v_dual_add_f32 v3, v3, v31
	s_delay_alu instid0(VALU_DEP_4) | instskip(NEXT) | instid1(VALU_DEP_3)
	v_dual_fmac_f32 v44, 0x32a5705f, v22 :: v_dual_add_f32 v23, v23, v33
	v_dual_add_f32 v25, v25, v40 :: v_dual_add_f32 v24, v24, v38
	v_exp_f32_e32 v2, v2
	v_cvt_i32_f32_e32 v30, v30
	v_exp_f32_e32 v3, v3
	v_exp_f32_e32 v23, v23
	v_rndne_f32_e32 v45, v27
	v_rndne_f32_e32 v47, v28
	v_cvt_i32_f32_e32 v32, v32
	v_cvt_i32_f32_e32 v37, v37
	v_ldexp_f32 v2, v2, v30
	v_cmp_ngt_f32_e32 vcc_lo, 0xc2ce8ed0, v0
	v_dual_sub_f32 v27, v27, v45 :: v_dual_sub_f32 v28, v28, v47
	v_ldexp_f32 v3, v3, v32
	v_ldexp_f32 v23, v23, v37
	v_cndmask_b32_e32 v2, 0, v2, vcc_lo
	v_cmp_ngt_f32_e32 vcc_lo, 0xc2ce8ed0, v8
	v_exp_f32_e32 v24, v24
	v_cvt_i32_f32_e32 v39, v39
	v_add_f32_e32 v28, v28, v46
	v_dual_add_f32 v26, v26, v42 :: v_dual_add_f32 v27, v27, v44
	v_cndmask_b32_e32 v3, 0, v3, vcc_lo
	v_cmp_ngt_f32_e32 vcc_lo, 0xc2ce8ed0, v1
	v_exp_f32_e32 v25, v25
	v_cvt_i32_f32_e32 v41, v41
	v_ldexp_f32 v24, v24, v39
	v_exp_f32_e32 v26, v26
	v_cndmask_b32_e32 v23, 0, v23, vcc_lo
	v_cmp_ngt_f32_e32 vcc_lo, 0xc2ce8ed0, v14
	v_cvt_i32_f32_e32 v43, v43
	v_ldexp_f32 v25, v25, v41
	v_exp_f32_e32 v27, v27
	v_cvt_i32_f32_e32 v45, v45
	v_cndmask_b32_e32 v24, 0, v24, vcc_lo
	v_cmp_ngt_f32_e32 vcc_lo, 0xc2ce8ed0, v15
	v_ldexp_f32 v26, v26, v43
	v_exp_f32_e32 v28, v28
	v_cvt_i32_f32_e32 v47, v47
	v_ldexp_f32 v27, v27, v45
	v_cndmask_b32_e32 v25, 0, v25, vcc_lo
	v_cmp_ngt_f32_e32 vcc_lo, 0xc2ce8ed0, v16
	s_delay_alu instid0(TRANS32_DEP_1) | instid1(VALU_DEP_4)
	v_ldexp_f32 v28, v28, v47
	v_cndmask_b32_e32 v26, 0, v26, vcc_lo
	v_cmp_ngt_f32_e32 vcc_lo, 0xc2ce8ed0, v22
	v_cndmask_b32_e32 v27, 0, v27, vcc_lo
	v_cmp_ngt_f32_e32 vcc_lo, 0xc2ce8ed0, v17
	v_cndmask_b32_e32 v28, 0, v28, vcc_lo
	v_cmp_nlt_f32_e32 vcc_lo, 0x42b17218, v0
	v_cndmask_b32_e32 v0, 0x7f800000, v2, vcc_lo
	v_cmp_nlt_f32_e32 vcc_lo, 0x42b17218, v8
	s_delay_alu instid0(VALU_DEP_2) | instskip(SKIP_2) | instid1(VALU_DEP_3)
	v_cvt_f16_f32_e32 v8, v0
	v_cndmask_b32_e32 v2, 0x7f800000, v3, vcc_lo
	v_cmp_nlt_f32_e32 vcc_lo, 0x42b17218, v1
	v_and_b32_e32 v8, 0xffff, v8
	v_cndmask_b32_e32 v1, 0x7f800000, v23, vcc_lo
	v_cmp_nlt_f32_e32 vcc_lo, 0x42b17218, v14
	v_cndmask_b32_e32 v3, 0x7f800000, v24, vcc_lo
	v_cmp_nlt_f32_e32 vcc_lo, 0x42b17218, v15
	s_delay_alu instid0(VALU_DEP_2) | instskip(SKIP_3) | instid1(VALU_DEP_3)
	v_pk_fma_f32 v[6:7], v[6:7], v[0:1], v[2:3]
	v_cndmask_b32_e32 v14, 0x7f800000, v25, vcc_lo
	v_cmp_nlt_f32_e32 vcc_lo, 0x42b17218, v16
	v_mul_u32_u24_e32 v3, 0x10001, v8
	v_cvt_f16_f32_e32 v23, v14
	v_cndmask_b32_e32 v16, 0x7f800000, v26, vcc_lo
	v_cmp_nlt_f32_e32 vcc_lo, 0x42b17218, v22
	v_cvt_f16_f32_e32 v22, v1
	v_pk_mul_f16 v56, v56, v3
	v_and_b32_e32 v1, 0xffff, v23
	v_pk_mul_f16 v13, v13, v3
	v_cndmask_b32_e32 v15, 0x7f800000, v27, vcc_lo
	v_and_b32_e32 v0, 0xffff, v22
	v_cmp_nlt_f32_e32 vcc_lo, 0x42b17218, v17
	v_mul_u32_u24_e32 v1, 0x10001, v1
	s_delay_alu instid0(VALU_DEP_4) | instskip(NEXT) | instid1(VALU_DEP_4)
	v_cvt_f16_f32_e32 v24, v15
	v_mul_u32_u24_e32 v0, 0x10001, v0
	v_cndmask_b32_e32 v17, 0x7f800000, v28, vcc_lo
	s_delay_alu instid0(VALU_DEP_4)
	v_pk_mul_f16 v54, v54, v1
	v_pk_mul_f16 v11, v11, v1
	v_and_b32_e32 v2, 0xffff, v24
	v_pk_mul_f16 v55, v55, v0
	v_pk_mul_f16 v12, v12, v0
	v_pk_fma_f32 v[4:5], v[4:5], v[14:15], v[16:17]
	s_delay_alu instid0(VALU_DEP_4) | instskip(NEXT) | instid1(VALU_DEP_1)
	v_mul_u32_u24_e32 v2, 0x10001, v2
	v_pk_mul_f16 v9, v9, v2
	v_pk_mul_f16 v10, v10, v2
	v_mov_b64_e32 v[0:1], v[18:19]
	v_mov_b64_e32 v[2:3], v[20:21]
.LBB21_20:
	s_mov_b32 s3, exec_lo
	v_cmpx_gt_i32_e64 s22, v36
	s_cbranch_execz .LBB21_39
; %bb.21:
	s_load_b32 s0, s[0:1], 0xd4
	v_mov_b32_e32 v8, 1.0
	s_wait_kmcnt 0x0
	s_cmp_lg_u32 s0, 1
	s_cselect_b32 s1, -1, 0
	s_cmp_eq_u32 s0, 1
	s_cselect_b32 s3, -1, 0
	s_and_b32 vcc_lo, exec_lo, s1
	s_cbranch_vccnz .LBB21_23
; %bb.22:
	v_div_scale_f32 v8, null, v6, v6, 1.0
	s_delay_alu instid0(VALU_DEP_1) | instskip(SKIP_1) | instid1(TRANS32_DEP_1)
	v_rcp_f32_e32 v14, v8
	v_nop
	v_fma_f32 v15, -v8, v14, 1.0
	s_delay_alu instid0(VALU_DEP_1) | instskip(SKIP_1) | instid1(VALU_DEP_1)
	v_fmac_f32_e32 v14, v15, v14
	v_div_scale_f32 v15, vcc_lo, 1.0, v6, 1.0
	v_mul_f32_e32 v16, v15, v14
	s_delay_alu instid0(VALU_DEP_1) | instskip(NEXT) | instid1(VALU_DEP_1)
	v_fma_f32 v17, -v8, v16, v15
	v_fmac_f32_e32 v16, v17, v14
	s_delay_alu instid0(VALU_DEP_1) | instskip(NEXT) | instid1(VALU_DEP_1)
	v_fma_f32 v8, -v8, v16, v15
	v_div_fmas_f32 v8, v8, v14, v16
	s_delay_alu instid0(VALU_DEP_1)
	v_div_fixup_f32 v8, v8, v6, 1.0
.LBB21_23:
	v_mad_u32 v14, s28, s22, v36
	s_delay_alu instid0(VALU_DEP_1) | instskip(NEXT) | instid1(VALU_DEP_1)
	v_mad_u32 v14, v14, s23, s10
	v_mul_lo_u32 v14, s0, v14
	s_delay_alu instid0(VALU_DEP_1)
	v_add_nc_u32_e32 v15, s31, v14
	s_and_saveexec_b32 s4, s2
	s_cbranch_execz .LBB21_25
; %bb.24:
	s_delay_alu instid0(VALU_DEP_1) | instskip(SKIP_4) | instid1(VALU_DEP_4)
	v_mad_u32 v18, 0x48, v15, v34
	v_dual_lshrrev_b32 v17, 16, v56 :: v_dual_lshrrev_b32 v21, 16, v13
	v_mov_b32_e32 v19, 0
	v_cvt_f32_f16_e32 v16, v56
	v_cvt_f32_f16_e32 v20, v13
	;; [unrolled: 1-line block ×4, first 2 shown]
	s_delay_alu instid0(VALU_DEP_2) | instskip(SKIP_1) | instid1(VALU_DEP_3)
	v_pk_mul_f32 v[16:17], v[8:9], v[16:17] op_sel_hi:[0,1]
	v_lshl_add_u64 v[22:23], v[18:19], 2, s[16:17]
	v_pk_mul_f32 v[18:19], v[8:9], v[20:21] op_sel_hi:[0,1]
	global_store_b128 v[22:23], v[16:19], off
.LBB21_25:
	s_wait_xcnt 0x0
	s_or_b32 exec_lo, exec_lo, s4
	v_cmp_eq_u32_e32 vcc_lo, 0, v35
	s_and_b32 s1, vcc_lo, s1
	s_delay_alu instid0(SALU_CYCLE_1)
	s_and_saveexec_b32 s4, s1
	s_cbranch_execz .LBB21_27
; %bb.26:
	v_dual_mov_b32 v16, v0 :: v_dual_mov_b32 v17, v6
	global_store_b64 v15, v[16:17], s[18:19] scale_offset
.LBB21_27:
	s_wait_xcnt 0x0
	s_or_b32 exec_lo, exec_lo, s4
	v_cndmask_b32_e64 v8, 0, 1, s3
	v_mov_b32_e32 v0, 1.0
	s_and_not1_b32 vcc_lo, exec_lo, s3
	s_cbranch_vccz .LBB21_40
; %bb.28:
	v_add_nc_u32_e32 v13, s0, v14
	s_delay_alu instid0(VALU_DEP_1)
	v_add_nc_u32_e32 v14, s31, v13
	s_and_saveexec_b32 s3, s2
	s_cbranch_execnz .LBB21_41
.LBB21_29:
	s_or_b32 exec_lo, exec_lo, s3
	s_and_saveexec_b32 s3, s1
	s_cbranch_execz .LBB21_31
.LBB21_30:
	v_mov_b32_e32 v6, v1
	global_store_b64 v14, v[6:7], s[18:19] scale_offset
.LBB21_31:
	s_wait_xcnt 0x0
	s_or_b32 exec_lo, exec_lo, s3
	v_cmp_ne_u32_e32 vcc_lo, 1, v8
	v_mov_b32_e32 v0, 1.0
	s_cbranch_vccz .LBB21_42
; %bb.32:
	v_add_nc_u32_e32 v1, s0, v13
	s_delay_alu instid0(VALU_DEP_1)
	v_add_nc_u32_e32 v6, s31, v1
	s_and_saveexec_b32 s3, s2
	s_cbranch_execnz .LBB21_43
.LBB21_33:
	s_or_b32 exec_lo, exec_lo, s3
	s_and_saveexec_b32 s3, s1
	s_cbranch_execz .LBB21_35
.LBB21_34:
	v_dual_mov_b32 v12, v2 :: v_dual_mov_b32 v13, v4
	global_store_b64 v6, v[12:13], s[18:19] scale_offset
.LBB21_35:
	s_wait_xcnt 0x0
	s_or_b32 exec_lo, exec_lo, s3
	v_cmp_ne_u32_e32 vcc_lo, 1, v8
	v_mov_b32_e32 v0, 1.0
	s_cbranch_vccz .LBB21_44
; %bb.36:
	v_add3_u32 v1, s31, s0, v1
	s_and_saveexec_b32 s0, s2
	s_cbranch_execnz .LBB21_45
.LBB21_37:
	s_or_b32 exec_lo, exec_lo, s0
	s_delay_alu instid0(SALU_CYCLE_1)
	s_and_b32 exec_lo, exec_lo, s1
	s_cbranch_execz .LBB21_39
.LBB21_38:
	v_mov_b32_e32 v4, v3
	global_store_b64 v1, v[4:5], s[18:19] scale_offset
.LBB21_39:
	s_sendmsg sendmsg(MSG_DEALLOC_VGPRS)
	s_endpgm
.LBB21_40:
	v_div_scale_f32 v0, null, v7, v7, 1.0
	s_delay_alu instid0(VALU_DEP_1) | instskip(SKIP_1) | instid1(TRANS32_DEP_1)
	v_rcp_f32_e32 v6, v0
	v_nop
	v_fma_f32 v13, -v0, v6, 1.0
	s_delay_alu instid0(VALU_DEP_1) | instskip(SKIP_1) | instid1(VALU_DEP_1)
	v_fmac_f32_e32 v6, v13, v6
	v_div_scale_f32 v13, vcc_lo, 1.0, v7, 1.0
	v_mul_f32_e32 v15, v13, v6
	s_delay_alu instid0(VALU_DEP_1) | instskip(NEXT) | instid1(VALU_DEP_1)
	v_fma_f32 v16, -v0, v15, v13
	v_fmac_f32_e32 v15, v16, v6
	s_delay_alu instid0(VALU_DEP_1) | instskip(NEXT) | instid1(VALU_DEP_1)
	v_fma_f32 v0, -v0, v15, v13
	v_div_fmas_f32 v0, v0, v6, v15
	s_delay_alu instid0(VALU_DEP_1) | instskip(SKIP_1) | instid1(VALU_DEP_1)
	v_div_fixup_f32 v0, v0, v7, 1.0
	v_add_nc_u32_e32 v13, s0, v14
	v_add_nc_u32_e32 v14, s31, v13
	s_and_saveexec_b32 s3, s2
	s_cbranch_execz .LBB21_29
.LBB21_41:
	s_delay_alu instid0(VALU_DEP_1) | instskip(SKIP_4) | instid1(VALU_DEP_4)
	v_mad_u32 v18, 0x48, v14, v34
	v_dual_lshrrev_b32 v6, 16, v55 :: v_dual_lshrrev_b32 v15, 16, v12
	v_mov_b32_e32 v19, 0
	v_cvt_f32_f16_e32 v16, v55
	v_cvt_f32_f16_e32 v20, v12
	;; [unrolled: 1-line block ×4, first 2 shown]
	s_delay_alu instid0(VALU_DEP_2) | instskip(SKIP_1) | instid1(VALU_DEP_3)
	v_pk_mul_f32 v[16:17], v[0:1], v[16:17] op_sel_hi:[0,1]
	v_lshl_add_u64 v[22:23], v[18:19], 2, s[16:17]
	v_pk_mul_f32 v[18:19], v[0:1], v[20:21] op_sel_hi:[0,1]
	global_store_b128 v[22:23], v[16:19], off
	s_wait_xcnt 0x0
	s_or_b32 exec_lo, exec_lo, s3
	s_and_saveexec_b32 s3, s1
	s_cbranch_execnz .LBB21_30
	s_branch .LBB21_31
.LBB21_42:
	v_div_scale_f32 v0, null, v4, v4, 1.0
	s_delay_alu instid0(VALU_DEP_1) | instskip(SKIP_1) | instid1(TRANS32_DEP_1)
	v_rcp_f32_e32 v1, v0
	v_nop
	v_fma_f32 v6, -v0, v1, 1.0
	s_delay_alu instid0(VALU_DEP_1) | instskip(SKIP_1) | instid1(VALU_DEP_1)
	v_fmac_f32_e32 v1, v6, v1
	v_div_scale_f32 v6, vcc_lo, 1.0, v4, 1.0
	v_mul_f32_e32 v7, v6, v1
	s_delay_alu instid0(VALU_DEP_1) | instskip(NEXT) | instid1(VALU_DEP_1)
	v_fma_f32 v12, -v0, v7, v6
	v_fmac_f32_e32 v7, v12, v1
	s_delay_alu instid0(VALU_DEP_1) | instskip(NEXT) | instid1(VALU_DEP_1)
	v_fma_f32 v0, -v0, v7, v6
	v_div_fmas_f32 v0, v0, v1, v7
	s_delay_alu instid0(VALU_DEP_1) | instskip(SKIP_1) | instid1(VALU_DEP_1)
	v_div_fixup_f32 v0, v0, v4, 1.0
	v_add_nc_u32_e32 v1, s0, v13
	v_add_nc_u32_e32 v6, s31, v1
	s_and_saveexec_b32 s3, s2
	s_cbranch_execz .LBB21_33
.LBB21_43:
	s_delay_alu instid0(VALU_DEP_1) | instskip(SKIP_4) | instid1(VALU_DEP_4)
	v_mad_u32 v14, 0x48, v6, v34
	v_dual_lshrrev_b32 v7, 16, v54 :: v_dual_lshrrev_b32 v17, 16, v11
	v_mov_b32_e32 v15, 0
	v_cvt_f32_f16_e32 v12, v54
	v_cvt_f32_f16_e32 v16, v11
	;; [unrolled: 1-line block ×4, first 2 shown]
	s_delay_alu instid0(VALU_DEP_2) | instskip(SKIP_1) | instid1(VALU_DEP_3)
	v_pk_mul_f32 v[12:13], v[0:1], v[12:13] op_sel_hi:[0,1]
	v_lshl_add_u64 v[18:19], v[14:15], 2, s[16:17]
	v_pk_mul_f32 v[14:15], v[0:1], v[16:17] op_sel_hi:[0,1]
	global_store_b128 v[18:19], v[12:15], off
	s_wait_xcnt 0x0
	s_or_b32 exec_lo, exec_lo, s3
	s_and_saveexec_b32 s3, s1
	s_cbranch_execnz .LBB21_34
	s_branch .LBB21_35
.LBB21_44:
	v_div_scale_f32 v0, null, v5, v5, 1.0
	s_delay_alu instid0(VALU_DEP_1) | instskip(SKIP_1) | instid1(TRANS32_DEP_1)
	v_rcp_f32_e32 v2, v0
	v_nop
	v_fma_f32 v4, -v0, v2, 1.0
	s_delay_alu instid0(VALU_DEP_1) | instskip(SKIP_1) | instid1(VALU_DEP_1)
	v_fmac_f32_e32 v2, v4, v2
	v_div_scale_f32 v4, vcc_lo, 1.0, v5, 1.0
	v_mul_f32_e32 v6, v4, v2
	s_delay_alu instid0(VALU_DEP_1) | instskip(NEXT) | instid1(VALU_DEP_1)
	v_fma_f32 v7, -v0, v6, v4
	v_fmac_f32_e32 v6, v7, v2
	s_delay_alu instid0(VALU_DEP_1) | instskip(NEXT) | instid1(VALU_DEP_1)
	v_fma_f32 v0, -v0, v6, v4
	v_div_fmas_f32 v0, v0, v2, v6
	s_delay_alu instid0(VALU_DEP_1)
	v_div_fixup_f32 v0, v0, v5, 1.0
	v_add3_u32 v1, s31, s0, v1
	s_and_saveexec_b32 s0, s2
	s_cbranch_execz .LBB21_37
.LBB21_45:
	s_delay_alu instid0(VALU_DEP_1) | instskip(SKIP_4) | instid1(VALU_DEP_4)
	v_mad_u32 v12, 0x48, v1, v34
	v_dual_lshrrev_b32 v2, 16, v9 :: v_dual_lshrrev_b32 v4, 16, v10
	v_mov_b32_e32 v13, 0
	v_cvt_f32_f16_e32 v6, v9
	v_cvt_f32_f16_e32 v8, v10
	;; [unrolled: 1-line block ×4, first 2 shown]
	s_delay_alu instid0(VALU_DEP_2) | instskip(SKIP_1) | instid1(VALU_DEP_3)
	v_pk_mul_f32 v[6:7], v[0:1], v[6:7] op_sel_hi:[0,1]
	v_lshl_add_u64 v[10:11], v[12:13], 2, s[16:17]
	v_pk_mul_f32 v[8:9], v[0:1], v[8:9] op_sel_hi:[0,1]
	global_store_b128 v[10:11], v[6:9], off
	s_wait_xcnt 0x0
	s_or_b32 exec_lo, exec_lo, s0
	s_delay_alu instid0(SALU_CYCLE_1)
	s_and_b32 exec_lo, exec_lo, s1
	s_cbranch_execnz .LBB21_38
	s_branch .LBB21_39
	.section	.rodata,"a",@progbits
	.p2align	6, 0x0
	.amdhsa_kernel _ZL15flash_attn_tileILi72ELi72ELi8ELi4ELb0EEvPKcS1_S1_S1_S1_PKiPfP15HIP_vector_typeIfLj2EEffffjfiS5_IjLj3EEiiiiiiiiiiiliiliiiiil
		.amdhsa_group_segment_fixed_size 12000
		.amdhsa_private_segment_fixed_size 0
		.amdhsa_kernarg_size 464
		.amdhsa_user_sgpr_count 2
		.amdhsa_user_sgpr_dispatch_ptr 0
		.amdhsa_user_sgpr_queue_ptr 0
		.amdhsa_user_sgpr_kernarg_segment_ptr 1
		.amdhsa_user_sgpr_dispatch_id 0
		.amdhsa_user_sgpr_kernarg_preload_length 0
		.amdhsa_user_sgpr_kernarg_preload_offset 0
		.amdhsa_user_sgpr_private_segment_size 0
		.amdhsa_wavefront_size32 1
		.amdhsa_uses_dynamic_stack 0
		.amdhsa_enable_private_segment 0
		.amdhsa_system_sgpr_workgroup_id_x 1
		.amdhsa_system_sgpr_workgroup_id_y 1
		.amdhsa_system_sgpr_workgroup_id_z 1
		.amdhsa_system_sgpr_workgroup_info 0
		.amdhsa_system_vgpr_workitem_id 1
		.amdhsa_next_free_vgpr 147
		.amdhsa_next_free_sgpr 43
		.amdhsa_named_barrier_count 0
		.amdhsa_reserve_vcc 1
		.amdhsa_float_round_mode_32 0
		.amdhsa_float_round_mode_16_64 0
		.amdhsa_float_denorm_mode_32 3
		.amdhsa_float_denorm_mode_16_64 3
		.amdhsa_fp16_overflow 0
		.amdhsa_memory_ordered 1
		.amdhsa_forward_progress 1
		.amdhsa_inst_pref_size 91
		.amdhsa_round_robin_scheduling 0
		.amdhsa_exception_fp_ieee_invalid_op 0
		.amdhsa_exception_fp_denorm_src 0
		.amdhsa_exception_fp_ieee_div_zero 0
		.amdhsa_exception_fp_ieee_overflow 0
		.amdhsa_exception_fp_ieee_underflow 0
		.amdhsa_exception_fp_ieee_inexact 0
		.amdhsa_exception_int_div_zero 0
	.end_amdhsa_kernel
	.section	.text._ZL15flash_attn_tileILi72ELi72ELi8ELi4ELb0EEvPKcS1_S1_S1_S1_PKiPfP15HIP_vector_typeIfLj2EEffffjfiS5_IjLj3EEiiiiiiiiiiiliiliiiiil,"axG",@progbits,_ZL15flash_attn_tileILi72ELi72ELi8ELi4ELb0EEvPKcS1_S1_S1_S1_PKiPfP15HIP_vector_typeIfLj2EEffffjfiS5_IjLj3EEiiiiiiiiiiiliiliiiiil,comdat
.Lfunc_end21:
	.size	_ZL15flash_attn_tileILi72ELi72ELi8ELi4ELb0EEvPKcS1_S1_S1_S1_PKiPfP15HIP_vector_typeIfLj2EEffffjfiS5_IjLj3EEiiiiiiiiiiiliiliiiiil, .Lfunc_end21-_ZL15flash_attn_tileILi72ELi72ELi8ELi4ELb0EEvPKcS1_S1_S1_S1_PKiPfP15HIP_vector_typeIfLj2EEffffjfiS5_IjLj3EEiiiiiiiiiiiliiliiiiil
                                        ; -- End function
	.set _ZL15flash_attn_tileILi72ELi72ELi8ELi4ELb0EEvPKcS1_S1_S1_S1_PKiPfP15HIP_vector_typeIfLj2EEffffjfiS5_IjLj3EEiiiiiiiiiiiliiliiiiil.num_vgpr, 147
	.set _ZL15flash_attn_tileILi72ELi72ELi8ELi4ELb0EEvPKcS1_S1_S1_S1_PKiPfP15HIP_vector_typeIfLj2EEffffjfiS5_IjLj3EEiiiiiiiiiiiliiliiiiil.num_agpr, 0
	.set _ZL15flash_attn_tileILi72ELi72ELi8ELi4ELb0EEvPKcS1_S1_S1_S1_PKiPfP15HIP_vector_typeIfLj2EEffffjfiS5_IjLj3EEiiiiiiiiiiiliiliiiiil.numbered_sgpr, 43
	.set _ZL15flash_attn_tileILi72ELi72ELi8ELi4ELb0EEvPKcS1_S1_S1_S1_PKiPfP15HIP_vector_typeIfLj2EEffffjfiS5_IjLj3EEiiiiiiiiiiiliiliiiiil.num_named_barrier, 0
	.set _ZL15flash_attn_tileILi72ELi72ELi8ELi4ELb0EEvPKcS1_S1_S1_S1_PKiPfP15HIP_vector_typeIfLj2EEffffjfiS5_IjLj3EEiiiiiiiiiiiliiliiiiil.private_seg_size, 0
	.set _ZL15flash_attn_tileILi72ELi72ELi8ELi4ELb0EEvPKcS1_S1_S1_S1_PKiPfP15HIP_vector_typeIfLj2EEffffjfiS5_IjLj3EEiiiiiiiiiiiliiliiiiil.uses_vcc, 1
	.set _ZL15flash_attn_tileILi72ELi72ELi8ELi4ELb0EEvPKcS1_S1_S1_S1_PKiPfP15HIP_vector_typeIfLj2EEffffjfiS5_IjLj3EEiiiiiiiiiiiliiliiiiil.uses_flat_scratch, 0
	.set _ZL15flash_attn_tileILi72ELi72ELi8ELi4ELb0EEvPKcS1_S1_S1_S1_PKiPfP15HIP_vector_typeIfLj2EEffffjfiS5_IjLj3EEiiiiiiiiiiiliiliiiiil.has_dyn_sized_stack, 0
	.set _ZL15flash_attn_tileILi72ELi72ELi8ELi4ELb0EEvPKcS1_S1_S1_S1_PKiPfP15HIP_vector_typeIfLj2EEffffjfiS5_IjLj3EEiiiiiiiiiiiliiliiiiil.has_recursion, 0
	.set _ZL15flash_attn_tileILi72ELi72ELi8ELi4ELb0EEvPKcS1_S1_S1_S1_PKiPfP15HIP_vector_typeIfLj2EEffffjfiS5_IjLj3EEiiiiiiiiiiiliiliiiiil.has_indirect_call, 0
	.section	.AMDGPU.csdata,"",@progbits
; Kernel info:
; codeLenInByte = 11628
; TotalNumSgprs: 45
; NumVgprs: 147
; ScratchSize: 0
; MemoryBound: 0
; FloatMode: 240
; IeeeMode: 1
; LDSByteSize: 12000 bytes/workgroup (compile time only)
; SGPRBlocks: 0
; VGPRBlocks: 9
; NumSGPRsForWavesPerEU: 45
; NumVGPRsForWavesPerEU: 147
; NamedBarCnt: 0
; Occupancy: 6
; WaveLimiterHint : 1
; COMPUTE_PGM_RSRC2:SCRATCH_EN: 0
; COMPUTE_PGM_RSRC2:USER_SGPR: 2
; COMPUTE_PGM_RSRC2:TRAP_HANDLER: 0
; COMPUTE_PGM_RSRC2:TGID_X_EN: 1
; COMPUTE_PGM_RSRC2:TGID_Y_EN: 1
; COMPUTE_PGM_RSRC2:TGID_Z_EN: 1
; COMPUTE_PGM_RSRC2:TIDIG_COMP_CNT: 1
	.section	.text._ZL33flash_attn_stream_k_fixup_uniformILi72ELi8ELi4EEvPfPK15HIP_vector_typeIfLj2EEiiiiiiS1_IjLj3EES5_S5_,"axG",@progbits,_ZL33flash_attn_stream_k_fixup_uniformILi72ELi8ELi4EEvPfPK15HIP_vector_typeIfLj2EEiiiiiiS1_IjLj3EES5_S5_,comdat
	.globl	_ZL33flash_attn_stream_k_fixup_uniformILi72ELi8ELi4EEvPfPK15HIP_vector_typeIfLj2EEiiiiiiS1_IjLj3EES5_S5_ ; -- Begin function _ZL33flash_attn_stream_k_fixup_uniformILi72ELi8ELi4EEvPfPK15HIP_vector_typeIfLj2EEiiiiiiS1_IjLj3EES5_S5_
	.p2align	8
	.type	_ZL33flash_attn_stream_k_fixup_uniformILi72ELi8ELi4EEvPfPK15HIP_vector_typeIfLj2EEiiiiiiS1_IjLj3EES5_S5_,@function
_ZL33flash_attn_stream_k_fixup_uniformILi72ELi8ELi4EEvPfPK15HIP_vector_typeIfLj2EEiiiiiiS1_IjLj3EES5_S5_: ; @_ZL33flash_attn_stream_k_fixup_uniformILi72ELi8ELi4EEvPfPK15HIP_vector_typeIfLj2EEiiiiiiS1_IjLj3EES5_S5_
; %bb.0:
	s_load_b256 s[4:11], s[0:1], 0x1c
	s_bfe_u32 s2, ttmp6, 0x40014
	s_lshr_b32 s3, ttmp7, 16
	s_add_co_i32 s2, s2, 1
	s_bfe_u32 s13, ttmp6, 0x40010
	s_mul_i32 s2, s3, s2
	s_bfe_u32 s12, ttmp6, 0x40008
	s_and_b32 s15, ttmp7, 0xffff
	s_add_co_i32 s13, s13, 1
	s_bfe_u32 s14, ttmp6, 0x4000c
	s_add_co_i32 s2, s12, s2
	s_mul_i32 s12, s15, s13
	s_bfe_u32 s13, ttmp6, 0x40004
	s_add_co_i32 s14, s14, 1
	s_add_co_i32 s13, s13, s12
	s_and_b32 s12, ttmp6, 15
	s_mul_i32 s14, ttmp9, s14
	s_getreg_b32 s20, hwreg(HW_REG_IB_STS2, 6, 4)
	s_add_co_i32 s12, s12, s14
	s_load_b128 s[16:19], s[0:1], 0x3c
	s_cmp_eq_u32 s20, 0
	s_cselect_b32 s14, ttmp9, s12
	s_cselect_b32 s12, s15, s13
	s_wait_kmcnt 0x0
	s_mul_hi_u32 s7, s7, s14
	s_cselect_b32 s13, s3, s2
	s_add_co_i32 s2, s14, s7
	s_delay_alu instid0(SALU_CYCLE_1) | instskip(NEXT) | instid1(SALU_CYCLE_1)
	s_lshr_b32 s7, s2, s8
	s_mul_i32 s2, s7, s9
	s_delay_alu instid0(SALU_CYCLE_1) | instskip(NEXT) | instid1(SALU_CYCLE_1)
	s_sub_co_i32 s8, s14, s2
	s_mul_hi_u32 s2, s8, s10
	s_delay_alu instid0(SALU_CYCLE_1) | instskip(SKIP_2) | instid1(SALU_CYCLE_1)
	s_add_co_i32 s9, s8, s2
	s_load_b64 s[2:3], s[0:1], 0x10
	s_lshr_b32 s15, s9, s11
	s_mul_i32 s9, s15, s16
	s_delay_alu instid0(SALU_CYCLE_1) | instskip(NEXT) | instid1(SALU_CYCLE_1)
	s_sub_co_i32 s8, s8, s9
	s_mul_hi_u32 s9, s8, s17
	s_delay_alu instid0(SALU_CYCLE_1) | instskip(NEXT) | instid1(SALU_CYCLE_1)
	s_add_co_i32 s9, s8, s9
	s_lshr_b32 s9, s9, s18
	s_delay_alu instid0(SALU_CYCLE_1) | instskip(SKIP_2) | instid1(SALU_CYCLE_1)
	s_mul_i32 s10, s9, s19
	s_lshl_b32 s17, s9, 2
	s_sub_co_i32 s16, s8, s10
	s_lshl_b32 s8, s16, 3
	s_delay_alu instid0(SALU_CYCLE_1) | instskip(SKIP_4) | instid1(SALU_CYCLE_1)
	s_add_co_i32 s8, s8, s12
	s_wait_kmcnt 0x0
	s_cmp_lt_i32 s8, s2
	s_cselect_b32 s8, -1, 0
	s_add_co_i32 s17, s17, s13
	s_cmp_lt_i32 s17, s5
	s_cselect_b32 s9, -1, 0
	s_delay_alu instid0(SALU_CYCLE_1) | instskip(NEXT) | instid1(SALU_CYCLE_1)
	s_and_b32 s8, s8, s9
	s_and_not1_b32 vcc_lo, exec_lo, s8
	s_cbranch_vccnz .LBB22_6
; %bb.1:
	s_load_b128 s[8:11], s[0:1], 0x0
	s_wait_xcnt 0x0
	s_mul_i32 s0, s7, s2
	s_mul_i32 s15, s15, s5
	s_add_co_i32 s0, s0, s12
	s_add_co_i32 s1, s17, s15
	s_mul_i32 s0, s0, s3
	s_mul_i32 s2, s3, s16
	s_add_co_i32 s0, s1, s0
	s_mulk_i32 s2, 0x240
	s_mulk_i32 s0, 0x48
	s_mul_i32 s7, s6, s14
	v_add3_u32 v4, s0, s2, v0
	s_lshl_b32 s5, s12, 2
	s_add_co_i32 s15, s7, s6
	s_add_co_i32 s0, s5, s13
	s_lshl_b32 s1, s15, 5
	v_ashrrev_i32_e32 v5, 31, v4
	s_add_co_i32 s0, s0, s1
	s_add_co_i32 s2, s15, -2
	s_sub_co_i32 s0, s0, 32
	s_wait_kmcnt 0x0
	global_load_b32 v3, v4, s[8:9] scale_offset
	s_ashr_i32 s1, s0, 31
	s_delay_alu instid0(SALU_CYCLE_1)
	s_lshl_b64 s[0:1], s[0:1], 3
	s_cmp_lt_i32 s2, s7
	s_add_nc_u64 s[0:1], s[10:11], s[0:1]
	s_load_b32 s16, s[0:1], 0x4
	s_cbranch_scc1 .LBB22_4
; %bb.2:
	s_wait_xcnt 0x0
	s_load_b32 s0, s[0:1], 0x0
	s_add_co_i32 s14, s14, 1
	s_mulk_i32 s12, 0x120
	s_wait_xcnt 0x0
	s_mul_i32 s1, s6, s14
	s_lshl_b32 s2, s4, 7
	s_lshl_b32 s6, s1, 5
	s_mulk_i32 s1, 0x900
	s_add_co_i32 s6, s13, s6
	s_mulk_i32 s13, 0x48
	s_lshl_b32 s4, s4, 5
	s_add_co_i32 s12, s13, s12
	s_ashr_i32 s3, s2, 31
	s_add_co_i32 s12, s12, s1
	s_add_co_i32 s1, s6, s4
	v_add3_u32 v0, s12, v0, 0xffffee00
	s_wait_kmcnt 0x0
	v_mov_b32_e32 v2, s16
	s_lshl_b64 s[2:3], s[2:3], 2
	s_add_co_i32 s4, s1, s5
	s_add_nc_u64 s[2:3], s[10:11], s[2:3]
	s_add_co_i32 s1, s15, -1
	s_sub_co_i32 s4, s4, 64
.LBB22_3:                               ; =>This Inner Loop Header: Depth=1
	global_load_b32 v7, v0, s[2:3] scale_offset
	s_ashr_i32 s5, s4, 31
	v_max_num_f32_e64 v1, s0, s0
	s_lshl_b64 s[12:13], s[4:5], 3
	s_delay_alu instid0(SALU_CYCLE_1) | instskip(SKIP_1) | instid1(VALU_DEP_1)
	s_add_nc_u64 s[12:13], s[10:11], s[12:13]
	s_load_b64 s[12:13], s[12:13], 0x0
	v_readfirstlane_b32 s5, v1
	v_add_nc_u32_e32 v0, 0xfffff700, v0
	s_wait_kmcnt 0x0
	v_max_num_f32_e64 v1, s12, s12
	s_delay_alu instid0(VALU_DEP_1) | instskip(SKIP_1) | instid1(SALU_CYCLE_3)
	v_readfirstlane_b32 s6, v1
	s_max_num_f32 s5, s5, s6
	s_sub_f32 s0, s0, s5
	s_sub_f32 s6, s12, s5
	s_delay_alu instid0(SALU_CYCLE_2) | instskip(NEXT) | instid1(SALU_CYCLE_2)
	s_mul_f32 s12, s0, 0x3fb8aa3b
	s_mul_f32 s14, s6, 0x3fb8aa3b
	s_delay_alu instid0(SALU_CYCLE_2)
	s_xor_b32 s15, s12, 0x80000000
	s_rndne_f32 s16, s12
	s_fmamk_f32 s15, s0, 0x3fb8aa3b, s15
	s_cmp_nlt_f32 s0, 0xc2ce8ed0
	s_rndne_f32 s17, s14
	s_sub_f32 s12, s12, s16
	s_fmamk_f32 s15, s0, 0x32a5705f, s15
	s_cselect_b32 vcc_lo, -1, 0
	s_cmp_ngt_f32 s0, 0x42b17218
	s_delay_alu instid0(SALU_CYCLE_1) | instskip(SKIP_2) | instid1(SALU_CYCLE_1)
	s_add_f32 s12, s12, s15
	s_cvt_i32_f32 s15, s16
	s_sub_f32 s16, s14, s17
	v_s_exp_f32 s12, s12
	v_nop
	s_delay_alu instid0(TRANS32_DEP_1) | instskip(SKIP_1) | instid1(VALU_DEP_1)
	v_ldexp_f32 v1, s12, s15
	s_cvt_i32_f32 s12, s17
	v_cndmask_b32_e32 v1, 0, v1, vcc_lo
	s_cselect_b32 vcc_lo, -1, 0
	s_cmp_ge_f32 s0, 0xc1a00000
	s_delay_alu instid0(VALU_DEP_1)
	v_cndmask_b32_e32 v1, 0x7f800000, v1, vcc_lo
	s_cselect_b32 vcc_lo, -1, 0
	s_xor_b32 s0, s14, 0x80000000
	s_cmp_nlt_f32 s6, 0xc2ce8ed0
	s_fmamk_f32 s0, s6, 0x3fb8aa3b, s0
	v_cndmask_b32_e32 v10, 0, v1, vcc_lo
	s_delay_alu instid0(SALU_CYCLE_2) | instskip(NEXT) | instid1(SALU_CYCLE_3)
	s_fmamk_f32 s0, s6, 0x32a5705f, s0
	s_add_f32 s0, s16, s0
	s_delay_alu instid0(SALU_CYCLE_3) | instskip(SKIP_1) | instid1(TRANS32_DEP_1)
	v_s_exp_f32 s0, s0
	v_nop
	v_ldexp_f32 v6, s0, s12
	s_cselect_b32 s0, -1, 0
	s_cmp_ngt_f32 s6, 0x42b17218
	s_delay_alu instid0(VALU_DEP_1) | instskip(SKIP_2) | instid1(VALU_DEP_1)
	v_cndmask_b32_e64 v6, 0, v6, s0
	s_cselect_b32 s0, -1, 0
	s_cmp_ge_f32 s6, 0xc1a00000
	v_cndmask_b32_e64 v8, 0x7f800000, v6, s0
	s_cselect_b32 s0, -1, 0
	v_mov_b32_e32 v6, s13
	s_add_co_i32 s1, s1, -1
	s_sub_co_i32 s4, s4, 32
	v_cndmask_b32_e64 v8, 0, v8, s0
	s_cmp_le_i32 s1, s7
	s_mov_b32 s0, s5
	s_wait_loadcnt 0x0
	s_delay_alu instid0(VALU_DEP_1) | instskip(NEXT) | instid1(VALU_DEP_1)
	v_pk_mul_f32 v[6:7], v[6:7], v[8:9] op_sel_hi:[1,0]
	v_pk_fma_f32 v[2:3], v[2:3], v[10:11], v[6:7] op_sel_hi:[1,0,1]
	s_cbranch_scc0 .LBB22_3
	s_branch .LBB22_5
.LBB22_4:
	s_wait_kmcnt 0x0
	v_mov_b32_e32 v2, s16
.LBB22_5:
	v_lshl_add_u64 v[0:1], v[4:5], 2, s[8:9]
	s_wait_loadcnt 0x0
	s_delay_alu instid0(VALU_DEP_2) | instskip(NEXT) | instid1(VALU_DEP_1)
	v_div_scale_f32 v4, null, v2, v2, v3
	v_rcp_f32_e32 v5, v4
	v_nop
	s_delay_alu instid0(TRANS32_DEP_1) | instskip(NEXT) | instid1(VALU_DEP_1)
	v_fma_f32 v6, -v4, v5, 1.0
	v_fmac_f32_e32 v5, v6, v5
	v_div_scale_f32 v6, vcc_lo, v3, v2, v3
	s_delay_alu instid0(VALU_DEP_1) | instskip(NEXT) | instid1(VALU_DEP_1)
	v_mul_f32_e32 v7, v6, v5
	v_fma_f32 v8, -v4, v7, v6
	s_delay_alu instid0(VALU_DEP_1) | instskip(NEXT) | instid1(VALU_DEP_1)
	v_fmac_f32_e32 v7, v8, v5
	v_fma_f32 v4, -v4, v7, v6
	s_delay_alu instid0(VALU_DEP_1) | instskip(NEXT) | instid1(VALU_DEP_1)
	v_div_fmas_f32 v4, v4, v5, v7
	v_div_fixup_f32 v2, v4, v2, v3
	global_store_b32 v[0:1], v2, off
.LBB22_6:
	s_endpgm
	.section	.rodata,"a",@progbits
	.p2align	6, 0x0
	.amdhsa_kernel _ZL33flash_attn_stream_k_fixup_uniformILi72ELi8ELi4EEvPfPK15HIP_vector_typeIfLj2EEiiiiiiS1_IjLj3EES5_S5_
		.amdhsa_group_segment_fixed_size 0
		.amdhsa_private_segment_fixed_size 0
		.amdhsa_kernarg_size 76
		.amdhsa_user_sgpr_count 2
		.amdhsa_user_sgpr_dispatch_ptr 0
		.amdhsa_user_sgpr_queue_ptr 0
		.amdhsa_user_sgpr_kernarg_segment_ptr 1
		.amdhsa_user_sgpr_dispatch_id 0
		.amdhsa_user_sgpr_kernarg_preload_length 0
		.amdhsa_user_sgpr_kernarg_preload_offset 0
		.amdhsa_user_sgpr_private_segment_size 0
		.amdhsa_wavefront_size32 1
		.amdhsa_uses_dynamic_stack 0
		.amdhsa_enable_private_segment 0
		.amdhsa_system_sgpr_workgroup_id_x 1
		.amdhsa_system_sgpr_workgroup_id_y 1
		.amdhsa_system_sgpr_workgroup_id_z 1
		.amdhsa_system_sgpr_workgroup_info 0
		.amdhsa_system_vgpr_workitem_id 0
		.amdhsa_next_free_vgpr 12
		.amdhsa_next_free_sgpr 21
		.amdhsa_named_barrier_count 0
		.amdhsa_reserve_vcc 1
		.amdhsa_float_round_mode_32 0
		.amdhsa_float_round_mode_16_64 0
		.amdhsa_float_denorm_mode_32 3
		.amdhsa_float_denorm_mode_16_64 3
		.amdhsa_fp16_overflow 0
		.amdhsa_memory_ordered 1
		.amdhsa_forward_progress 1
		.amdhsa_inst_pref_size 9
		.amdhsa_round_robin_scheduling 0
		.amdhsa_exception_fp_ieee_invalid_op 0
		.amdhsa_exception_fp_denorm_src 0
		.amdhsa_exception_fp_ieee_div_zero 0
		.amdhsa_exception_fp_ieee_overflow 0
		.amdhsa_exception_fp_ieee_underflow 0
		.amdhsa_exception_fp_ieee_inexact 0
		.amdhsa_exception_int_div_zero 0
	.end_amdhsa_kernel
	.section	.text._ZL33flash_attn_stream_k_fixup_uniformILi72ELi8ELi4EEvPfPK15HIP_vector_typeIfLj2EEiiiiiiS1_IjLj3EES5_S5_,"axG",@progbits,_ZL33flash_attn_stream_k_fixup_uniformILi72ELi8ELi4EEvPfPK15HIP_vector_typeIfLj2EEiiiiiiS1_IjLj3EES5_S5_,comdat
.Lfunc_end22:
	.size	_ZL33flash_attn_stream_k_fixup_uniformILi72ELi8ELi4EEvPfPK15HIP_vector_typeIfLj2EEiiiiiiS1_IjLj3EES5_S5_, .Lfunc_end22-_ZL33flash_attn_stream_k_fixup_uniformILi72ELi8ELi4EEvPfPK15HIP_vector_typeIfLj2EEiiiiiiS1_IjLj3EES5_S5_
                                        ; -- End function
	.set _ZL33flash_attn_stream_k_fixup_uniformILi72ELi8ELi4EEvPfPK15HIP_vector_typeIfLj2EEiiiiiiS1_IjLj3EES5_S5_.num_vgpr, 12
	.set _ZL33flash_attn_stream_k_fixup_uniformILi72ELi8ELi4EEvPfPK15HIP_vector_typeIfLj2EEiiiiiiS1_IjLj3EES5_S5_.num_agpr, 0
	.set _ZL33flash_attn_stream_k_fixup_uniformILi72ELi8ELi4EEvPfPK15HIP_vector_typeIfLj2EEiiiiiiS1_IjLj3EES5_S5_.numbered_sgpr, 21
	.set _ZL33flash_attn_stream_k_fixup_uniformILi72ELi8ELi4EEvPfPK15HIP_vector_typeIfLj2EEiiiiiiS1_IjLj3EES5_S5_.num_named_barrier, 0
	.set _ZL33flash_attn_stream_k_fixup_uniformILi72ELi8ELi4EEvPfPK15HIP_vector_typeIfLj2EEiiiiiiS1_IjLj3EES5_S5_.private_seg_size, 0
	.set _ZL33flash_attn_stream_k_fixup_uniformILi72ELi8ELi4EEvPfPK15HIP_vector_typeIfLj2EEiiiiiiS1_IjLj3EES5_S5_.uses_vcc, 1
	.set _ZL33flash_attn_stream_k_fixup_uniformILi72ELi8ELi4EEvPfPK15HIP_vector_typeIfLj2EEiiiiiiS1_IjLj3EES5_S5_.uses_flat_scratch, 0
	.set _ZL33flash_attn_stream_k_fixup_uniformILi72ELi8ELi4EEvPfPK15HIP_vector_typeIfLj2EEiiiiiiS1_IjLj3EES5_S5_.has_dyn_sized_stack, 0
	.set _ZL33flash_attn_stream_k_fixup_uniformILi72ELi8ELi4EEvPfPK15HIP_vector_typeIfLj2EEiiiiiiS1_IjLj3EES5_S5_.has_recursion, 0
	.set _ZL33flash_attn_stream_k_fixup_uniformILi72ELi8ELi4EEvPfPK15HIP_vector_typeIfLj2EEiiiiiiS1_IjLj3EES5_S5_.has_indirect_call, 0
	.section	.AMDGPU.csdata,"",@progbits
; Kernel info:
; codeLenInByte = 1084
; TotalNumSgprs: 23
; NumVgprs: 12
; ScratchSize: 0
; MemoryBound: 0
; FloatMode: 240
; IeeeMode: 1
; LDSByteSize: 0 bytes/workgroup (compile time only)
; SGPRBlocks: 0
; VGPRBlocks: 0
; NumSGPRsForWavesPerEU: 23
; NumVGPRsForWavesPerEU: 12
; NamedBarCnt: 0
; Occupancy: 16
; WaveLimiterHint : 0
; COMPUTE_PGM_RSRC2:SCRATCH_EN: 0
; COMPUTE_PGM_RSRC2:USER_SGPR: 2
; COMPUTE_PGM_RSRC2:TRAP_HANDLER: 0
; COMPUTE_PGM_RSRC2:TGID_X_EN: 1
; COMPUTE_PGM_RSRC2:TGID_Y_EN: 1
; COMPUTE_PGM_RSRC2:TGID_Z_EN: 1
; COMPUTE_PGM_RSRC2:TIDIG_COMP_CNT: 0
	.section	.text._ZL33flash_attn_stream_k_fixup_generalILi72ELi8ELi4EEvPfPK15HIP_vector_typeIfLj2EEiiiiS1_IjLj3EES5_S5_S5_,"axG",@progbits,_ZL33flash_attn_stream_k_fixup_generalILi72ELi8ELi4EEvPfPK15HIP_vector_typeIfLj2EEiiiiS1_IjLj3EES5_S5_S5_,comdat
	.globl	_ZL33flash_attn_stream_k_fixup_generalILi72ELi8ELi4EEvPfPK15HIP_vector_typeIfLj2EEiiiiS1_IjLj3EES5_S5_S5_ ; -- Begin function _ZL33flash_attn_stream_k_fixup_generalILi72ELi8ELi4EEvPfPK15HIP_vector_typeIfLj2EEiiiiS1_IjLj3EES5_S5_S5_
	.p2align	8
	.type	_ZL33flash_attn_stream_k_fixup_generalILi72ELi8ELi4EEvPfPK15HIP_vector_typeIfLj2EEiiiiS1_IjLj3EES5_S5_S5_,@function
_ZL33flash_attn_stream_k_fixup_generalILi72ELi8ELi4EEvPfPK15HIP_vector_typeIfLj2EEiiiiS1_IjLj3EES5_S5_S5_: ; @_ZL33flash_attn_stream_k_fixup_generalILi72ELi8ELi4EEvPfPK15HIP_vector_typeIfLj2EEiiiiS1_IjLj3EES5_S5_S5_
; %bb.0:
	s_clause 0x1
	s_load_b128 s[4:7], s[0:1], 0x10
	s_load_b32 s16, s[0:1], 0x50
	s_bfe_u32 s2, ttmp6, 0x4000c
	s_and_b32 s3, ttmp6, 15
	s_add_co_i32 s2, s2, 1
	s_getreg_b32 s15, hwreg(HW_REG_IB_STS2, 6, 4)
	s_mul_i32 s2, ttmp9, s2
	s_mov_b32 s17, 0
	s_add_co_i32 s3, s3, s2
	s_cmp_eq_u32 s15, 0
	s_cselect_b32 s2, ttmp9, s3
	s_delay_alu instid0(SALU_CYCLE_1) | instskip(SKIP_3) | instid1(SALU_CYCLE_1)
	s_ashr_i32 s3, s2, 31
	s_wait_kmcnt 0x0
	s_ashr_i32 s19, s7, 31
	s_mov_b32 s18, s7
	s_mul_u64 s[8:9], s[18:19], s[2:3]
	s_delay_alu instid0(SALU_CYCLE_1) | instskip(NEXT) | instid1(SALU_CYCLE_1)
	s_and_b64 s[10:11], s[8:9], 0xffffffff00000000
	s_cmp_lg_u64 s[10:11], 0
	s_cbranch_scc0 .LBB23_21
; %bb.1:
	s_add_nc_u64 s[10:11], s[16:17], 0
	s_mov_b32 s23, s17
	s_xor_b64 s[10:11], s[10:11], 0
	s_mov_b32 s27, s17
	s_cvt_f32_u32 s3, s10
	s_cvt_f32_u32 s7, s11
	s_sub_nc_u64 s[20:21], 0, s[10:11]
	s_delay_alu instid0(SALU_CYCLE_2) | instskip(NEXT) | instid1(SALU_CYCLE_3)
	s_fmamk_f32 s3, s7, 0x4f800000, s3
	v_s_rcp_f32 s3, s3
	s_delay_alu instid0(TRANS32_DEP_1) | instskip(NEXT) | instid1(SALU_CYCLE_3)
	s_mul_f32 s3, s3, 0x5f7ffffc
	s_mul_f32 s7, s3, 0x2f800000
	s_delay_alu instid0(SALU_CYCLE_3) | instskip(NEXT) | instid1(SALU_CYCLE_3)
	s_trunc_f32 s7, s7
	s_fmamk_f32 s3, s7, 0xcf800000, s3
	s_cvt_u32_f32 s13, s7
	s_delay_alu instid0(SALU_CYCLE_2) | instskip(NEXT) | instid1(SALU_CYCLE_3)
	s_cvt_u32_f32 s12, s3
	s_mul_u64 s[24:25], s[20:21], s[12:13]
	s_delay_alu instid0(SALU_CYCLE_1)
	s_mul_hi_u32 s29, s12, s25
	s_mul_i32 s28, s12, s25
	s_mul_hi_u32 s22, s12, s24
	s_mul_i32 s7, s13, s24
	s_add_nc_u64 s[22:23], s[22:23], s[28:29]
	s_mul_hi_u32 s3, s13, s24
	s_mul_hi_u32 s14, s13, s25
	s_add_co_u32 s7, s22, s7
	s_add_co_ci_u32 s26, s23, s3
	s_mul_i32 s24, s13, s25
	s_add_co_ci_u32 s25, s14, 0
	s_delay_alu instid0(SALU_CYCLE_1) | instskip(SKIP_3) | instid1(SALU_CYCLE_1)
	s_add_nc_u64 s[22:23], s[26:27], s[24:25]
	s_mov_b32 s25, s17
	s_add_co_u32 s12, s12, s22
	s_cselect_b32 s3, -1, 0
	s_cmp_lg_u32 s3, 0
	s_add_co_ci_u32 s13, s13, s23
	s_mov_b32 s23, s17
	s_mul_u64 s[20:21], s[20:21], s[12:13]
	s_delay_alu instid0(SALU_CYCLE_1)
	s_mul_hi_u32 s27, s12, s21
	s_mul_i32 s26, s12, s21
	s_mul_hi_u32 s22, s12, s20
	s_mul_i32 s7, s13, s20
	s_add_nc_u64 s[22:23], s[22:23], s[26:27]
	s_mul_hi_u32 s3, s13, s20
	s_mul_hi_u32 s14, s13, s21
	s_add_co_u32 s7, s22, s7
	s_add_co_ci_u32 s24, s23, s3
	s_mul_i32 s20, s13, s21
	s_add_co_ci_u32 s21, s14, 0
	s_mov_b32 s23, s17
	s_add_nc_u64 s[20:21], s[24:25], s[20:21]
	s_delay_alu instid0(SALU_CYCLE_1) | instskip(SKIP_1) | instid1(SALU_CYCLE_1)
	s_add_co_u32 s3, s12, s20
	s_cselect_b32 s7, -1, 0
	s_cmp_lg_u32 s7, 0
	s_add_co_ci_u32 s7, s13, s21
	s_ashr_i32 s12, s9, 31
	s_delay_alu instid0(SALU_CYCLE_1) | instskip(NEXT) | instid1(SALU_CYCLE_1)
	s_mov_b32 s13, s12
	s_add_nc_u64 s[20:21], s[8:9], s[12:13]
	s_delay_alu instid0(SALU_CYCLE_1) | instskip(NEXT) | instid1(SALU_CYCLE_1)
	s_xor_b64 s[20:21], s[20:21], s[12:13]
	s_mul_hi_u32 s27, s20, s7
	s_mul_i32 s26, s20, s7
	s_mul_hi_u32 s22, s20, s3
	s_mul_hi_u32 s14, s21, s3
	s_mul_i32 s3, s21, s3
	s_add_nc_u64 s[22:23], s[22:23], s[26:27]
	s_mul_hi_u32 s9, s21, s7
	s_add_co_u32 s3, s22, s3
	s_add_co_ci_u32 s24, s23, s14
	s_mul_i32 s26, s21, s7
	s_add_co_ci_u32 s27, s9, 0
	s_delay_alu instid0(SALU_CYCLE_1) | instskip(NEXT) | instid1(SALU_CYCLE_1)
	s_add_nc_u64 s[22:23], s[24:25], s[26:27]
	s_and_b64 s[24:25], s[22:23], 0xffffffff00000000
	s_delay_alu instid0(SALU_CYCLE_1) | instskip(NEXT) | instid1(SALU_CYCLE_1)
	s_or_b32 s24, s24, s22
	s_mul_u64 s[22:23], s[10:11], s[24:25]
	s_add_nc_u64 s[26:27], s[24:25], 1
	s_sub_co_u32 s3, s20, s22
	s_cselect_b32 s7, -1, 0
	s_sub_co_i32 s9, s21, s23
	s_cmp_lg_u32 s7, 0
	s_add_nc_u64 s[28:29], s[24:25], 2
	s_sub_co_ci_u32 s9, s9, s11
	s_sub_co_u32 s14, s3, s10
	s_cselect_b32 s20, -1, 0
	s_delay_alu instid0(SALU_CYCLE_1) | instskip(SKIP_1) | instid1(SALU_CYCLE_1)
	s_cmp_lg_u32 s20, 0
	s_sub_co_ci_u32 s9, s9, 0
	s_cmp_ge_u32 s9, s11
	s_cselect_b32 s20, -1, 0
	s_cmp_ge_u32 s14, s10
	s_cselect_b32 s14, -1, 0
	s_cmp_eq_u32 s9, s11
	s_cselect_b32 s9, s14, s20
	s_delay_alu instid0(SALU_CYCLE_1) | instskip(SKIP_4) | instid1(SALU_CYCLE_1)
	s_cmp_lg_u32 s9, 0
	s_cselect_b32 s9, s28, s26
	s_cselect_b32 s14, s29, s27
	s_cmp_lg_u32 s7, 0
	s_sub_co_ci_u32 s7, s21, s23
	s_cmp_ge_u32 s7, s11
	s_cselect_b32 s20, -1, 0
	s_cmp_ge_u32 s3, s10
	s_cselect_b32 s3, -1, 0
	s_cmp_eq_u32 s7, s11
	s_cselect_b32 s3, s3, s20
	s_delay_alu instid0(SALU_CYCLE_1) | instskip(SKIP_4) | instid1(SALU_CYCLE_1)
	s_cmp_lg_u32 s3, 0
	s_mov_b32 s3, s17
	s_cselect_b32 s11, s14, s25
	s_cselect_b32 s10, s9, s24
	s_xor_b64 s[12:13], s[12:13], 0
	s_xor_b64 s[10:11], s[10:11], s[12:13]
	s_delay_alu instid0(SALU_CYCLE_1)
	s_sub_nc_u64 s[20:21], s[10:11], s[12:13]
	s_and_not1_b32 vcc_lo, exec_lo, s3
	s_cbranch_vccnz .LBB23_3
.LBB23_2:
	v_cvt_f32_u32_e32 v1, s16
	s_sub_co_i32 s7, 0, s16
	s_mov_b32 s21, 0
	s_delay_alu instid0(VALU_DEP_1) | instskip(SKIP_1) | instid1(TRANS32_DEP_1)
	v_rcp_iflag_f32_e32 v1, v1
	v_nop
	v_mul_f32_e32 v1, 0x4f7ffffe, v1
	s_delay_alu instid0(VALU_DEP_1) | instskip(NEXT) | instid1(VALU_DEP_1)
	v_cvt_u32_f32_e32 v1, v1
	v_readfirstlane_b32 s3, v1
	s_mul_i32 s7, s7, s3
	s_delay_alu instid0(SALU_CYCLE_1) | instskip(NEXT) | instid1(SALU_CYCLE_1)
	s_mul_hi_u32 s7, s3, s7
	s_add_co_i32 s3, s3, s7
	s_delay_alu instid0(SALU_CYCLE_1) | instskip(NEXT) | instid1(SALU_CYCLE_1)
	s_mul_hi_u32 s3, s8, s3
	s_mul_i32 s7, s3, s16
	s_delay_alu instid0(SALU_CYCLE_1)
	s_sub_co_i32 s7, s8, s7
	s_add_co_i32 s8, s3, 1
	s_sub_co_i32 s9, s7, s16
	s_cmp_ge_u32 s7, s16
	s_cselect_b32 s3, s8, s3
	s_cselect_b32 s7, s9, s7
	s_add_co_i32 s8, s3, 1
	s_cmp_ge_u32 s7, s16
	s_cselect_b32 s20, s8, s3
.LBB23_3:
	s_add_co_i32 s8, s2, 1
	s_delay_alu instid0(SALU_CYCLE_1) | instskip(NEXT) | instid1(SALU_CYCLE_1)
	s_ashr_i32 s9, s8, 31
	s_mul_u64 s[8:9], s[18:19], s[8:9]
	s_delay_alu instid0(SALU_CYCLE_1) | instskip(NEXT) | instid1(SALU_CYCLE_1)
	s_and_b64 s[10:11], s[8:9], 0xffffffff00000000
	s_cmp_lg_u64 s[10:11], 0
	s_cbranch_scc0 .LBB23_22
; %bb.4:
	s_add_nc_u64 s[10:11], s[16:17], 0
	s_delay_alu instid0(SALU_CYCLE_1) | instskip(SKIP_4) | instid1(SALU_CYCLE_2)
	s_xor_b64 s[12:13], s[10:11], 0
	s_mov_b32 s11, 0
	s_cvt_f32_u32 s3, s12
	s_cvt_f32_u32 s7, s13
	s_sub_nc_u64 s[24:25], 0, s[12:13]
	s_fmamk_f32 s3, s7, 0x4f800000, s3
	s_delay_alu instid0(SALU_CYCLE_3) | instskip(NEXT) | instid1(TRANS32_DEP_1)
	v_s_rcp_f32 s3, s3
	s_mul_f32 s3, s3, 0x5f7ffffc
	s_delay_alu instid0(SALU_CYCLE_3) | instskip(NEXT) | instid1(SALU_CYCLE_3)
	s_mul_f32 s7, s3, 0x2f800000
	s_trunc_f32 s7, s7
	s_delay_alu instid0(SALU_CYCLE_3) | instskip(SKIP_1) | instid1(SALU_CYCLE_2)
	s_fmamk_f32 s3, s7, 0xcf800000, s3
	s_cvt_u32_f32 s23, s7
	s_cvt_u32_f32 s22, s3
	s_delay_alu instid0(SALU_CYCLE_3) | instskip(NEXT) | instid1(SALU_CYCLE_1)
	s_mul_u64 s[26:27], s[24:25], s[22:23]
	s_mul_hi_u32 s29, s22, s27
	s_mul_i32 s28, s22, s27
	s_mul_hi_u32 s10, s22, s26
	s_mul_i32 s7, s23, s26
	s_add_nc_u64 s[28:29], s[10:11], s[28:29]
	s_mul_hi_u32 s3, s23, s26
	s_mul_hi_u32 s14, s23, s27
	s_add_co_u32 s7, s28, s7
	s_add_co_ci_u32 s10, s29, s3
	s_mul_i32 s26, s23, s27
	s_add_co_ci_u32 s27, s14, 0
	s_delay_alu instid0(SALU_CYCLE_1) | instskip(NEXT) | instid1(SALU_CYCLE_1)
	s_add_nc_u64 s[26:27], s[10:11], s[26:27]
	s_add_co_u32 s22, s22, s26
	s_cselect_b32 s3, -1, 0
	s_delay_alu instid0(SALU_CYCLE_1) | instskip(SKIP_1) | instid1(SALU_CYCLE_1)
	s_cmp_lg_u32 s3, 0
	s_add_co_ci_u32 s23, s23, s27
	s_mul_u64 s[24:25], s[24:25], s[22:23]
	s_delay_alu instid0(SALU_CYCLE_1)
	s_mul_hi_u32 s27, s22, s25
	s_mul_i32 s26, s22, s25
	s_mul_hi_u32 s10, s22, s24
	s_mul_i32 s7, s23, s24
	s_add_nc_u64 s[26:27], s[10:11], s[26:27]
	s_mul_hi_u32 s3, s23, s24
	s_mul_hi_u32 s14, s23, s25
	s_add_co_u32 s7, s26, s7
	s_add_co_ci_u32 s10, s27, s3
	s_mul_i32 s24, s23, s25
	s_add_co_ci_u32 s25, s14, 0
	s_delay_alu instid0(SALU_CYCLE_1) | instskip(NEXT) | instid1(SALU_CYCLE_1)
	s_add_nc_u64 s[24:25], s[10:11], s[24:25]
	s_add_co_u32 s3, s22, s24
	s_cselect_b32 s7, -1, 0
	s_delay_alu instid0(SALU_CYCLE_1) | instskip(SKIP_2) | instid1(SALU_CYCLE_1)
	s_cmp_lg_u32 s7, 0
	s_add_co_ci_u32 s7, s23, s25
	s_ashr_i32 s22, s9, 31
	s_mov_b32 s23, s22
	s_delay_alu instid0(SALU_CYCLE_1) | instskip(NEXT) | instid1(SALU_CYCLE_1)
	s_add_nc_u64 s[24:25], s[8:9], s[22:23]
	s_xor_b64 s[24:25], s[24:25], s[22:23]
	s_delay_alu instid0(SALU_CYCLE_1)
	s_mul_hi_u32 s27, s24, s7
	s_mul_i32 s26, s24, s7
	s_mul_hi_u32 s10, s24, s3
	s_mul_hi_u32 s14, s25, s3
	s_mul_i32 s3, s25, s3
	s_add_nc_u64 s[26:27], s[10:11], s[26:27]
	s_mul_hi_u32 s9, s25, s7
	s_add_co_u32 s3, s26, s3
	s_add_co_ci_u32 s10, s27, s14
	s_mul_i32 s28, s25, s7
	s_add_co_ci_u32 s29, s9, 0
	s_delay_alu instid0(SALU_CYCLE_1) | instskip(NEXT) | instid1(SALU_CYCLE_1)
	s_add_nc_u64 s[26:27], s[10:11], s[28:29]
	s_and_b64 s[28:29], s[26:27], 0xffffffff00000000
	s_delay_alu instid0(SALU_CYCLE_1) | instskip(NEXT) | instid1(SALU_CYCLE_1)
	s_or_b32 s28, s28, s26
	s_mul_u64 s[26:27], s[12:13], s[28:29]
	s_add_nc_u64 s[30:31], s[28:29], 1
	s_sub_co_u32 s3, s24, s26
	s_cselect_b32 s7, -1, 0
	s_sub_co_i32 s9, s25, s27
	s_cmp_lg_u32 s7, 0
	s_add_nc_u64 s[34:35], s[28:29], 2
	s_sub_co_ci_u32 s9, s9, s13
	s_sub_co_u32 s10, s3, s12
	s_cselect_b32 s14, -1, 0
	s_delay_alu instid0(SALU_CYCLE_1) | instskip(SKIP_1) | instid1(SALU_CYCLE_1)
	s_cmp_lg_u32 s14, 0
	s_sub_co_ci_u32 s9, s9, 0
	s_cmp_ge_u32 s9, s13
	s_cselect_b32 s14, -1, 0
	s_cmp_ge_u32 s10, s12
	s_cselect_b32 s10, -1, 0
	s_cmp_eq_u32 s9, s13
	s_cselect_b32 s9, s10, s14
	s_delay_alu instid0(SALU_CYCLE_1) | instskip(SKIP_4) | instid1(SALU_CYCLE_1)
	s_cmp_lg_u32 s9, 0
	s_cselect_b32 s9, s34, s30
	s_cselect_b32 s10, s35, s31
	s_cmp_lg_u32 s7, 0
	s_sub_co_ci_u32 s7, s25, s27
	s_cmp_ge_u32 s7, s13
	s_cselect_b32 s14, -1, 0
	s_cmp_ge_u32 s3, s12
	s_cselect_b32 s3, -1, 0
	s_cmp_eq_u32 s7, s13
	s_cselect_b32 s3, s3, s14
	s_delay_alu instid0(SALU_CYCLE_1) | instskip(SKIP_3) | instid1(SALU_CYCLE_1)
	s_cmp_lg_u32 s3, 0
	s_cselect_b32 s13, s10, s29
	s_cselect_b32 s12, s9, s28
	s_xor_b64 s[22:23], s[22:23], 0
	s_xor_b64 s[12:13], s[12:13], s[22:23]
	s_delay_alu instid0(SALU_CYCLE_1)
	s_sub_nc_u64 s[24:25], s[12:13], s[22:23]
	s_load_b96 s[12:14], s[0:1], 0x44
	s_cbranch_execnz .LBB23_6
.LBB23_5:
	v_cvt_f32_u32_e32 v1, s16
	s_sub_co_i32 s7, 0, s16
	s_delay_alu instid0(VALU_DEP_1) | instskip(SKIP_1) | instid1(TRANS32_DEP_1)
	v_rcp_iflag_f32_e32 v1, v1
	v_nop
	v_mul_f32_e32 v1, 0x4f7ffffe, v1
	s_delay_alu instid0(VALU_DEP_1) | instskip(NEXT) | instid1(VALU_DEP_1)
	v_cvt_u32_f32_e32 v1, v1
	v_readfirstlane_b32 s3, v1
	s_mul_i32 s7, s7, s3
	s_delay_alu instid0(SALU_CYCLE_1) | instskip(NEXT) | instid1(SALU_CYCLE_1)
	s_mul_hi_u32 s7, s3, s7
	s_add_co_i32 s3, s3, s7
	s_delay_alu instid0(SALU_CYCLE_1) | instskip(NEXT) | instid1(SALU_CYCLE_1)
	s_mul_hi_u32 s3, s8, s3
	s_mul_i32 s7, s3, s16
	s_delay_alu instid0(SALU_CYCLE_1)
	s_sub_co_i32 s7, s8, s7
	s_add_co_i32 s8, s3, 1
	s_sub_co_i32 s9, s7, s16
	s_cmp_ge_u32 s7, s16
	s_cselect_b32 s3, s8, s3
	s_cselect_b32 s7, s9, s7
	s_add_co_i32 s8, s3, 1
	s_cmp_ge_u32 s7, s16
	s_cselect_b32 s24, s8, s3
.LBB23_6:
	s_delay_alu instid0(SALU_CYCLE_1)
	s_cmp_eq_u32 s20, s24
	s_mov_b64 s[8:9], 0xffffffff
	s_cselect_b32 s3, -1, 0
	s_and_b64 s[8:9], s[20:21], s[8:9]
	s_mov_b32 s23, 0
	s_wait_kmcnt 0x0
	s_mov_b32 s22, s12
	s_mov_b32 s25, s23
	s_mul_u64 s[10:11], s[8:9], s[22:23]
	s_delay_alu instid0(SALU_CYCLE_1) | instskip(SKIP_2) | instid1(SALU_CYCLE_1)
	s_add_co_i32 s7, s11, s20
	s_mul_u64 s[10:11], s[24:25], s[22:23]
	s_lshr_b32 s12, s7, s13
	s_mul_i32 s7, s12, s14
	s_delay_alu instid0(SALU_CYCLE_1) | instskip(SKIP_2) | instid1(SALU_CYCLE_1)
	s_cmp_eq_u32 s7, s20
	s_cselect_b32 s7, -1, 0
	s_add_co_i32 s10, s11, s24
	s_lshr_b32 s10, s10, s13
	s_delay_alu instid0(SALU_CYCLE_1)
	s_cmp_eq_u32 s12, s10
	s_mul_i32 s10, s10, s14
	s_cselect_b32 s11, -1, 0
	s_cmp_lg_u32 s10, s24
	s_cselect_b32 s10, -1, 0
	s_or_b32 s3, s3, s7
	s_and_b32 s10, s11, s10
	s_delay_alu instid0(SALU_CYCLE_1) | instskip(NEXT) | instid1(SALU_CYCLE_1)
	s_or_b32 s3, s3, s10
	s_and_b32 vcc_lo, exec_lo, s3
	s_cbranch_vccnz .LBB23_24
; %bb.7:
	s_load_b256 s[24:31], s[0:1], 0x20
	s_bfe_u32 s7, ttmp6, 0x40014
	s_bfe_u32 s33, ttmp6, 0x40010
	s_lshr_b32 s3, ttmp7, 16
	s_add_co_i32 s7, s7, 1
	s_and_b32 s21, ttmp7, 0xffff
	s_add_co_i32 s33, s33, 1
	s_bfe_u32 s10, ttmp6, 0x40008
	s_mul_i32 s7, s3, s7
	s_bfe_u32 s34, ttmp6, 0x40004
	s_mul_i32 s33, s21, s33
	s_mov_b32 s11, s23
	s_add_co_i32 s35, s10, s7
	s_add_co_i32 s34, s34, s33
	s_cmp_eq_u32 s15, 0
	s_cselect_b32 s7, s21, s34
	s_cselect_b32 s3, s3, s35
	s_wait_kmcnt 0x0
	s_mov_b32 s10, s24
	s_delay_alu instid0(SALU_CYCLE_1) | instskip(NEXT) | instid1(SALU_CYCLE_1)
	s_mul_u64 s[8:9], s[8:9], s[10:11]
	s_add_co_i32 s8, s9, s20
	s_delay_alu instid0(SALU_CYCLE_1) | instskip(SKIP_2) | instid1(SALU_CYCLE_1)
	s_lshr_b32 s15, s8, s25
	s_load_b32 s8, s[0:1], 0x40
	s_mul_i32 s9, s15, s26
	s_sub_co_i32 s9, s20, s9
	s_delay_alu instid0(SALU_CYCLE_1) | instskip(NEXT) | instid1(SALU_CYCLE_1)
	s_mul_hi_u32 s10, s9, s27
	s_add_co_i32 s10, s9, s10
	s_delay_alu instid0(SALU_CYCLE_1) | instskip(NEXT) | instid1(SALU_CYCLE_1)
	s_lshr_b32 s21, s10, s28
	s_mul_i32 s10, s21, s29
	s_delay_alu instid0(SALU_CYCLE_1) | instskip(NEXT) | instid1(SALU_CYCLE_1)
	s_sub_co_i32 s10, s9, s10
	s_mul_hi_u32 s9, s10, s30
	s_delay_alu instid0(SALU_CYCLE_1) | instskip(NEXT) | instid1(SALU_CYCLE_1)
	s_add_co_i32 s9, s10, s9
	s_lshr_b32 s25, s9, s31
	s_mov_b32 s9, s23
	s_wait_kmcnt 0x0
	s_mul_i32 s8, s25, s8
	s_lshl_b32 s25, s25, 2
	s_sub_co_i32 s8, s10, s8
	s_delay_alu instid0(SALU_CYCLE_1) | instskip(NEXT) | instid1(SALU_CYCLE_1)
	s_mul_u64 s[10:11], s[8:9], s[22:23]
	s_add_co_i32 s8, s8, s11
	s_delay_alu instid0(SALU_CYCLE_1) | instskip(NEXT) | instid1(SALU_CYCLE_1)
	s_lshr_b32 s24, s8, s13
	s_lshl_b32 s8, s24, 3
	s_delay_alu instid0(SALU_CYCLE_1) | instskip(NEXT) | instid1(SALU_CYCLE_1)
	s_add_co_i32 s8, s8, s7
	s_cmp_lt_i32 s8, s4
	s_cselect_b32 s8, -1, 0
	s_add_co_i32 s25, s25, s3
	s_delay_alu instid0(SALU_CYCLE_1) | instskip(SKIP_1) | instid1(SALU_CYCLE_1)
	s_cmp_lt_i32 s25, s6
	s_cselect_b32 s9, -1, 0
	s_and_b32 s8, s8, s9
	s_delay_alu instid0(SALU_CYCLE_1)
	s_and_not1_b32 vcc_lo, exec_lo, s8
	s_cbranch_vccnz .LBB23_24
; %bb.8:
	s_load_b128 s[8:11], s[0:1], 0x0
	s_wait_xcnt 0x0
	s_mul_i32 s0, s15, s4
	s_mul_i32 s21, s21, s6
	s_add_co_i32 s0, s0, s7
	s_add_co_i32 s1, s25, s21
	s_mul_i32 s0, s0, s5
	s_mul_i32 s4, s5, s24
	s_add_co_i32 s0, s1, s0
	s_mulk_i32 s4, 0x240
	s_mulk_i32 s0, 0x48
	s_lshl_b32 s15, s7, 2
	v_add3_u32 v2, s4, s0, v0
	s_add_nc_u64 s[0:1], s[16:17], 0
	s_add_co_i32 s15, s15, s3
	s_xor_b64 s[6:7], s[0:1], 0
	s_lshl_b32 s0, s2, 5
	s_cvt_f32_u32 s3, s6
	s_cvt_f32_u32 s4, s7
	s_add_co_i32 s0, s15, s0
	v_cvt_f32_u32_e32 v4, s16
	s_wait_kmcnt 0x0
	global_load_b32 v1, v2, s[8:9] scale_offset
	s_fmamk_f32 s3, s4, 0x4f800000, s3
	s_ashr_i32 s1, s0, 31
	s_lshl_b32 s24, s16, 7
	s_lshl_b64 s[0:1], s[0:1], 3
	v_s_rcp_f32 s3, s3
	s_add_nc_u64 s[0:1], s[10:11], s[0:1]
	v_rcp_iflag_f32_e32 v4, v4
	s_load_b64 s[28:29], s[0:1], 0x0
	s_mov_b32 s25, 0
	v_mad_u32 v6, 0x48, s15, v0
	v_ashrrev_i32_e32 v3, 31, v2
	s_wait_xcnt 0x0
	s_lshl_b64 s[0:1], s[24:25], 2
	s_mul_f32 s3, s3, 0x5f7ffffc
	v_mul_f32_e32 v4, 0x4f7ffffe, v4
	s_add_nc_u64 s[26:27], s[10:11], s[0:1]
	v_lshl_add_u64 v[2:3], v[2:3], 2, s[8:9]
	s_mul_f32 s4, s3, 0x2f800000
	s_mov_b64 s[8:9], 0xffffffff
	v_cvt_u32_f32_e32 v7, v4
	s_add_co_i32 s36, s2, -1
	s_trunc_f32 s4, s4
	s_sub_nc_u64 s[34:35], 0, s[6:7]
	s_delay_alu instid0(SALU_CYCLE_2)
	s_fmamk_f32 s0, s4, 0xcf800000, s3
	s_cvt_u32_f32 s31, s4
	s_wait_kmcnt 0x0
	v_mov_b32_e32 v0, s29
	s_cvt_u32_f32 s30, s0
.LBB23_9:                               ; =>This Inner Loop Header: Depth=1
	s_ashr_i32 s37, s36, 31
                                        ; implicit-def: $sgpr40_sgpr41
	s_delay_alu instid0(SALU_CYCLE_1) | instskip(NEXT) | instid1(SALU_CYCLE_1)
	s_mul_u64 s[0:1], s[36:37], s[18:19]
	s_and_b64 s[2:3], s[0:1], 0xffffffff00000000
	s_delay_alu instid0(SALU_CYCLE_1)
	s_cmp_lg_u64 s[2:3], 0
	s_mov_b32 s2, -1
	s_cbranch_scc0 .LBB23_11
; %bb.10:                               ;   in Loop: Header=BB23_9 Depth=1
	s_mul_u64 s[2:3], s[34:35], s[30:31]
	s_delay_alu instid0(SALU_CYCLE_1)
	s_mul_hi_u32 s5, s30, s3
	s_mul_i32 s4, s30, s3
	s_mul_hi_u32 s24, s30, s2
	s_mul_hi_u32 s17, s31, s2
	s_add_nc_u64 s[4:5], s[24:25], s[4:5]
	s_mul_i32 s2, s31, s2
	s_mul_hi_u32 s21, s31, s3
	s_add_co_u32 s2, s4, s2
	s_add_co_ci_u32 s24, s5, s17
	s_add_co_ci_u32 s5, s21, 0
	s_mul_i32 s4, s31, s3
	s_delay_alu instid0(SALU_CYCLE_1) | instskip(NEXT) | instid1(SALU_CYCLE_1)
	s_add_nc_u64 s[2:3], s[24:25], s[4:5]
	s_add_co_u32 s2, s30, s2
	s_cselect_b32 s4, -1, 0
	s_delay_alu instid0(SALU_CYCLE_1) | instskip(SKIP_1) | instid1(SALU_CYCLE_1)
	s_cmp_lg_u32 s4, 0
	s_add_co_ci_u32 s3, s31, s3
	s_mul_u64 s[4:5], s[34:35], s[2:3]
	s_delay_alu instid0(SALU_CYCLE_1)
	s_mul_hi_u32 s39, s2, s5
	s_mul_i32 s38, s2, s5
	s_mul_hi_u32 s24, s2, s4
	s_mul_hi_u32 s17, s3, s4
	s_mul_i32 s4, s3, s4
	s_add_nc_u64 s[38:39], s[24:25], s[38:39]
	s_mul_hi_u32 s21, s3, s5
	s_add_co_u32 s4, s38, s4
	s_add_co_ci_u32 s24, s39, s17
	s_mul_i32 s4, s3, s5
	s_add_co_ci_u32 s5, s21, 0
	s_delay_alu instid0(SALU_CYCLE_1) | instskip(NEXT) | instid1(SALU_CYCLE_1)
	s_add_nc_u64 s[4:5], s[24:25], s[4:5]
	s_add_co_u32 s17, s2, s4
	s_cselect_b32 s2, -1, 0
	s_delay_alu instid0(SALU_CYCLE_1) | instskip(SKIP_2) | instid1(SALU_CYCLE_1)
	s_cmp_lg_u32 s2, 0
	s_add_co_ci_u32 s21, s3, s5
	s_ashr_i32 s2, s1, 31
	s_mov_b32 s3, s2
	s_delay_alu instid0(SALU_CYCLE_1) | instskip(NEXT) | instid1(SALU_CYCLE_1)
	s_add_nc_u64 s[4:5], s[0:1], s[2:3]
	s_xor_b64 s[4:5], s[4:5], s[2:3]
	s_delay_alu instid0(SALU_CYCLE_1)
	s_mul_hi_u32 s39, s4, s21
	s_mul_i32 s38, s4, s21
	s_mul_hi_u32 s24, s4, s17
	s_mul_hi_u32 s29, s5, s17
	s_mul_i32 s17, s5, s17
	s_add_nc_u64 s[38:39], s[24:25], s[38:39]
	s_mul_hi_u32 s1, s5, s21
	s_add_co_u32 s17, s38, s17
	s_add_co_ci_u32 s24, s39, s29
	s_mul_i32 s40, s5, s21
	s_add_co_ci_u32 s41, s1, 0
	s_delay_alu instid0(SALU_CYCLE_1) | instskip(NEXT) | instid1(SALU_CYCLE_1)
	s_add_nc_u64 s[38:39], s[24:25], s[40:41]
	s_and_b64 s[40:41], s[38:39], 0xffffffff00000000
	s_delay_alu instid0(SALU_CYCLE_1) | instskip(NEXT) | instid1(SALU_CYCLE_1)
	s_or_b32 s40, s40, s38
	s_mul_u64 s[38:39], s[6:7], s[40:41]
	s_add_nc_u64 s[42:43], s[40:41], 1
	s_sub_co_u32 s1, s4, s38
	s_cselect_b32 s4, -1, 0
	s_sub_co_i32 s17, s5, s39
	s_cmp_lg_u32 s4, 0
	s_add_nc_u64 s[44:45], s[40:41], 2
	s_sub_co_ci_u32 s17, s17, s7
	s_sub_co_u32 s21, s1, s6
	s_cselect_b32 s24, -1, 0
	s_delay_alu instid0(SALU_CYCLE_1) | instskip(SKIP_1) | instid1(SALU_CYCLE_1)
	s_cmp_lg_u32 s24, 0
	s_sub_co_ci_u32 s17, s17, 0
	s_cmp_ge_u32 s17, s7
	s_cselect_b32 s24, -1, 0
	s_cmp_ge_u32 s21, s6
	s_cselect_b32 s21, -1, 0
	s_cmp_eq_u32 s17, s7
	s_cselect_b32 s17, s21, s24
	s_delay_alu instid0(SALU_CYCLE_1) | instskip(SKIP_4) | instid1(SALU_CYCLE_1)
	s_cmp_lg_u32 s17, 0
	s_cselect_b32 s17, s44, s42
	s_cselect_b32 s21, s45, s43
	s_cmp_lg_u32 s4, 0
	s_sub_co_ci_u32 s4, s5, s39
	s_cmp_ge_u32 s4, s7
	s_cselect_b32 s5, -1, 0
	s_cmp_ge_u32 s1, s6
	s_cselect_b32 s1, -1, 0
	s_cmp_eq_u32 s4, s7
	s_cselect_b32 s1, s1, s5
	s_delay_alu instid0(SALU_CYCLE_1) | instskip(SKIP_3) | instid1(SALU_CYCLE_1)
	s_cmp_lg_u32 s1, 0
	s_cselect_b32 s5, s21, s41
	s_cselect_b32 s4, s17, s40
	s_xor_b64 s[2:3], s[2:3], 0
	s_xor_b64 s[4:5], s[4:5], s[2:3]
	s_delay_alu instid0(SALU_CYCLE_1)
	s_sub_nc_u64 s[40:41], s[4:5], s[2:3]
	s_mov_b32 s2, 0
.LBB23_11:                              ;   in Loop: Header=BB23_9 Depth=1
	s_delay_alu instid0(SALU_CYCLE_1)
	s_and_not1_b32 vcc_lo, exec_lo, s2
	s_cbranch_vccnz .LBB23_13
; %bb.12:                               ;   in Loop: Header=BB23_9 Depth=1
	v_readfirstlane_b32 s1, v7
	s_sub_co_i32 s2, 0, s16
	s_delay_alu instid0(SALU_CYCLE_1) | instskip(NEXT) | instid1(SALU_CYCLE_1)
	s_mul_i32 s2, s2, s1
	s_mul_hi_u32 s2, s1, s2
	s_delay_alu instid0(SALU_CYCLE_1) | instskip(NEXT) | instid1(SALU_CYCLE_1)
	s_add_co_i32 s1, s1, s2
	s_mul_hi_u32 s1, s0, s1
	s_delay_alu instid0(SALU_CYCLE_1) | instskip(NEXT) | instid1(SALU_CYCLE_1)
	s_mul_i32 s2, s1, s16
	s_sub_co_i32 s0, s0, s2
	s_add_co_i32 s2, s1, 1
	s_sub_co_i32 s3, s0, s16
	s_cmp_ge_u32 s0, s16
	s_cselect_b32 s1, s2, s1
	s_cselect_b32 s0, s3, s0
	s_add_co_i32 s2, s1, 1
	s_cmp_ge_u32 s0, s16
	s_cselect_b32 s24, s2, s1
	s_delay_alu instid0(SALU_CYCLE_1)
	s_mov_b64 s[40:41], s[24:25]
.LBB23_13:                              ;   in Loop: Header=BB23_9 Depth=1
	s_delay_alu instid0(SALU_CYCLE_1)
	s_cmp_lg_u32 s20, s40
	s_mov_b32 s0, -1
                                        ; implicit-def: $vgpr4_vgpr5
                                        ; implicit-def: $sgpr24
                                        ; implicit-def: $sgpr17
                                        ; implicit-def: $sgpr21
                                        ; implicit-def: $sgpr29
	s_cbranch_scc0 .LBB23_18
; %bb.14:                               ;   in Loop: Header=BB23_9 Depth=1
	s_add_co_i32 s0, s36, s16
	v_max_num_f32_e64 v4, s28, s28
	s_lshl_b32 s0, s0, 5
	s_mov_b32 s29, s20
	s_add_co_i32 s0, s0, s15
	s_load_b64 s[38:39], s[10:11], s0 offset:0x0 scale_offset
	s_wait_xcnt 0x0
	v_readfirstlane_b32 s0, v4
	s_wait_kmcnt 0x0
	v_max_num_f32_e64 v5, s38, s38
	s_delay_alu instid0(VALU_DEP_1) | instskip(SKIP_1) | instid1(SALU_CYCLE_3)
	v_readfirstlane_b32 s1, v5
	s_max_num_f32 s17, s0, s1
	s_sub_f32 s33, s28, s17
	s_sub_f32 s37, s38, s17
	s_delay_alu instid0(SALU_CYCLE_2)
	s_cmp_nlt_f32 s33, 0xc2ce8ed0
	s_cselect_b32 s1, -1, 0
	s_cmp_ngt_f32 s33, 0x42b17218
	s_cselect_b32 s2, -1, 0
	s_cmp_ge_f32 s33, 0xc1a00000
	s_cselect_b32 s0, -1, 0
	s_cmp_nlt_f32 s37, 0xc2ce8ed0
	s_cselect_b32 s3, -1, 0
	s_cmp_ngt_f32 s37, 0x42b17218
	s_cselect_b32 s4, -1, 0
	s_cmp_ge_f32 s37, 0xc1a00000
	s_cselect_b32 s5, -1, 0
	s_and_b64 s[42:43], s[40:41], s[8:9]
	s_delay_alu instid0(SALU_CYCLE_1) | instskip(NEXT) | instid1(SALU_CYCLE_1)
	s_mul_u64 s[42:43], s[42:43], s[22:23]
	s_add_co_i32 s21, s43, s40
	s_delay_alu instid0(SALU_CYCLE_1) | instskip(NEXT) | instid1(SALU_CYCLE_1)
	s_lshr_b32 s21, s21, s13
	s_mul_i32 s24, s21, s14
	s_delay_alu instid0(SALU_CYCLE_1) | instskip(SKIP_3) | instid1(SALU_CYCLE_1)
	s_cmp_eq_u32 s24, s40
	s_cselect_b32 s24, -1, 0
	s_cmp_lt_u32 s21, s12
	s_cselect_b32 s21, -1, 0
	s_or_b32 s21, s21, s24
	s_mov_b32 s24, -1
	s_and_b32 vcc_lo, exec_lo, s21
	s_mov_b32 s21, s36
	s_cbranch_vccnz .LBB23_16
; %bb.15:                               ;   in Loop: Header=BB23_9 Depth=1
	s_add_co_i32 s21, s36, -1
	s_mov_b32 s24, 0
	s_mov_b32 s29, s40
.LBB23_16:                              ;   in Loop: Header=BB23_9 Depth=1
	v_mad_u32 v4, 0x900, s36, v6
	s_mul_f32 s40, s33, 0x3fb8aa3b
	s_mul_f32 s38, s37, 0x3fb8aa3b
	s_delay_alu instid0(SALU_CYCLE_2)
	s_xor_b32 s42, s40, 0x80000000
	s_rndne_f32 s44, s40
	s_fmamk_f32 s42, s33, 0x3fb8aa3b, s42
	s_xor_b32 s41, s38, 0x80000000
	s_rndne_f32 s43, s38
	s_sub_f32 s40, s40, s44
	global_load_b32 v5, v4, s[26:27] scale_offset
	s_fmamk_f32 s33, s33, 0x32a5705f, s42
	s_fmamk_f32 s41, s37, 0x3fb8aa3b, s41
	s_sub_f32 s38, s38, s43
	s_delay_alu instid0(SALU_CYCLE_1) | instskip(NEXT) | instid1(SALU_CYCLE_1)
	s_add_f32 s33, s40, s33
	s_fmamk_f32 s37, s37, 0x32a5705f, s41
	s_cvt_i32_f32 s40, s44
	s_delay_alu instid0(SALU_CYCLE_1) | instskip(NEXT) | instid1(SALU_CYCLE_1)
	v_s_exp_f32 s33, s33
	s_add_f32 s37, s38, s37
	s_cvt_i32_f32 s38, s43
	s_delay_alu instid0(SALU_CYCLE_2) | instskip(NEXT) | instid1(TRANS32_DEP_2)
	v_s_exp_f32 s37, s37
	v_ldexp_f32 v8, s33, s40
	s_wait_xcnt 0x0
	s_delay_alu instid0(TRANS32_DEP_1) | instskip(NEXT) | instid1(VALU_DEP_2)
	v_ldexp_f32 v4, s37, s38
	v_cndmask_b32_e64 v8, 0, v8, s1
	s_delay_alu instid0(VALU_DEP_1) | instskip(NEXT) | instid1(VALU_DEP_1)
	v_cndmask_b32_e64 v9, 0x7f800000, v8, s2
	v_dual_cndmask_b32 v4, 0, v4, s3 :: v_dual_cndmask_b32 v10, 0, v9, s0
	s_delay_alu instid0(VALU_DEP_1) | instskip(NEXT) | instid1(VALU_DEP_1)
	v_cndmask_b32_e64 v4, 0x7f800000, v4, s4
	v_dual_cndmask_b32 v8, 0, v4, s5 :: v_dual_mov_b32 v4, s39
	s_wait_loadcnt 0x0
	s_delay_alu instid0(VALU_DEP_1) | instskip(NEXT) | instid1(VALU_DEP_1)
	v_pk_mul_f32 v[4:5], v[4:5], v[8:9] op_sel_hi:[1,0]
	v_pk_fma_f32 v[4:5], v[0:1], v[10:11], v[4:5] op_sel_hi:[1,0,1]
	s_cbranch_execz .LBB23_19
.LBB23_17:                              ;   in Loop: Header=BB23_9 Depth=1
	s_and_not1_b32 vcc_lo, exec_lo, s24
	s_cbranch_vccnz .LBB23_20
	s_branch .LBB23_23
.LBB23_18:                              ;   in Loop: Header=BB23_9 Depth=1
	s_and_not1_b32 vcc_lo, exec_lo, s0
	s_cbranch_vccnz .LBB23_17
.LBB23_19:                              ;   in Loop: Header=BB23_9 Depth=1
	s_wait_loadcnt 0x0
	v_mov_b64_e32 v[4:5], v[0:1]
	s_add_co_i32 s21, s36, -1
	s_mov_b32 s29, s20
	s_mov_b32 s17, s28
	s_cbranch_execz .LBB23_23
.LBB23_20:                              ;   in Loop: Header=BB23_9 Depth=1
	s_wait_loadcnt 0x0
	s_delay_alu instid0(VALU_DEP_1)
	v_mov_b64_e32 v[0:1], v[4:5]
	s_mov_b32 s20, s29
	s_mov_b32 s36, s21
	;; [unrolled: 1-line block ×3, first 2 shown]
	s_branch .LBB23_9
.LBB23_21:
                                        ; implicit-def: $sgpr20_sgpr21
	s_branch .LBB23_2
.LBB23_22:
                                        ; implicit-def: $sgpr24_sgpr25
	s_load_b96 s[12:14], s[0:1], 0x44
	s_branch .LBB23_5
.LBB23_23:
	s_delay_alu instid0(VALU_DEP_1) | instskip(SKIP_1) | instid1(VALU_DEP_1)
	v_div_scale_f32 v0, null, v4, v4, v5
	s_wait_loadcnt 0x0
	v_rcp_f32_e32 v1, v0
	v_nop
	s_delay_alu instid0(TRANS32_DEP_1) | instskip(NEXT) | instid1(VALU_DEP_1)
	v_fma_f32 v6, -v0, v1, 1.0
	v_fmac_f32_e32 v1, v6, v1
	v_div_scale_f32 v6, vcc_lo, v5, v4, v5
	s_delay_alu instid0(VALU_DEP_1) | instskip(NEXT) | instid1(VALU_DEP_1)
	v_mul_f32_e32 v7, v6, v1
	v_fma_f32 v8, -v0, v7, v6
	s_delay_alu instid0(VALU_DEP_1) | instskip(NEXT) | instid1(VALU_DEP_1)
	v_fmac_f32_e32 v7, v8, v1
	v_fma_f32 v0, -v0, v7, v6
	s_delay_alu instid0(VALU_DEP_1) | instskip(NEXT) | instid1(VALU_DEP_1)
	v_div_fmas_f32 v0, v0, v1, v7
	v_div_fixup_f32 v0, v0, v4, v5
	global_store_b32 v[2:3], v0, off
.LBB23_24:
	s_endpgm
	.section	.rodata,"a",@progbits
	.p2align	6, 0x0
	.amdhsa_kernel _ZL33flash_attn_stream_k_fixup_generalILi72ELi8ELi4EEvPfPK15HIP_vector_typeIfLj2EEiiiiS1_IjLj3EES5_S5_S5_
		.amdhsa_group_segment_fixed_size 0
		.amdhsa_private_segment_fixed_size 0
		.amdhsa_kernarg_size 336
		.amdhsa_user_sgpr_count 2
		.amdhsa_user_sgpr_dispatch_ptr 0
		.amdhsa_user_sgpr_queue_ptr 0
		.amdhsa_user_sgpr_kernarg_segment_ptr 1
		.amdhsa_user_sgpr_dispatch_id 0
		.amdhsa_user_sgpr_kernarg_preload_length 0
		.amdhsa_user_sgpr_kernarg_preload_offset 0
		.amdhsa_user_sgpr_private_segment_size 0
		.amdhsa_wavefront_size32 1
		.amdhsa_uses_dynamic_stack 0
		.amdhsa_enable_private_segment 0
		.amdhsa_system_sgpr_workgroup_id_x 1
		.amdhsa_system_sgpr_workgroup_id_y 1
		.amdhsa_system_sgpr_workgroup_id_z 1
		.amdhsa_system_sgpr_workgroup_info 0
		.amdhsa_system_vgpr_workitem_id 0
		.amdhsa_next_free_vgpr 12
		.amdhsa_next_free_sgpr 46
		.amdhsa_named_barrier_count 0
		.amdhsa_reserve_vcc 1
		.amdhsa_float_round_mode_32 0
		.amdhsa_float_round_mode_16_64 0
		.amdhsa_float_denorm_mode_32 3
		.amdhsa_float_denorm_mode_16_64 3
		.amdhsa_fp16_overflow 0
		.amdhsa_memory_ordered 1
		.amdhsa_forward_progress 1
		.amdhsa_inst_pref_size 27
		.amdhsa_round_robin_scheduling 0
		.amdhsa_exception_fp_ieee_invalid_op 0
		.amdhsa_exception_fp_denorm_src 0
		.amdhsa_exception_fp_ieee_div_zero 0
		.amdhsa_exception_fp_ieee_overflow 0
		.amdhsa_exception_fp_ieee_underflow 0
		.amdhsa_exception_fp_ieee_inexact 0
		.amdhsa_exception_int_div_zero 0
	.end_amdhsa_kernel
	.section	.text._ZL33flash_attn_stream_k_fixup_generalILi72ELi8ELi4EEvPfPK15HIP_vector_typeIfLj2EEiiiiS1_IjLj3EES5_S5_S5_,"axG",@progbits,_ZL33flash_attn_stream_k_fixup_generalILi72ELi8ELi4EEvPfPK15HIP_vector_typeIfLj2EEiiiiS1_IjLj3EES5_S5_S5_,comdat
.Lfunc_end23:
	.size	_ZL33flash_attn_stream_k_fixup_generalILi72ELi8ELi4EEvPfPK15HIP_vector_typeIfLj2EEiiiiS1_IjLj3EES5_S5_S5_, .Lfunc_end23-_ZL33flash_attn_stream_k_fixup_generalILi72ELi8ELi4EEvPfPK15HIP_vector_typeIfLj2EEiiiiS1_IjLj3EES5_S5_S5_
                                        ; -- End function
	.set _ZL33flash_attn_stream_k_fixup_generalILi72ELi8ELi4EEvPfPK15HIP_vector_typeIfLj2EEiiiiS1_IjLj3EES5_S5_S5_.num_vgpr, 12
	.set _ZL33flash_attn_stream_k_fixup_generalILi72ELi8ELi4EEvPfPK15HIP_vector_typeIfLj2EEiiiiS1_IjLj3EES5_S5_S5_.num_agpr, 0
	.set _ZL33flash_attn_stream_k_fixup_generalILi72ELi8ELi4EEvPfPK15HIP_vector_typeIfLj2EEiiiiS1_IjLj3EES5_S5_S5_.numbered_sgpr, 46
	.set _ZL33flash_attn_stream_k_fixup_generalILi72ELi8ELi4EEvPfPK15HIP_vector_typeIfLj2EEiiiiS1_IjLj3EES5_S5_S5_.num_named_barrier, 0
	.set _ZL33flash_attn_stream_k_fixup_generalILi72ELi8ELi4EEvPfPK15HIP_vector_typeIfLj2EEiiiiS1_IjLj3EES5_S5_S5_.private_seg_size, 0
	.set _ZL33flash_attn_stream_k_fixup_generalILi72ELi8ELi4EEvPfPK15HIP_vector_typeIfLj2EEiiiiS1_IjLj3EES5_S5_S5_.uses_vcc, 1
	.set _ZL33flash_attn_stream_k_fixup_generalILi72ELi8ELi4EEvPfPK15HIP_vector_typeIfLj2EEiiiiS1_IjLj3EES5_S5_S5_.uses_flat_scratch, 0
	.set _ZL33flash_attn_stream_k_fixup_generalILi72ELi8ELi4EEvPfPK15HIP_vector_typeIfLj2EEiiiiS1_IjLj3EES5_S5_S5_.has_dyn_sized_stack, 0
	.set _ZL33flash_attn_stream_k_fixup_generalILi72ELi8ELi4EEvPfPK15HIP_vector_typeIfLj2EEiiiiS1_IjLj3EES5_S5_S5_.has_recursion, 0
	.set _ZL33flash_attn_stream_k_fixup_generalILi72ELi8ELi4EEvPfPK15HIP_vector_typeIfLj2EEiiiiS1_IjLj3EES5_S5_S5_.has_indirect_call, 0
	.section	.AMDGPU.csdata,"",@progbits
; Kernel info:
; codeLenInByte = 3352
; TotalNumSgprs: 48
; NumVgprs: 12
; ScratchSize: 0
; MemoryBound: 0
; FloatMode: 240
; IeeeMode: 1
; LDSByteSize: 0 bytes/workgroup (compile time only)
; SGPRBlocks: 0
; VGPRBlocks: 0
; NumSGPRsForWavesPerEU: 48
; NumVGPRsForWavesPerEU: 12
; NamedBarCnt: 0
; Occupancy: 16
; WaveLimiterHint : 0
; COMPUTE_PGM_RSRC2:SCRATCH_EN: 0
; COMPUTE_PGM_RSRC2:USER_SGPR: 2
; COMPUTE_PGM_RSRC2:TRAP_HANDLER: 0
; COMPUTE_PGM_RSRC2:TGID_X_EN: 1
; COMPUTE_PGM_RSRC2:TGID_Y_EN: 1
; COMPUTE_PGM_RSRC2:TGID_Z_EN: 1
; COMPUTE_PGM_RSRC2:TIDIG_COMP_CNT: 0
	.section	.text._ZL15flash_attn_tileILi72ELi72ELi4ELi4ELb0EEvPKcS1_S1_S1_S1_PKiPfP15HIP_vector_typeIfLj2EEffffjfiS5_IjLj3EEiiiiiiiiiiiliiliiiiil,"axG",@progbits,_ZL15flash_attn_tileILi72ELi72ELi4ELi4ELb0EEvPKcS1_S1_S1_S1_PKiPfP15HIP_vector_typeIfLj2EEffffjfiS5_IjLj3EEiiiiiiiiiiiliiliiiiil,comdat
	.globl	_ZL15flash_attn_tileILi72ELi72ELi4ELi4ELb0EEvPKcS1_S1_S1_S1_PKiPfP15HIP_vector_typeIfLj2EEffffjfiS5_IjLj3EEiiiiiiiiiiiliiliiiiil ; -- Begin function _ZL15flash_attn_tileILi72ELi72ELi4ELi4ELb0EEvPKcS1_S1_S1_S1_PKiPfP15HIP_vector_typeIfLj2EEffffjfiS5_IjLj3EEiiiiiiiiiiiliiliiiiil
	.p2align	8
	.type	_ZL15flash_attn_tileILi72ELi72ELi4ELi4ELb0EEvPKcS1_S1_S1_S1_PKiPfP15HIP_vector_typeIfLj2EEffffjfiS5_IjLj3EEiiiiiiiiiiiliiliiiiil,@function
_ZL15flash_attn_tileILi72ELi72ELi4ELi4ELb0EEvPKcS1_S1_S1_S1_PKiPfP15HIP_vector_typeIfLj2EEffffjfiS5_IjLj3EEiiiiiiiiiiiliiliiiiil: ; @_ZL15flash_attn_tileILi72ELi72ELi4ELi4ELb0EEvPKcS1_S1_S1_S1_PKiPfP15HIP_vector_typeIfLj2EEffffjfiS5_IjLj3EEiiiiiiiiiiiliiliiiiil
; %bb.0:
	s_clause 0x1
	s_load_b128 s[20:23], s[0:1], 0x5c
	s_load_b64 s[30:31], s[0:1], 0x80
	s_bfe_u32 s5, ttmp6, 0x40014
	s_lshr_b32 s4, ttmp7, 16
	s_add_co_i32 s5, s5, 1
	s_bfe_u32 s6, ttmp6, 0x40008
	s_mul_i32 s5, s4, s5
	s_getreg_b32 s27, hwreg(HW_REG_IB_STS2, 6, 4)
	s_add_co_i32 s6, s6, s5
	s_mov_b32 s37, 0
	s_mov_b64 s[34:35], 0
	s_wait_kmcnt 0x0
	s_ashr_i32 s2, s23, 31
	s_delay_alu instid0(SALU_CYCLE_1) | instskip(NEXT) | instid1(SALU_CYCLE_1)
	s_lshr_b32 s2, s2, 30
	s_add_co_i32 s2, s23, s2
	s_delay_alu instid0(SALU_CYCLE_1) | instskip(NEXT) | instid1(SALU_CYCLE_1)
	s_ashr_i32 s2, s2, 2
	s_cvt_f32_u32 s3, s2
	s_sub_co_i32 s7, 0, s2
	s_delay_alu instid0(SALU_CYCLE_2) | instskip(SKIP_1) | instid1(TRANS32_DEP_1)
	v_rcp_iflag_f32_e32 v1, s3
	v_nop
	v_readfirstlane_b32 s3, v1
	s_mul_f32 s3, s3, 0x4f7ffffe
	s_delay_alu instid0(SALU_CYCLE_3) | instskip(NEXT) | instid1(SALU_CYCLE_3)
	s_cvt_u32_f32 s3, s3
	s_mul_i32 s7, s7, s3
	s_delay_alu instid0(SALU_CYCLE_1) | instskip(NEXT) | instid1(SALU_CYCLE_1)
	s_mul_hi_u32 s7, s3, s7
	s_add_co_i32 s3, s3, s7
	s_cmp_eq_u32 s27, 0
	s_cselect_b32 s4, s4, s6
	s_delay_alu instid0(SALU_CYCLE_1) | instskip(NEXT) | instid1(SALU_CYCLE_1)
	s_mul_hi_u32 s3, s4, s3
	s_mul_i32 s5, s3, s2
	s_add_co_i32 s6, s3, 1
	s_sub_co_i32 s5, s4, s5
	s_delay_alu instid0(SALU_CYCLE_1)
	s_sub_co_i32 s7, s5, s2
	s_cmp_ge_u32 s5, s2
	s_cselect_b32 s3, s6, s3
	s_cselect_b32 s5, s7, s5
	s_add_co_i32 s6, s3, 1
	s_cmp_ge_u32 s5, s2
	s_cselect_b32 s28, s6, s3
	s_abs_i32 s2, s31
	s_abs_i32 s6, s23
	s_cvt_f32_u32 s3, s2
	s_sub_co_i32 s5, 0, s2
	s_lshl_b32 s24, s4, 2
	s_xor_b32 s4, s23, s31
	v_rcp_iflag_f32_e32 v1, s3
	s_ashr_i32 s25, s4, 31
	v_nop
	s_delay_alu instid0(TRANS32_DEP_1) | instskip(SKIP_1) | instid1(SALU_CYCLE_3)
	v_readfirstlane_b32 s3, v1
	s_mul_f32 s3, s3, 0x4f7ffffe
	s_cvt_u32_f32 s3, s3
	s_delay_alu instid0(SALU_CYCLE_3) | instskip(NEXT) | instid1(SALU_CYCLE_1)
	s_mul_i32 s5, s5, s3
	s_mul_hi_u32 s5, s3, s5
	s_delay_alu instid0(SALU_CYCLE_1) | instskip(NEXT) | instid1(SALU_CYCLE_1)
	s_add_co_i32 s3, s3, s5
	s_mul_hi_u32 s3, s6, s3
	s_delay_alu instid0(SALU_CYCLE_1) | instskip(NEXT) | instid1(SALU_CYCLE_1)
	s_mul_i32 s5, s3, s2
	s_sub_co_i32 s4, s6, s5
	s_add_co_i32 s5, s3, 1
	s_sub_co_i32 s6, s4, s2
	s_cmp_ge_u32 s4, s2
	s_cselect_b32 s3, s5, s3
	s_cselect_b32 s4, s6, s4
	s_add_co_i32 s5, s3, 1
	s_cmp_ge_u32 s4, s2
	s_cselect_b32 s2, s5, s3
	s_load_b512 s[4:19], s[0:1], 0x0
	s_xor_b32 s26, s2, s25
	s_load_b64 s[2:3], s[0:1], 0xb8
	s_sub_co_i32 s29, s26, s25
	s_delay_alu instid0(SALU_CYCLE_1) | instskip(NEXT) | instid1(SALU_CYCLE_1)
	s_abs_i32 s38, s29
	s_cvt_f32_u32 s25, s38
	s_delay_alu instid0(SALU_CYCLE_3) | instskip(SKIP_2) | instid1(TRANS32_DEP_1)
	v_rcp_iflag_f32_e32 v1, s25
	s_mul_i32 s25, s28, s23
	v_nop
	v_readfirstlane_b32 s36, v1
	s_wait_kmcnt 0x0
	s_cmp_eq_u64 s[10:11], 0
	s_cbranch_scc1 .LBB24_2
; %bb.1:
	s_abs_i32 s2, s2
	s_abs_i32 s33, s28
	s_cvt_f32_u32 s26, s2
	s_sub_co_i32 s31, 0, s2
	s_load_b64 s[34:35], s[0:1], 0xc8
	s_delay_alu instid0(SALU_CYCLE_1) | instskip(SKIP_1) | instid1(TRANS32_DEP_1)
	v_rcp_iflag_f32_e32 v1, s26
	v_nop
	v_readfirstlane_b32 s26, v1
	s_mul_f32 s26, s26, 0x4f7ffffe
	s_delay_alu instid0(SALU_CYCLE_3) | instskip(NEXT) | instid1(SALU_CYCLE_3)
	s_cvt_u32_f32 s26, s26
	s_mul_i32 s31, s31, s26
	s_delay_alu instid0(SALU_CYCLE_1) | instskip(NEXT) | instid1(SALU_CYCLE_1)
	s_mul_hi_u32 s31, s26, s31
	s_add_co_i32 s26, s26, s31
	s_ashr_i32 s31, s28, 31
	s_mul_hi_u32 s26, s33, s26
	s_delay_alu instid0(SALU_CYCLE_1) | instskip(NEXT) | instid1(SALU_CYCLE_1)
	s_mul_i32 s26, s26, s2
	s_sub_co_i32 s26, s33, s26
	s_delay_alu instid0(SALU_CYCLE_1) | instskip(SKIP_2) | instid1(SALU_CYCLE_1)
	s_sub_co_i32 s33, s26, s2
	s_cmp_ge_u32 s26, s2
	s_cselect_b32 s26, s33, s26
	s_sub_co_i32 s33, s26, s2
	s_cmp_ge_u32 s26, s2
	s_cselect_b32 s2, s33, s26
	s_delay_alu instid0(SALU_CYCLE_1) | instskip(NEXT) | instid1(SALU_CYCLE_1)
	s_xor_b32 s2, s2, s31
	s_sub_co_i32 s40, s2, s31
	s_delay_alu instid0(SALU_CYCLE_1) | instskip(SKIP_2) | instid1(SALU_CYCLE_1)
	s_ashr_i32 s41, s40, 31
	s_wait_kmcnt 0x0
	s_mul_u64 s[34:35], s[34:35], s[40:41]
	s_add_nc_u64 s[34:35], s[10:11], s[34:35]
.LBB24_2:
	s_bfe_u32 s2, ttmp6, 0x4000c
	v_bfe_u32 v2, v0, 10, 10
	v_lshrrev_b32_e32 v1, 10, v0
	s_add_co_i32 s2, s2, 1
	s_and_b32 s10, ttmp6, 15
	s_mul_i32 s2, ttmp9, s2
	s_sub_co_i32 s31, s24, s25
	s_add_co_i32 s10, s10, s2
	v_lshlrev_b32_e32 v3, 1, v2
	v_bfe_u32 v1, v1, 1, 9
	s_cmp_eq_u32 s27, 0
	v_and_b32_e32 v23, 0x3ff, v0
	s_cselect_b32 s10, ttmp9, s10
	v_and_b32_e32 v4, 2, v3
	v_lshl_add_u32 v24, s10, 2, v1
	s_delay_alu instid0(VALU_DEP_3) | instskip(SKIP_1) | instid1(VALU_DEP_3)
	v_dual_lshlrev_b32 v22, 2, v23 :: v_dual_lshlrev_b32 v25, 3, v23
	v_cmp_gt_u32_e64 s2, 18, v23
	v_mul_hi_u32 v1, s20, v24
	s_delay_alu instid0(VALU_DEP_1) | instskip(NEXT) | instid1(VALU_DEP_1)
	v_add_nc_u32_e32 v1, v24, v1
	v_lshrrev_b32_e32 v1, s21, v1
	s_delay_alu instid0(VALU_DEP_1) | instskip(NEXT) | instid1(VALU_DEP_1)
	v_mul_lo_u32 v1, v1, s22
	v_sub_nc_u32_e32 v0, v24, v1
	s_and_saveexec_b32 s11, s2
	s_cbranch_execz .LBB24_4
; %bb.3:
	s_load_b96 s[24:26], s[0:1], 0x70
	v_dual_mov_b32 v1, 0 :: v_dual_lshlrev_b32 v12, 2, v22
	v_bitop3_b32 v8, v3, 3, 1 bitop3:0xc8
	s_delay_alu instid0(VALU_DEP_2)
	v_dual_mov_b32 v13, v1 :: v_dual_bitop2_b32 v3, 1, v3 bitop3:0x54
	v_dual_mov_b32 v5, v1 :: v_dual_mov_b32 v9, v1
	s_wait_kmcnt 0x0
	s_ashr_i32 s21, s24, 31
	s_mov_b32 s20, s24
	s_mul_i32 s24, s31, s25
	s_lshr_b64 s[20:21], s[20:21], 2
	s_delay_alu instid0(SALU_CYCLE_1)
	v_mul_u64_e32 v[6:7], s[20:21], v[0:1]
	s_ashr_i32 s21, s25, 31
	s_mov_b32 s20, s25
	s_ashr_i32 s25, s24, 31
	s_lshr_b64 s[20:21], s[20:21], 2
	v_add_nc_u32_e32 v1, 0x14e0, v25
	v_mul_u64_e32 v[10:11], s[20:21], v[4:5]
	v_mul_u64_e32 v[8:9], s[20:21], v[8:9]
	s_mul_i32 s20, s28, s26
	s_delay_alu instid0(SALU_CYCLE_1) | instskip(SKIP_4) | instid1(SALU_CYCLE_1)
	s_ashr_i32 s21, s20, 31
	v_mad_u32_u24 v5, 0x120, v2, v1
	s_add_nc_u64 s[4:5], s[4:5], s[20:21]
	v_mad_u32_u24 v1, 0x90, v3, v1
	s_add_nc_u64 s[4:5], s[4:5], s[24:25]
	v_lshl_add_u64 v[6:7], v[6:7], 2, s[4:5]
	s_load_b32 s4, s[0:1], 0x40
	s_delay_alu instid0(VALU_DEP_1) | instskip(NEXT) | instid1(VALU_DEP_1)
	v_add_nc_u64_e32 v[6:7], v[6:7], v[12:13]
	v_lshl_add_u64 v[14:15], v[10:11], 2, v[6:7]
	v_lshl_add_u64 v[16:17], v[8:9], 2, v[6:7]
	s_clause 0x1
	global_load_b128 v[6:9], v[14:15], off
	global_load_b128 v[10:13], v[16:17], off
	s_wait_loadcnt 0x1
	s_wait_kmcnt 0x0
	v_fma_mixlo_f16 v6, s4, v6, 0
	v_fma_mixlo_f16 v7, s4, v7, 0
	s_wait_loadcnt 0x0
	v_fma_mixlo_f16 v10, s4, v10, 0
	v_fma_mixlo_f16 v11, s4, v11, 0
	;; [unrolled: 1-line block ×4, first 2 shown]
	v_lshlrev_b32_e32 v7, 16, v7
	v_and_b32_e32 v6, 0xffff, v6
	v_fma_mixlo_f16 v12, s4, v12, 0
	v_fma_mixlo_f16 v13, s4, v13, 0
	v_lshlrev_b32_e32 v11, 16, v11
	v_and_b32_e32 v10, 0xffff, v10
	v_lshlrev_b32_e32 v9, 16, v9
	v_and_b32_e32 v8, 0xffff, v8
	v_dual_lshlrev_b32 v13, 16, v13 :: v_dual_bitop2_b32 v6, v7, v6 bitop3:0x54
	v_and_b32_e32 v12, 0xffff, v12
	v_or_b32_e32 v10, v11, v10
	s_delay_alu instid0(VALU_DEP_4) | instskip(NEXT) | instid1(VALU_DEP_4)
	v_or3_b32 v7, v9, v8, 0
	v_or3_b32 v6, 0, 0, v6
	s_delay_alu instid0(VALU_DEP_4) | instskip(NEXT) | instid1(VALU_DEP_4)
	v_or3_b32 v9, v13, v12, 0
	v_or3_b32 v8, 0, 0, v10
	ds_store_b64 v5, v[6:7]
	ds_store_b64 v1, v[8:9]
.LBB24_4:
	s_or_b32 exec_lo, exec_lo, s11
	s_cmp_eq_u64 s[14:15], 0
	s_wait_dscnt 0x0
	s_barrier_signal -1
	s_barrier_wait -1
	s_cbranch_scc1 .LBB24_6
; %bb.5:
	s_load_b32 s4, s[0:1], 0xd0
	s_wait_kmcnt 0x0
	s_mul_i32 s4, s4, s28
	s_delay_alu instid0(SALU_CYCLE_1)
	s_add_co_i32 s4, s4, s10
	s_load_b32 s30, s[14:15], s4 offset:0x0 scale_offset
.LBB24_6:
	s_wait_xcnt 0x0
	s_bfe_u32 s4, ttmp6, 0x40010
	s_and_b32 s5, ttmp7, 0xffff
	s_add_co_i32 s4, s4, 1
	s_bfe_u32 s10, ttmp6, 0x40004
	s_mul_i32 s4, s5, s4
	v_mbcnt_lo_u32_b32 v5, -1, 0
	s_add_co_i32 s10, s10, s4
	s_cmp_eq_u32 s27, 0
	s_cselect_b32 s33, s5, s10
	s_mov_b32 s5, 0
	s_lshl_b32 s4, s33, 5
	s_wait_kmcnt 0x0
	s_cmp_lt_i32 s4, s30
	s_cbranch_scc1 .LBB24_9
; %bb.7:
	v_mbcnt_lo_u32_b32 v1, -1, 0
	s_delay_alu instid0(VALU_DEP_1)
	v_dual_mov_b32 v28, 32 :: v_dual_bitop2_b32 v33, 16, v1 bitop3:0x14
	v_xor_b32_e32 v32, 8, v1
	v_xor_b32_e32 v31, 4, v1
	;; [unrolled: 1-line block ×4, first 2 shown]
	s_and_not1_b32 vcc_lo, exec_lo, s5
	s_cbranch_vccz .LBB24_10
; %bb.8:
	v_dual_mov_b32 v19, 0xfeffffff :: v_dual_mov_b32 v34, 0
	v_dual_mov_b32 v7, 0 :: v_dual_mov_b32 v44, 0
	;; [unrolled: 1-line block ×3, first 2 shown]
	s_delay_alu instid0(VALU_DEP_2)
	v_dual_mov_b32 v18, v19 :: v_dual_mov_b32 v6, v7
	s_branch .LBB24_18
.LBB24_9:
                                        ; implicit-def: $vgpr1
                                        ; implicit-def: $vgpr28
                                        ; implicit-def: $vgpr33
                                        ; implicit-def: $vgpr32
                                        ; implicit-def: $vgpr31
                                        ; implicit-def: $vgpr30
                                        ; implicit-def: $vgpr29
.LBB24_10:
	s_clause 0x1
	s_load_b64 s[14:15], s[0:1], 0x8c
	s_load_b128 s[24:27], s[0:1], 0x98
	s_mul_f32 s5, s36, 0x4f7ffffe
	s_sub_co_i32 s10, 0, s38
	s_abs_i32 s36, s31
	s_mov_b32 s11, s37
	s_cvt_u32_f32 s5, s5
	s_load_b64 s[20:21], s[0:1], 0xa8
	v_dual_lshrrev_b32 v1, 3, v23 :: v_dual_bitop2_b32 v6, 28, v22 bitop3:0x40
	s_delay_alu instid0(SALU_CYCLE_1)
	s_mul_i32 s10, s10, s5
	s_ashr_i32 s39, s31, 31
	s_mul_hi_u32 s10, s5, s10
	s_ashr_i32 s40, s29, 31
	s_add_co_i32 s10, s5, s10
	s_ashr_i32 s3, s3, 1
	s_mul_u64 s[10:11], s[36:37], s[10:11]
	s_ashr_i32 s29, s28, 31
	s_mul_i32 s5, s11, s38
	s_xor_b32 s37, s39, s40
	s_sub_co_i32 s5, s36, s5
	s_wait_kmcnt 0x0
	s_ashr_i32 s10, s26, 2
	s_ashr_i32 s14, s14, 2
	s_add_co_i32 s26, s11, 1
	s_sub_co_i32 s36, s5, s38
	v_lshl_add_u32 v1, v2, 2, v1
	v_lshl_add_u32 v3, v2, 5, v23
	s_cmp_ge_u32 s5, s38
	v_mad_u32 v39, v0, s3, v23
	s_cselect_b32 s11, s26, s11
	s_cselect_b32 s5, s36, s5
	s_add_co_i32 s26, s11, 1
	v_mul_lo_u32 v8, s14, v1
	v_mul_lo_u32 v10, s14, v3
	;; [unrolled: 1-line block ×4, first 2 shown]
	s_cmp_ge_u32 s5, s38
	v_dual_lshlrev_b32 v7, 2, v6 :: v_dual_mov_b32 v13, 0
	s_cselect_b32 s5, s26, s11
	v_lshl_add_u32 v40, v2, 7, 0x1de0
	s_xor_b32 s5, s5, s37
	s_mul_u64 s[24:25], s[24:25], s[28:29]
	s_sub_co_i32 s5, s5, s37
	s_add_nc_u64 s[6:7], s[6:7], s[24:25]
	s_mul_i32 s36, s5, s15
	s_mul_i32 s24, s5, s27
	s_movk_i32 s5, 0x80
	s_movk_i32 s11, 0x120
	;; [unrolled: 1-line block ×3, first 2 shown]
	s_mul_u64 s[20:21], s[20:21], s[28:29]
	v_mad_u32_u24 v35, 0xa0, v1, v7
	v_dual_ashrrev_i32 v9, 31, v8 :: v_dual_ashrrev_i32 v11, 31, v10
	v_mul_u32_u24_e32 v36, 0xa0, v23
	v_mad_u32_u24 v37, 0xa0, v3, s5
	v_mad_u32_u24 v38, v2, s11, 0x14e0
	v_dual_ashrrev_i32 v15, 31, v14 :: v_dual_ashrrev_i32 v17, 31, v16
	v_mad_u32_u24 v41, v3, s3, 0x80
	v_mad_u32_u24 v42, 0x90, v1, v7
	v_dual_mov_b32 v0, 0xfeffffff :: v_dual_add_nc_u32 v43, v40, v22
	v_dual_lshlrev_b32 v12, 2, v6 :: v_dual_mov_b32 v28, 32
	v_dual_mov_b32 v27, v13 :: v_dual_bitop2_b32 v33, 16, v5 bitop3:0x14
	v_dual_mov_b32 v26, v13 :: v_dual_bitop2_b32 v32, 8, v5 bitop3:0x14
	;; [unrolled: 1-line block ×5, first 2 shown]
	v_mov_b32_e32 v1, 0xfeffffff
	v_mov_b32_e32 v7, v13
	s_ashr_i32 s37, s36, 31
	s_add_nc_u64 s[8:9], s[8:9], s[20:21]
	s_ashr_i32 s25, s24, 31
	s_add_nc_u64 s[6:7], s[6:7], s[36:37]
	s_add_nc_u64 s[8:9], s[8:9], s[24:25]
	s_ashr_i32 s15, s14, 31
	s_ashr_i32 s11, s10, 31
	s_add_nc_u64 s[20:21], s[0:1], 0xd0
	v_cmp_gt_u32_e32 vcc_lo, 32, v3
.LBB24_11:                              ; =>This Inner Loop Header: Depth=1
	s_ashr_i32 s5, s4, 31
	s_delay_alu instid0(SALU_CYCLE_1) | instskip(NEXT) | instid1(SALU_CYCLE_1)
	s_mul_u64 s[24:25], s[4:5], s[14:15]
	s_lshl_b64 s[24:25], s[24:25], 2
	s_delay_alu instid0(SALU_CYCLE_1)
	s_add_nc_u64 s[24:25], s[6:7], s[24:25]
	s_and_saveexec_b32 s3, vcc_lo
	s_cbranch_execz .LBB24_13
; %bb.12:                               ;   in Loop: Header=BB24_11 Depth=1
	v_lshl_add_u64 v[2:3], v[10:11], 2, s[24:25]
	global_load_b128 v[18:21], v[2:3], off offset:128
	s_wait_loadcnt 0x0
	ds_store_b128 v37, v[18:21]
.LBB24_13:                              ;   in Loop: Header=BB24_11 Depth=1
	s_or_b32 exec_lo, exec_lo, s3
	v_lshl_add_u64 v[2:3], v[8:9], 2, s[24:25]
	v_cmp_gt_i32_e64 s3, 32, v33
	s_mul_u64 s[24:25], s[4:5], s[10:11]
	v_mov_b32_e32 v45, 0
	s_lshl_b64 s[24:25], s[24:25], 2
	v_add_nc_u64_e32 v[2:3], v[2:3], v[12:13]
	s_add_nc_u64 s[24:25], s[8:9], s[24:25]
	global_load_b128 v[18:21], v[2:3], off
	s_wait_xcnt 0x0
	v_dual_mov_b32 v3, 0 :: v_dual_add_nc_u32 v2, s4, v39
	s_wait_loadcnt 0x0
	ds_store_b128 v35, v[18:21]
	s_wait_dscnt 0x0
	s_barrier_signal -1
	s_barrier_wait -1
	ds_load_b128 v[18:21], v36
	ds_load_b128 v[46:49], v38
	ds_load_b128 v[50:53], v38 offset:144
	s_wait_dscnt 0x1
	;;#ASMSTART
	v_dot2_f32_f16 v3, v18, v46, v3
	;;#ASMEND
	;;#ASMSTART
	v_dot2_f32_f16 v3, v19, v47, v3
	;;#ASMEND
	;;#ASMSTART
	v_dot2_f32_f16 v3, v20, v48, v3
	;;#ASMEND
	;;#ASMSTART
	v_dot2_f32_f16 v3, v21, v49, v3
	;;#ASMEND
	s_wait_dscnt 0x0
	;;#ASMSTART
	v_dot2_f32_f16 v45, v18, v50, v45
	;;#ASMEND
	;;#ASMSTART
	v_dot2_f32_f16 v45, v19, v51, v45
	;;#ASMEND
	;;#ASMSTART
	v_dot2_f32_f16 v45, v20, v52, v45
	;;#ASMEND
	;;#ASMSTART
	v_dot2_f32_f16 v45, v21, v53, v45
	;;#ASMEND
	ds_load_b128 v[18:21], v36 offset:16
	ds_load_b128 v[46:49], v38 offset:16
	ds_load_b128 v[50:53], v38 offset:160
	s_wait_dscnt 0x1
	;;#ASMSTART
	v_dot2_f32_f16 v3, v18, v46, v3
	;;#ASMEND
	;;#ASMSTART
	v_dot2_f32_f16 v3, v19, v47, v3
	;;#ASMEND
	;;#ASMSTART
	v_dot2_f32_f16 v3, v20, v48, v3
	;;#ASMEND
	;;#ASMSTART
	v_dot2_f32_f16 v3, v21, v49, v3
	;;#ASMEND
	s_wait_dscnt 0x0
	;;#ASMSTART
	v_dot2_f32_f16 v45, v18, v50, v45
	;;#ASMEND
	;;#ASMSTART
	v_dot2_f32_f16 v45, v19, v51, v45
	;;#ASMEND
	;;#ASMSTART
	v_dot2_f32_f16 v45, v20, v52, v45
	;;#ASMEND
	;;#ASMSTART
	v_dot2_f32_f16 v45, v21, v53, v45
	;;#ASMEND
	ds_load_b128 v[18:21], v36 offset:32
	ds_load_b128 v[46:49], v38 offset:32
	;; [unrolled: 29-line block ×8, first 2 shown]
	ds_load_b128 v[50:53], v38 offset:272
	s_wait_dscnt 0x1
	;;#ASMSTART
	v_dot2_f32_f16 v3, v18, v46, v3
	;;#ASMEND
	;;#ASMSTART
	v_dot2_f32_f16 v3, v19, v47, v3
	;;#ASMEND
	;; [unrolled: 3-line block ×4, first 2 shown]
	s_wait_dscnt 0x0
	;;#ASMSTART
	v_dot2_f32_f16 v45, v18, v50, v45
	;;#ASMEND
	;;#ASMSTART
	v_dot2_f32_f16 v45, v19, v51, v45
	;;#ASMEND
	;;#ASMSTART
	v_dot2_f32_f16 v45, v20, v52, v45
	;;#ASMEND
	;;#ASMSTART
	v_dot2_f32_f16 v45, v21, v53, v45
	;;#ASMEND
	v_cndmask_b32_e64 v18, v5, v33, s3
	global_load_u16 v2, v2, s[34:35] scale_offset
	v_max_num_f32_e32 v21, v1, v1
	v_cmp_gt_i32_e64 s3, 32, v32
	s_wait_loadcnt 0x0
	v_lshlrev_b32_e32 v18, 2, v18
	s_barrier_signal -1
	s_barrier_wait -1
	s_wait_xcnt 0x0
	v_cvt_f32_f16_e32 v2, v2
	s_delay_alu instid0(VALU_DEP_1) | instskip(NEXT) | instid1(VALU_DEP_1)
	v_dual_add_f32 v3, v3, v2 :: v_dual_add_f32 v2, v45, v2
	v_dual_max_num_f32 v19, v0, v0 :: v_dual_add_f32 v20, 0x40051340, v3
	s_delay_alu instid0(VALU_DEP_2) | instskip(NEXT) | instid1(VALU_DEP_1)
	v_add_f32_e32 v45, 0x40051340, v2
	v_dual_max_num_f32 v19, v19, v20 :: v_dual_max_num_f32 v20, v21, v45
	ds_bpermute_b32 v21, v18, v19
	ds_bpermute_b32 v18, v18, v20
	v_cndmask_b32_e64 v45, v5, v32, s3
	v_cmp_gt_i32_e64 s3, 32, v31
	s_wait_dscnt 0x0
	v_dual_max_num_f32 v18, v18, v18 :: v_dual_max_num_f32 v21, v21, v21
	s_delay_alu instid0(VALU_DEP_1) | instskip(SKIP_4) | instid1(VALU_DEP_1)
	v_dual_max_num_f32 v18, v20, v18 :: v_dual_max_num_f32 v19, v19, v21
	v_lshlrev_b32_e32 v45, 2, v45
	ds_bpermute_b32 v20, v45, v19
	s_wait_dscnt 0x0
	v_max_num_f32_e32 v20, v20, v20
	v_max_num_f32_e32 v19, v19, v20
	ds_bpermute_b32 v21, v45, v18
	v_cndmask_b32_e64 v45, v5, v31, s3
	v_cmp_gt_i32_e64 s3, 32, v30
	s_delay_alu instid0(VALU_DEP_2) | instskip(SKIP_3) | instid1(VALU_DEP_1)
	v_lshlrev_b32_e32 v45, 2, v45
	ds_bpermute_b32 v20, v45, v19
	s_wait_dscnt 0x0
	v_dual_max_num_f32 v21, v21, v21 :: v_dual_max_num_f32 v20, v20, v20
	v_dual_max_num_f32 v18, v18, v21 :: v_dual_max_num_f32 v19, v19, v20
	ds_bpermute_b32 v21, v45, v18
	v_cndmask_b32_e64 v45, v5, v30, s3
	v_cmp_gt_i32_e64 s3, 32, v29
	s_delay_alu instid0(VALU_DEP_2) | instskip(SKIP_3) | instid1(VALU_DEP_1)
	v_lshlrev_b32_e32 v45, 2, v45
	ds_bpermute_b32 v20, v45, v19
	s_wait_dscnt 0x0
	v_dual_max_num_f32 v21, v21, v21 :: v_dual_max_num_f32 v20, v20, v20
	v_dual_max_num_f32 v18, v18, v21 :: v_dual_max_num_f32 v19, v19, v20
	ds_bpermute_b32 v21, v45, v18
	v_cndmask_b32_e64 v45, v5, v29, s3
	s_delay_alu instid0(VALU_DEP_1) | instskip(SKIP_2) | instid1(VALU_DEP_1)
	v_lshlrev_b32_e32 v45, 2, v45
	s_wait_dscnt 0x0
	v_max_num_f32_e32 v21, v21, v21
	v_max_num_f32_e32 v20, v18, v21
	ds_bpermute_b32 v18, v45, v19
	s_wait_dscnt 0x0
	v_max_num_f32_e32 v18, v18, v18
	s_delay_alu instid0(VALU_DEP_1) | instskip(SKIP_2) | instid1(VALU_DEP_1)
	v_max_num_f32_e32 v18, v19, v18
	ds_bpermute_b32 v21, v45, v20
	v_sub_f32_e32 v3, v3, v18
	v_cmp_ngt_f32_e64 s3, 0xc2ce8ed0, v3
	s_wait_dscnt 0x0
	v_max_num_f32_e32 v21, v21, v21
	s_delay_alu instid0(VALU_DEP_1) | instskip(NEXT) | instid1(VALU_DEP_1)
	v_dual_max_num_f32 v19, v20, v21 :: v_dual_mul_f32 v20, 0x3fb8aa3b, v3
	v_rndne_f32_e32 v46, v20
	s_delay_alu instid0(VALU_DEP_2) | instskip(SKIP_1) | instid1(VALU_DEP_3)
	v_sub_f32_e32 v2, v2, v19
	v_fma_f32 v45, 0x3fb8aa3b, v3, -v20
	v_sub_f32_e32 v20, v20, v46
	s_delay_alu instid0(VALU_DEP_3) | instskip(NEXT) | instid1(VALU_DEP_3)
	v_mul_f32_e32 v21, 0x3fb8aa3b, v2
	v_fmac_f32_e32 v45, 0x32a5705f, v3
	s_delay_alu instid0(VALU_DEP_2) | instskip(NEXT) | instid1(VALU_DEP_2)
	v_fma_f32 v47, 0x3fb8aa3b, v2, -v21
	v_add_f32_e32 v20, v20, v45
	v_rndne_f32_e32 v48, v21
	v_cvt_i32_f32_e32 v45, v46
	s_delay_alu instid0(VALU_DEP_4) | instskip(NEXT) | instid1(VALU_DEP_4)
	v_fmac_f32_e32 v47, 0x32a5705f, v2
	v_exp_f32_e32 v20, v20
	s_delay_alu instid0(VALU_DEP_3) | instskip(SKIP_1) | instid1(TRANS32_DEP_1)
	v_sub_f32_e32 v21, v21, v48
	v_cvt_i32_f32_e32 v46, v48
	v_ldexp_f32 v20, v20, v45
	s_delay_alu instid0(VALU_DEP_1) | instskip(NEXT) | instid1(VALU_DEP_1)
	v_dual_add_f32 v21, v21, v47 :: v_dual_cndmask_b32 v20, 0, v20, s3
	v_exp_f32_e32 v21, v21
	v_cmp_ngt_f32_e64 s3, 0xc2ce8ed0, v2
	s_delay_alu instid0(TRANS32_DEP_1) | instskip(NEXT) | instid1(VALU_DEP_1)
	v_ldexp_f32 v21, v21, v46
	v_cndmask_b32_e64 v21, 0, v21, s3
	v_cmp_nlt_f32_e64 s3, 0x42b17218, v3
	s_delay_alu instid0(VALU_DEP_1) | instskip(SKIP_1) | instid1(VALU_DEP_1)
	v_cndmask_b32_e64 v20, 0x7f800000, v20, s3
	v_cmp_nlt_f32_e64 s3, 0x42b17218, v2
	v_cndmask_b32_e64 v21, 0x7f800000, v21, s3
	s_delay_alu instid0(VALU_DEP_1)
	v_cvt_pk_f16_f32 v2, v20, v21
	ds_store_b32 v43, v2
	s_and_saveexec_b32 s3, vcc_lo
	s_cbranch_execz .LBB24_15
; %bb.14:                               ;   in Loop: Header=BB24_11 Depth=1
	v_lshl_add_u64 v[2:3], v[14:15], 2, s[24:25]
	global_load_b128 v[46:49], v[2:3], off offset:128
	s_wait_loadcnt 0x0
	ds_store_b128 v41, v[46:49]
.LBB24_15:                              ;   in Loop: Header=BB24_11 Depth=1
	s_or_b32 exec_lo, exec_lo, s3
	v_lshl_add_u64 v[2:3], v[16:17], 2, s[24:25]
	v_dual_sub_f32 v0, v0, v18 :: v_dual_sub_f32 v1, v1, v19
	v_add_nc_u32_e32 v82, 0x400, v25
	v_add_nc_u32_e32 v83, 0x800, v25
	s_delay_alu instid0(VALU_DEP_4) | instskip(NEXT) | instid1(VALU_DEP_4)
	v_add_nc_u64_e32 v[2:3], v[2:3], v[12:13]
	v_cmp_ngt_f32_e64 s3, 0xc2ce8ed0, v0
	v_add_nc_u32_e32 v84, 0xc00, v25
	v_add_nc_u32_e32 v85, 0x1000, v25
	global_load_b128 v[46:49], v[2:3], off
	s_wait_xcnt 0x0
	v_dual_mul_f32 v2, 0x3fb8aa3b, v0 :: v_dual_mul_f32 v3, 0x3fb8aa3b, v1
	s_delay_alu instid0(VALU_DEP_1) | instskip(SKIP_1) | instid1(VALU_DEP_3)
	v_fma_f32 v45, 0x3fb8aa3b, v0, -v2
	v_rndne_f32_e32 v50, v2
	v_rndne_f32_e32 v52, v3
	v_fma_f32 v51, 0x3fb8aa3b, v1, -v3
	s_delay_alu instid0(VALU_DEP_3) | instskip(NEXT) | instid1(VALU_DEP_3)
	v_dual_fmac_f32 v45, 0x32a5705f, v0 :: v_dual_sub_f32 v2, v2, v50
	v_sub_f32_e32 v3, v3, v52
	s_delay_alu instid0(VALU_DEP_3) | instskip(NEXT) | instid1(VALU_DEP_3)
	v_fmac_f32_e32 v51, 0x32a5705f, v1
	v_add_f32_e32 v2, v2, v45
	v_cvt_i32_f32_e32 v45, v50
	v_cvt_i32_f32_e32 v50, v52
	s_delay_alu instid0(VALU_DEP_3) | instskip(SKIP_1) | instid1(TRANS32_DEP_1)
	v_exp_f32_e32 v2, v2
	v_nop
	v_ldexp_f32 v2, v2, v45
	s_delay_alu instid0(VALU_DEP_1) | instskip(NEXT) | instid1(VALU_DEP_1)
	v_dual_add_f32 v3, v3, v51 :: v_dual_cndmask_b32 v2, 0, v2, s3
	v_exp_f32_e32 v3, v3
	v_cmp_ngt_f32_e64 s3, 0xc2ce8ed0, v1
	s_delay_alu instid0(TRANS32_DEP_1) | instskip(NEXT) | instid1(VALU_DEP_1)
	v_ldexp_f32 v3, v3, v50
	v_cndmask_b32_e64 v3, 0, v3, s3
	v_cmp_nlt_f32_e64 s3, 0x42b17218, v0
	s_delay_alu instid0(VALU_DEP_1) | instskip(SKIP_1) | instid1(VALU_DEP_2)
	v_cndmask_b32_e64 v50, 0x7f800000, v2, s3
	v_cmp_nlt_f32_e64 s3, 0x42b17218, v1
	v_cvt_f16_f32_e32 v45, v50
	s_delay_alu instid0(VALU_DEP_2) | instskip(NEXT) | instid1(VALU_DEP_2)
	v_cndmask_b32_e64 v51, 0x7f800000, v3, s3
	v_and_b32_e32 v45, 0xffff, v45
	s_delay_alu instid0(VALU_DEP_2) | instskip(SKIP_1) | instid1(VALU_DEP_3)
	v_cvt_f16_f32_e32 v52, v51
	v_pk_fma_f32 v[6:7], v[6:7], v[50:51], v[20:21]
	v_mul_u32_u24_e32 v45, 0x10001, v45
	s_delay_alu instid0(VALU_DEP_3) | instskip(NEXT) | instid1(VALU_DEP_2)
	v_and_b32_e32 v52, 0xffff, v52
	v_pk_mul_f16 v21, v44, v45
	s_delay_alu instid0(VALU_DEP_2) | instskip(NEXT) | instid1(VALU_DEP_1)
	v_mul_u32_u24_e32 v20, 0x10001, v52
	v_pk_mul_f16 v27, v27, v20
	s_wait_loadcnt 0x0
	ds_store_b128 v42, v[46:49]
	s_wait_dscnt 0x0
	s_barrier_signal -1
	s_barrier_wait -1
	ds_load_b128 v[0:3], v40
	ds_load_b128 v[46:49], v40 offset:16
	ds_load_2addr_b64 v[50:53], v25 offset1:18
	ds_load_b128 v[54:57], v40 offset:32
	ds_load_b128 v[58:61], v40 offset:48
	ds_load_2addr_b64 v[62:65], v25 offset0:36 offset1:54
	ds_load_b128 v[66:69], v40 offset:64
	ds_load_b128 v[70:73], v40 offset:80
	ds_load_b128 v[74:77], v40 offset:96
	ds_load_b128 v[78:81], v40 offset:112
	s_wait_dscnt 0x6
	v_dual_lshrrev_b32 v100, 16, v54 :: v_dual_lshrrev_b32 v102, 16, v55
	s_wait_dscnt 0x5
	v_dual_lshrrev_b32 v112, 16, v60 :: v_dual_lshrrev_b32 v114, 16, v61
	v_and_b32_e32 v44, 0xffff, v0
	v_lshrrev_b32_e32 v0, 16, v0
	v_and_b32_e32 v86, 0xffff, v1
	v_dual_lshrrev_b32 v87, 16, v1 :: v_dual_lshrrev_b32 v93, 16, v46
	v_lshrrev_b32_e32 v95, 16, v47
	v_mul_u32_u24_e32 v1, 0x10001, v44
	v_mul_u32_u24_e32 v44, 0x10001, v0
	v_and_b32_e32 v94, 0xffff, v47
	v_and_b32_e32 v88, 0xffff, v2
	v_dual_lshrrev_b32 v89, 16, v2 :: v_dual_lshrrev_b32 v90, 16, v3
	v_pk_mul_f16 v0, v50, v1
	v_pk_mul_f16 v47, v50, v44
	v_and_b32_e32 v91, 0xffff, v3
	v_and_b32_e32 v92, 0xffff, v46
	;; [unrolled: 1-line block ×3, first 2 shown]
	v_dual_lshrrev_b32 v97, 16, v48 :: v_dual_lshrrev_b32 v98, 16, v49
	v_mul_u32_u24_e32 v46, 0x10001, v86
	v_pk_fma_f16 v21, v51, v1, v21
	v_pk_fma_f16 v34, v34, v45, v0
	ds_load_2addr_b64 v[0:3], v25 offset0:72 offset1:90
	v_mul_u32_u24_e32 v48, 0x10001, v87
	v_pk_fma_f16 v27, v51, v44, v27
	v_pk_fma_f16 v20, v26, v20, v47
	;; [unrolled: 1-line block ×4, first 2 shown]
	v_mul_u32_u24_e32 v34, 0x10001, v88
	v_pk_fma_f16 v27, v53, v48, v27
	v_pk_fma_f16 v20, v52, v48, v20
	v_mul_u32_u24_e32 v52, 0x10001, v89
	ds_load_2addr_b64 v[44:47], v25 offset0:108 offset1:126
	v_mul_u32_u24_e32 v53, 0x10001, v91
	s_wait_dscnt 0x6
	v_pk_fma_f16 v21, v63, v34, v21
	v_pk_fma_f16 v26, v62, v34, v26
	v_mul_u32_u24_e32 v34, 0x10001, v90
	v_pk_fma_f16 v27, v63, v52, v27
	v_pk_fma_f16 v20, v62, v52, v20
	v_and_b32_e32 v113, 0xffff, v60
	v_and_b32_e32 v115, 0xffff, v61
	v_pk_fma_f16 v21, v65, v53, v21
	v_pk_fma_f16 v26, v64, v53, v26
	v_mul_u32_u24_e32 v60, 0x10001, v92
	v_mul_u32_u24_e32 v61, 0x10001, v93
	v_pk_fma_f16 v27, v65, v34, v27
	v_pk_fma_f16 v20, v64, v34, v20
	v_and_b32_e32 v99, 0xffff, v49
	ds_load_2addr_b64 v[48:51], v25 offset0:144 offset1:162
	v_mul_u32_u24_e32 v34, 0x10001, v94
	v_mul_u32_u24_e32 v64, 0x10001, v95
	s_wait_dscnt 0x2
	v_pk_fma_f16 v21, v1, v60, v21
	v_pk_fma_f16 v1, v1, v61, v27
	;; [unrolled: 1-line block ×4, first 2 shown]
	v_mul_u32_u24_e32 v20, 0x10001, v96
	v_mul_u32_u24_e32 v27, 0x10001, v97
	v_pk_fma_f16 v21, v3, v34, v21
	v_pk_fma_f16 v65, v3, v64, v1
	;; [unrolled: 1-line block ×4, first 2 shown]
	v_and_b32_e32 v101, 0xffff, v54
	v_and_b32_e32 v103, 0xffff, v55
	v_dual_lshrrev_b32 v120, 16, v68 :: v_dual_lshrrev_b32 v122, 16, v69
	v_and_b32_e32 v121, 0xffff, v68
	v_and_b32_e32 v123, 0xffff, v69
	ds_load_2addr_b64 v[52:55], v25 offset0:180 offset1:198
	v_mul_u32_u24_e32 v68, 0x10001, v99
	v_mul_u32_u24_e32 v69, 0x10001, v98
	s_wait_dscnt 0x2
	v_pk_fma_f16 v21, v45, v20, v21
	v_pk_fma_f16 v45, v45, v27, v65
	;; [unrolled: 1-line block ×4, first 2 shown]
	v_dual_lshrrev_b32 v124, 16, v70 :: v_dual_lshrrev_b32 v126, 16, v71
	v_and_b32_e32 v125, 0xffff, v70
	v_mul_u32_u24_e32 v27, 0x10001, v101
	v_mul_u32_u24_e32 v34, 0x10001, v100
	v_pk_fma_f16 v21, v47, v68, v21
	v_pk_fma_f16 v70, v47, v69, v45
	;; [unrolled: 1-line block ×4, first 2 shown]
	v_dual_lshrrev_b32 v104, 16, v56 :: v_dual_lshrrev_b32 v106, 16, v57
	v_and_b32_e32 v105, 0xffff, v56
	v_and_b32_e32 v107, 0xffff, v57
	v_dual_lshrrev_b32 v108, 16, v58 :: v_dual_lshrrev_b32 v110, 16, v59
	v_and_b32_e32 v109, 0xffff, v58
	v_and_b32_e32 v111, 0xffff, v59
	;; [unrolled: 3-line block ×3, first 2 shown]
	ds_load_2addr_b64 v[56:59], v25 offset0:216 offset1:234
	v_mul_u32_u24_e32 v72, 0x10001, v103
	v_mul_u32_u24_e32 v73, 0x10001, v102
	s_wait_dscnt 0x2
	v_pk_fma_f16 v21, v49, v27, v21
	v_pk_fma_f16 v49, v49, v34, v70
	;; [unrolled: 1-line block ×4, first 2 shown]
	v_dual_lshrrev_b32 v136, 16, v76 :: v_dual_lshrrev_b32 v138, 16, v77
	v_and_b32_e32 v137, 0xffff, v76
	v_mul_u32_u24_e32 v27, 0x10001, v105
	v_pk_fma_f16 v21, v51, v72, v21
	v_pk_fma_f16 v34, v51, v73, v49
	;; [unrolled: 1-line block ×4, first 2 shown]
	v_mul_u32_u24_e32 v76, 0x10001, v104
	v_and_b32_e32 v139, 0xffff, v77
	ds_load_2addr_b64 v[60:63], v82 offset0:124 offset1:142
	s_wait_dscnt 0x2
	v_pk_fma_f16 v21, v53, v27, v21
	v_pk_fma_f16 v20, v52, v27, v20
	v_mul_u32_u24_e32 v27, 0x10001, v107
	v_mul_u32_u24_e32 v77, 0x10001, v106
	v_pk_fma_f16 v34, v53, v76, v34
	v_pk_fma_f16 v26, v52, v76, v26
	v_mul_u32_u24_e32 v52, 0x10001, v109
	v_pk_fma_f16 v21, v55, v27, v21
	v_pk_fma_f16 v20, v54, v27, v20
	;; [unrolled: 1-line block ×4, first 2 shown]
	v_mul_u32_u24_e32 v76, 0x10001, v108
	ds_load_2addr_b64 v[0:3], v83 offset0:32 offset1:50
	v_mul_u32_u24_e32 v77, 0x10001, v111
	s_wait_dscnt 0x2
	v_pk_fma_f16 v21, v57, v52, v21
	v_pk_fma_f16 v20, v56, v52, v20
	;; [unrolled: 1-line block ×4, first 2 shown]
	v_mul_u32_u24_e32 v56, 0x10001, v110
	ds_load_2addr_b64 v[52:55], v84 offset0:120 offset1:138
	v_pk_fma_f16 v21, v59, v77, v21
	v_pk_fma_f16 v20, v58, v77, v20
	v_mul_u32_u24_e32 v57, 0x10001, v113
	v_mul_u32_u24_e32 v84, 0x10001, v112
	v_pk_fma_f16 v34, v59, v56, v34
	v_pk_fma_f16 v26, v58, v56, v26
	v_dual_lshrrev_b32 v116, 16, v66 :: v_dual_lshrrev_b32 v118, 16, v67
	v_and_b32_e32 v117, 0xffff, v66
	v_and_b32_e32 v119, 0xffff, v67
	;; [unrolled: 1-line block ×3, first 2 shown]
	v_dual_lshrrev_b32 v132, 16, v74 :: v_dual_lshrrev_b32 v134, 16, v75
	v_and_b32_e32 v133, 0xffff, v74
	v_and_b32_e32 v135, 0xffff, v75
	ds_load_2addr_b64 v[64:67], v83 offset0:68 offset1:86
	ds_load_2addr_b64 v[44:47], v83 offset0:104 offset1:122
	;; [unrolled: 1-line block ×5, first 2 shown]
	v_dual_lshrrev_b32 v82, 16, v78 :: v_dual_lshrrev_b32 v83, 16, v79
	v_and_b32_e32 v27, 0xffff, v78
	v_and_b32_e32 v86, 0xffff, v79
	ds_load_2addr_b64 v[76:79], v85 offset0:28 offset1:46
	v_mul_u32_u24_e32 v85, 0x10001, v115
	v_mul_u32_u24_e32 v89, 0x10001, v114
	s_wait_dscnt 0x8
	v_pk_fma_f16 v21, v61, v57, v21
	v_pk_fma_f16 v34, v61, v84, v34
	v_pk_fma_f16 v20, v60, v57, v20
	v_pk_fma_f16 v26, v60, v84, v26
	v_mul_u32_u24_e32 v90, 0x10001, v117
	v_mul_u32_u24_e32 v91, 0x10001, v116
	v_pk_fma_f16 v21, v63, v85, v21
	v_pk_fma_f16 v34, v63, v89, v34
	v_pk_fma_f16 v20, v62, v85, v20
	v_pk_fma_f16 v26, v62, v89, v26
	v_mul_u32_u24_e32 v92, 0x10001, v119
	v_mul_u32_u24_e32 v93, 0x10001, v118
	s_wait_dscnt 0x7
	v_pk_fma_f16 v21, v1, v90, v21
	v_pk_fma_f16 v1, v1, v91, v34
	v_pk_fma_f16 v20, v0, v90, v20
	v_pk_fma_f16 v0, v0, v91, v26
	v_mul_u32_u24_e32 v94, 0x10001, v121
	v_mul_u32_u24_e32 v95, 0x10001, v120
	v_pk_fma_f16 v21, v3, v92, v21
	v_pk_fma_f16 v1, v3, v93, v1
	v_pk_fma_f16 v3, v2, v92, v20
	v_pk_fma_f16 v0, v2, v93, v0
	;; [unrolled: 13-line block ×6, first 2 shown]
	v_mul_u32_u24_e32 v44, 0x10001, v139
	v_mul_u32_u24_e32 v45, 0x10001, v138
	s_wait_dscnt 0x1
	v_pk_fma_f16 v20, v73, v21, v20
	v_pk_fma_f16 v1, v73, v34, v1
	;; [unrolled: 1-line block ×4, first 2 shown]
	s_wait_dscnt 0x0
	s_barrier_signal -1
	s_barrier_wait -1
	s_load_b32 s3, s[20:21], 0x4
	v_mul_u32_u24_e32 v27, 0x10001, v27
	v_mul_u32_u24_e32 v46, 0x10001, v82
	v_pk_fma_f16 v20, v75, v44, v20
	v_pk_fma_f16 v1, v75, v45, v1
	;; [unrolled: 1-line block ×4, first 2 shown]
	v_dual_lshrrev_b32 v87, 16, v80 :: v_dual_lshrrev_b32 v88, 16, v81
	v_and_b32_e32 v80, 0xffff, v80
	v_mul_u32_u24_e32 v47, 0x10001, v86
	v_mul_u32_u24_e32 v2, 0x10001, v83
	v_pk_fma_f16 v20, v53, v27, v20
	v_pk_fma_f16 v1, v53, v46, v1
	;; [unrolled: 1-line block ×4, first 2 shown]
	v_and_b32_e32 v81, 0xffff, v81
	v_mul_u32_u24_e32 v21, 0x10001, v80
	v_mul_u32_u24_e32 v26, 0x10001, v87
	v_pk_fma_f16 v20, v55, v47, v20
	v_pk_fma_f16 v1, v55, v2, v1
	;; [unrolled: 1-line block ×4, first 2 shown]
	v_mul_u32_u24_e32 v34, 0x10001, v81
	v_mul_u32_u24_e32 v2, 0x10001, v88
	v_pk_fma_f16 v20, v77, v21, v20
	v_pk_fma_f16 v1, v77, v26, v1
	;; [unrolled: 1-line block ×4, first 2 shown]
	s_wait_kmcnt 0x0
	s_lshl_b32 s3, s3, 5
	v_pk_fma_f16 v44, v79, v34, v20
	v_pk_fma_f16 v27, v79, v2, v1
	;; [unrolled: 1-line block ×4, first 2 shown]
	s_add_co_i32 s4, s3, s4
	s_delay_alu instid0(SALU_CYCLE_1)
	s_cmp_ge_i32 s4, s30
	s_cbranch_scc1 .LBB24_17
; %bb.16:                               ;   in Loop: Header=BB24_11 Depth=1
	v_dual_mov_b32 v0, v18 :: v_dual_mov_b32 v1, v19
	s_branch .LBB24_11
.LBB24_17:
	v_mov_b32_e32 v1, v5
.LBB24_18:
	v_cmp_lt_i32_e32 vcc_lo, v33, v28
	s_cmp_lg_u64 s[12:13], 0
	s_cselect_b32 s3, -1, 0
	s_cmp_eq_u32 s33, 0
	v_cndmask_b32_e32 v0, v1, v33, vcc_lo
	v_cmp_lt_i32_e32 vcc_lo, v32, v28
	s_cselect_b32 s4, -1, 0
	s_delay_alu instid0(SALU_CYCLE_1) | instskip(NEXT) | instid1(VALU_DEP_2)
	s_and_b32 s3, s4, s3
	v_lshlrev_b32_e32 v0, 2, v0
	ds_bpermute_b32 v2, v0, v6
	ds_bpermute_b32 v3, v0, v7
	v_cndmask_b32_e32 v0, v1, v32, vcc_lo
	v_cmp_lt_i32_e32 vcc_lo, v31, v28
	s_delay_alu instid0(VALU_DEP_2)
	v_lshlrev_b32_e32 v0, 2, v0
	s_wait_dscnt 0x0
	v_pk_add_f32 v[2:3], v[6:7], v[2:3]
	ds_bpermute_b32 v6, v0, v2
	ds_bpermute_b32 v7, v0, v3
	v_cndmask_b32_e32 v0, v1, v31, vcc_lo
	v_cmp_lt_i32_e32 vcc_lo, v30, v28
	s_delay_alu instid0(VALU_DEP_2)
	v_lshlrev_b32_e32 v0, 2, v0
	s_wait_dscnt 0x0
	v_pk_add_f32 v[2:3], v[2:3], v[6:7]
	;; [unrolled: 8-line block ×3, first 2 shown]
	ds_bpermute_b32 v6, v0, v2
	ds_bpermute_b32 v7, v0, v3
	v_cndmask_b32_e32 v0, v1, v29, vcc_lo
	s_and_b32 vcc_lo, exec_lo, s3
	s_delay_alu instid0(VALU_DEP_1)
	v_lshlrev_b32_e32 v5, 2, v0
	s_wait_dscnt 0x0
	v_pk_add_f32 v[0:1], v[2:3], v[6:7]
	ds_bpermute_b32 v2, v5, v0
	ds_bpermute_b32 v3, v5, v1
	s_wait_dscnt 0x0
	v_pk_add_f32 v[0:1], v[0:1], v[2:3]
	s_cbranch_vccz .LBB24_20
; %bb.19:
	v_dual_max_num_f32 v5, v18, v18 :: v_dual_add_nc_u32 v2, s31, v4
	s_delay_alu instid0(VALU_DEP_1) | instskip(NEXT) | instid1(VALU_DEP_1)
	v_ashrrev_i32_e32 v3, 31, v2
	v_lshl_add_u64 v[2:3], v[2:3], 2, s[12:13]
	global_load_b64 v[2:3], v[2:3], off
	s_wait_loadcnt 0x0
	v_dual_max_num_f32 v6, v2, v2 :: v_dual_max_num_f32 v7, v19, v19
	s_delay_alu instid0(VALU_DEP_1) | instskip(NEXT) | instid1(VALU_DEP_1)
	v_dual_max_num_f32 v6, v5, v6 :: v_dual_max_num_f32 v8, v3, v3
	v_dual_sub_f32 v5, v18, v6 :: v_dual_max_num_f32 v7, v7, v8
	v_sub_f32_e32 v8, v2, v6
	s_delay_alu instid0(VALU_DEP_2) | instskip(NEXT) | instid1(VALU_DEP_2)
	v_dual_mul_f32 v2, 0x3fb8aa3b, v5 :: v_dual_sub_f32 v9, v19, v7
	v_dual_sub_f32 v10, v3, v7 :: v_dual_mul_f32 v3, 0x3fb8aa3b, v8
	v_cmp_ngt_f32_e32 vcc_lo, 0xc2ce8ed0, v5
	s_delay_alu instid0(VALU_DEP_3) | instskip(NEXT) | instid1(VALU_DEP_3)
	v_fma_f32 v13, 0x3fb8aa3b, v5, -v2
	v_dual_mul_f32 v11, 0x3fb8aa3b, v9 :: v_dual_mul_f32 v12, 0x3fb8aa3b, v10
	v_rndne_f32_e32 v14, v2
	v_rndne_f32_e32 v16, v3
	s_delay_alu instid0(VALU_DEP_4) | instskip(NEXT) | instid1(VALU_DEP_4)
	v_fmac_f32_e32 v13, 0x32a5705f, v5
	v_rndne_f32_e32 v18, v11
	v_fma_f32 v17, 0x3fb8aa3b, v9, -v11
	v_sub_f32_e32 v2, v2, v14
	v_cvt_i32_f32_e32 v14, v14
	v_rndne_f32_e32 v20, v12
	v_sub_f32_e32 v11, v11, v18
	v_fmac_f32_e32 v17, 0x32a5705f, v9
	v_add_f32_e32 v2, v2, v13
	v_fma_f32 v15, 0x3fb8aa3b, v8, -v3
	v_fma_f32 v19, 0x3fb8aa3b, v10, -v12
	v_sub_f32_e32 v12, v12, v20
	v_cvt_i32_f32_e32 v13, v16
	v_exp_f32_e32 v2, v2
	s_delay_alu instid0(VALU_DEP_3) | instskip(NEXT) | instid1(VALU_DEP_1)
	v_fmac_f32_e32 v19, 0x32a5705f, v10
	v_dual_fmac_f32 v15, 0x32a5705f, v8 :: v_dual_add_f32 v12, v12, v19
	s_delay_alu instid0(TRANS32_DEP_1) | instskip(SKIP_2) | instid1(VALU_DEP_4)
	v_ldexp_f32 v2, v2, v14
	v_sub_f32_e32 v3, v3, v16
	v_cvt_i32_f32_e32 v16, v20
	v_exp_f32_e32 v12, v12
	s_delay_alu instid0(VALU_DEP_3) | instskip(NEXT) | instid1(VALU_DEP_3)
	v_dual_cndmask_b32 v2, 0, v2 :: v_dual_add_f32 v11, v11, v17
	v_add_f32_e32 v3, v3, v15
	v_cvt_i32_f32_e32 v15, v18
	v_cmp_ngt_f32_e32 vcc_lo, 0xc2ce8ed0, v9
	v_mov_b64_e32 v[18:19], v[6:7]
	v_exp_f32_e32 v11, v11
	v_exp_f32_e32 v3, v3
	s_delay_alu instid0(TRANS32_DEP_2) | instskip(NEXT) | instid1(VALU_DEP_1)
	v_ldexp_f32 v11, v11, v15
	v_cndmask_b32_e32 v11, 0, v11, vcc_lo
	v_cmp_nlt_f32_e32 vcc_lo, 0x42b17218, v5
	s_delay_alu instid0(TRANS32_DEP_1)
	v_ldexp_f32 v5, v3, v13
	v_cndmask_b32_e32 v2, 0x7f800000, v2, vcc_lo
	v_cmp_nlt_f32_e32 vcc_lo, 0x42b17218, v9
	v_ldexp_f32 v9, v12, v16
	v_cndmask_b32_e32 v3, 0x7f800000, v11, vcc_lo
	v_cmp_ngt_f32_e32 vcc_lo, 0xc2ce8ed0, v8
	v_cvt_f16_f32_e32 v11, v2
	s_delay_alu instid0(VALU_DEP_3) | instskip(SKIP_2) | instid1(VALU_DEP_4)
	v_cvt_f16_f32_e32 v12, v3
	v_cndmask_b32_e32 v5, 0, v5, vcc_lo
	v_cmp_ngt_f32_e32 vcc_lo, 0xc2ce8ed0, v10
	v_and_b32_e32 v11, 0xffff, v11
	v_cndmask_b32_e32 v9, 0, v9, vcc_lo
	v_cmp_nlt_f32_e32 vcc_lo, 0x42b17218, v8
	v_cndmask_b32_e32 v8, 0x7f800000, v5, vcc_lo
	v_and_b32_e32 v5, 0xffff, v12
	v_cmp_nlt_f32_e32 vcc_lo, 0x42b17218, v10
	v_mul_u32_u24_e32 v10, 0x10001, v11
	s_delay_alu instid0(VALU_DEP_3) | instskip(SKIP_1) | instid1(VALU_DEP_3)
	v_mul_u32_u24_e32 v5, 0x10001, v5
	v_cndmask_b32_e32 v9, 0x7f800000, v9, vcc_lo
	v_pk_mul_f16 v34, v34, v10
	v_pk_mul_f16 v44, v44, v10
	s_delay_alu instid0(VALU_DEP_4) | instskip(NEXT) | instid1(VALU_DEP_4)
	v_pk_mul_f16 v26, v26, v5
	v_pk_fma_f32 v[0:1], v[0:1], v[2:3], v[8:9]
	v_pk_mul_f16 v27, v27, v5
.LBB24_20:
	s_mov_b32 s3, exec_lo
	v_cmpx_gt_i32_e64 s22, v24
	s_cbranch_execz .LBB24_30
; %bb.21:
	s_load_b32 s0, s[0:1], 0xd4
	v_mov_b32_e32 v2, 1.0
	s_wait_kmcnt 0x0
	s_cmp_lg_u32 s0, 1
	s_cselect_b32 s3, -1, 0
	s_cmp_eq_u32 s0, 1
	s_cselect_b32 s1, -1, 0
	s_and_b32 vcc_lo, exec_lo, s3
	s_cbranch_vccnz .LBB24_23
; %bb.22:
	v_div_scale_f32 v2, null, v0, v0, 1.0
	s_delay_alu instid0(VALU_DEP_1) | instskip(SKIP_1) | instid1(TRANS32_DEP_1)
	v_rcp_f32_e32 v3, v2
	v_nop
	v_fma_f32 v5, -v2, v3, 1.0
	s_delay_alu instid0(VALU_DEP_1) | instskip(SKIP_1) | instid1(VALU_DEP_1)
	v_fmac_f32_e32 v3, v5, v3
	v_div_scale_f32 v5, vcc_lo, 1.0, v0, 1.0
	v_mul_f32_e32 v6, v5, v3
	s_delay_alu instid0(VALU_DEP_1) | instskip(NEXT) | instid1(VALU_DEP_1)
	v_fma_f32 v7, -v2, v6, v5
	v_fmac_f32_e32 v6, v7, v3
	s_delay_alu instid0(VALU_DEP_1) | instskip(NEXT) | instid1(VALU_DEP_1)
	v_fma_f32 v2, -v2, v6, v5
	v_div_fmas_f32 v2, v2, v3, v6
	s_delay_alu instid0(VALU_DEP_1)
	v_div_fixup_f32 v2, v2, v0, 1.0
.LBB24_23:
	v_mad_u32 v3, s28, s22, v24
	v_add_nc_u32_e32 v4, s31, v4
	s_delay_alu instid0(VALU_DEP_1) | instskip(NEXT) | instid1(VALU_DEP_1)
	v_mad_u32 v3, v3, s23, v4
	v_mul_lo_u32 v3, s0, v3
	s_delay_alu instid0(VALU_DEP_1)
	v_add_nc_u32_e32 v4, s33, v3
	s_and_saveexec_b32 s4, s2
	s_cbranch_execz .LBB24_25
; %bb.24:
	s_delay_alu instid0(VALU_DEP_1) | instskip(SKIP_4) | instid1(VALU_DEP_4)
	v_mad_u32 v8, 0x48, v4, v22
	v_dual_lshrrev_b32 v5, 16, v34 :: v_dual_lshrrev_b32 v11, 16, v44
	v_mov_b32_e32 v9, 0
	v_cvt_f32_f16_e32 v6, v34
	v_cvt_f32_f16_e32 v10, v44
	v_cvt_f32_f16_e32 v7, v5
	v_cvt_f32_f16_e32 v11, v11
	s_delay_alu instid0(VALU_DEP_2) | instskip(SKIP_1) | instid1(VALU_DEP_3)
	v_pk_mul_f32 v[6:7], v[2:3], v[6:7] op_sel_hi:[0,1]
	v_lshl_add_u64 v[12:13], v[8:9], 2, s[16:17]
	v_pk_mul_f32 v[8:9], v[2:3], v[10:11] op_sel_hi:[0,1]
	global_store_b128 v[12:13], v[6:9], off
.LBB24_25:
	s_wait_xcnt 0x0
	s_or_b32 exec_lo, exec_lo, s4
	v_cmp_eq_u32_e32 vcc_lo, 0, v23
	s_and_b32 s3, vcc_lo, s3
	s_delay_alu instid0(SALU_CYCLE_1)
	s_and_saveexec_b32 s4, s3
	s_cbranch_execnz .LBB24_31
; %bb.26:
	s_or_b32 exec_lo, exec_lo, s4
	v_mov_b32_e32 v0, 1.0
	s_and_not1_b32 vcc_lo, exec_lo, s1
	s_cbranch_vccz .LBB24_32
.LBB24_27:
	v_add3_u32 v2, s33, s0, v3
	s_and_saveexec_b32 s0, s2
	s_cbranch_execnz .LBB24_33
.LBB24_28:
	s_or_b32 exec_lo, exec_lo, s0
	s_delay_alu instid0(SALU_CYCLE_1)
	s_and_b32 exec_lo, exec_lo, s3
	s_cbranch_execz .LBB24_30
.LBB24_29:
	v_mov_b32_e32 v0, v19
	global_store_b64 v2, v[0:1], s[18:19] scale_offset
.LBB24_30:
	s_sendmsg sendmsg(MSG_DEALLOC_VGPRS)
	s_endpgm
.LBB24_31:
	v_dual_mov_b32 v6, v18 :: v_dual_mov_b32 v7, v0
	global_store_b64 v4, v[6:7], s[18:19] scale_offset
	s_wait_xcnt 0x0
	s_or_b32 exec_lo, exec_lo, s4
	v_mov_b32_e32 v0, 1.0
	s_and_not1_b32 vcc_lo, exec_lo, s1
	s_cbranch_vccnz .LBB24_27
.LBB24_32:
	v_div_scale_f32 v0, null, v1, v1, 1.0
	s_delay_alu instid0(VALU_DEP_1) | instskip(SKIP_1) | instid1(TRANS32_DEP_1)
	v_rcp_f32_e32 v2, v0
	v_nop
	v_fma_f32 v4, -v0, v2, 1.0
	s_delay_alu instid0(VALU_DEP_1) | instskip(SKIP_1) | instid1(VALU_DEP_1)
	v_fmac_f32_e32 v2, v4, v2
	v_div_scale_f32 v4, vcc_lo, 1.0, v1, 1.0
	v_mul_f32_e32 v5, v4, v2
	s_delay_alu instid0(VALU_DEP_1) | instskip(NEXT) | instid1(VALU_DEP_1)
	v_fma_f32 v6, -v0, v5, v4
	v_fmac_f32_e32 v5, v6, v2
	s_delay_alu instid0(VALU_DEP_1) | instskip(NEXT) | instid1(VALU_DEP_1)
	v_fma_f32 v0, -v0, v5, v4
	v_div_fmas_f32 v0, v0, v2, v5
	s_delay_alu instid0(VALU_DEP_1)
	v_div_fixup_f32 v0, v0, v1, 1.0
	v_add3_u32 v2, s33, s0, v3
	s_and_saveexec_b32 s0, s2
	s_cbranch_execz .LBB24_28
.LBB24_33:
	s_delay_alu instid0(VALU_DEP_1) | instskip(SKIP_4) | instid1(VALU_DEP_4)
	v_mad_u32 v6, 0x48, v2, v22
	v_dual_lshrrev_b32 v3, 16, v26 :: v_dual_lshrrev_b32 v9, 16, v27
	v_mov_b32_e32 v7, 0
	v_cvt_f32_f16_e32 v4, v26
	v_cvt_f32_f16_e32 v8, v27
	;; [unrolled: 1-line block ×4, first 2 shown]
	s_delay_alu instid0(VALU_DEP_2) | instskip(SKIP_1) | instid1(VALU_DEP_3)
	v_pk_mul_f32 v[4:5], v[0:1], v[4:5] op_sel_hi:[0,1]
	v_lshl_add_u64 v[10:11], v[6:7], 2, s[16:17]
	v_pk_mul_f32 v[6:7], v[0:1], v[8:9] op_sel_hi:[0,1]
	global_store_b128 v[10:11], v[4:7], off
	s_wait_xcnt 0x0
	s_or_b32 exec_lo, exec_lo, s0
	s_delay_alu instid0(SALU_CYCLE_1)
	s_and_b32 exec_lo, exec_lo, s3
	s_cbranch_execnz .LBB24_29
	s_branch .LBB24_30
	.section	.rodata,"a",@progbits
	.p2align	6, 0x0
	.amdhsa_kernel _ZL15flash_attn_tileILi72ELi72ELi4ELi4ELb0EEvPKcS1_S1_S1_S1_PKiPfP15HIP_vector_typeIfLj2EEffffjfiS5_IjLj3EEiiiiiiiiiiiliiliiiiil
		.amdhsa_group_segment_fixed_size 8672
		.amdhsa_private_segment_fixed_size 0
		.amdhsa_kernarg_size 464
		.amdhsa_user_sgpr_count 2
		.amdhsa_user_sgpr_dispatch_ptr 0
		.amdhsa_user_sgpr_queue_ptr 0
		.amdhsa_user_sgpr_kernarg_segment_ptr 1
		.amdhsa_user_sgpr_dispatch_id 0
		.amdhsa_user_sgpr_kernarg_preload_length 0
		.amdhsa_user_sgpr_kernarg_preload_offset 0
		.amdhsa_user_sgpr_private_segment_size 0
		.amdhsa_wavefront_size32 1
		.amdhsa_uses_dynamic_stack 0
		.amdhsa_enable_private_segment 0
		.amdhsa_system_sgpr_workgroup_id_x 1
		.amdhsa_system_sgpr_workgroup_id_y 1
		.amdhsa_system_sgpr_workgroup_id_z 1
		.amdhsa_system_sgpr_workgroup_info 0
		.amdhsa_system_vgpr_workitem_id 1
		.amdhsa_next_free_vgpr 140
		.amdhsa_next_free_sgpr 42
		.amdhsa_named_barrier_count 0
		.amdhsa_reserve_vcc 1
		.amdhsa_float_round_mode_32 0
		.amdhsa_float_round_mode_16_64 0
		.amdhsa_float_denorm_mode_32 3
		.amdhsa_float_denorm_mode_16_64 3
		.amdhsa_fp16_overflow 0
		.amdhsa_memory_ordered 1
		.amdhsa_forward_progress 1
		.amdhsa_inst_pref_size 56
		.amdhsa_round_robin_scheduling 0
		.amdhsa_exception_fp_ieee_invalid_op 0
		.amdhsa_exception_fp_denorm_src 0
		.amdhsa_exception_fp_ieee_div_zero 0
		.amdhsa_exception_fp_ieee_overflow 0
		.amdhsa_exception_fp_ieee_underflow 0
		.amdhsa_exception_fp_ieee_inexact 0
		.amdhsa_exception_int_div_zero 0
	.end_amdhsa_kernel
	.section	.text._ZL15flash_attn_tileILi72ELi72ELi4ELi4ELb0EEvPKcS1_S1_S1_S1_PKiPfP15HIP_vector_typeIfLj2EEffffjfiS5_IjLj3EEiiiiiiiiiiiliiliiiiil,"axG",@progbits,_ZL15flash_attn_tileILi72ELi72ELi4ELi4ELb0EEvPKcS1_S1_S1_S1_PKiPfP15HIP_vector_typeIfLj2EEffffjfiS5_IjLj3EEiiiiiiiiiiiliiliiiiil,comdat
.Lfunc_end24:
	.size	_ZL15flash_attn_tileILi72ELi72ELi4ELi4ELb0EEvPKcS1_S1_S1_S1_PKiPfP15HIP_vector_typeIfLj2EEffffjfiS5_IjLj3EEiiiiiiiiiiiliiliiiiil, .Lfunc_end24-_ZL15flash_attn_tileILi72ELi72ELi4ELi4ELb0EEvPKcS1_S1_S1_S1_PKiPfP15HIP_vector_typeIfLj2EEffffjfiS5_IjLj3EEiiiiiiiiiiiliiliiiiil
                                        ; -- End function
	.set _ZL15flash_attn_tileILi72ELi72ELi4ELi4ELb0EEvPKcS1_S1_S1_S1_PKiPfP15HIP_vector_typeIfLj2EEffffjfiS5_IjLj3EEiiiiiiiiiiiliiliiiiil.num_vgpr, 140
	.set _ZL15flash_attn_tileILi72ELi72ELi4ELi4ELb0EEvPKcS1_S1_S1_S1_PKiPfP15HIP_vector_typeIfLj2EEffffjfiS5_IjLj3EEiiiiiiiiiiiliiliiiiil.num_agpr, 0
	.set _ZL15flash_attn_tileILi72ELi72ELi4ELi4ELb0EEvPKcS1_S1_S1_S1_PKiPfP15HIP_vector_typeIfLj2EEffffjfiS5_IjLj3EEiiiiiiiiiiiliiliiiiil.numbered_sgpr, 42
	.set _ZL15flash_attn_tileILi72ELi72ELi4ELi4ELb0EEvPKcS1_S1_S1_S1_PKiPfP15HIP_vector_typeIfLj2EEffffjfiS5_IjLj3EEiiiiiiiiiiiliiliiiiil.num_named_barrier, 0
	.set _ZL15flash_attn_tileILi72ELi72ELi4ELi4ELb0EEvPKcS1_S1_S1_S1_PKiPfP15HIP_vector_typeIfLj2EEffffjfiS5_IjLj3EEiiiiiiiiiiiliiliiiiil.private_seg_size, 0
	.set _ZL15flash_attn_tileILi72ELi72ELi4ELi4ELb0EEvPKcS1_S1_S1_S1_PKiPfP15HIP_vector_typeIfLj2EEffffjfiS5_IjLj3EEiiiiiiiiiiiliiliiiiil.uses_vcc, 1
	.set _ZL15flash_attn_tileILi72ELi72ELi4ELi4ELb0EEvPKcS1_S1_S1_S1_PKiPfP15HIP_vector_typeIfLj2EEffffjfiS5_IjLj3EEiiiiiiiiiiiliiliiiiil.uses_flat_scratch, 0
	.set _ZL15flash_attn_tileILi72ELi72ELi4ELi4ELb0EEvPKcS1_S1_S1_S1_PKiPfP15HIP_vector_typeIfLj2EEffffjfiS5_IjLj3EEiiiiiiiiiiiliiliiiiil.has_dyn_sized_stack, 0
	.set _ZL15flash_attn_tileILi72ELi72ELi4ELi4ELb0EEvPKcS1_S1_S1_S1_PKiPfP15HIP_vector_typeIfLj2EEffffjfiS5_IjLj3EEiiiiiiiiiiiliiliiiiil.has_recursion, 0
	.set _ZL15flash_attn_tileILi72ELi72ELi4ELi4ELb0EEvPKcS1_S1_S1_S1_PKiPfP15HIP_vector_typeIfLj2EEffffjfiS5_IjLj3EEiiiiiiiiiiiliiliiiiil.has_indirect_call, 0
	.section	.AMDGPU.csdata,"",@progbits
; Kernel info:
; codeLenInByte = 7136
; TotalNumSgprs: 44
; NumVgprs: 140
; ScratchSize: 0
; MemoryBound: 0
; FloatMode: 240
; IeeeMode: 1
; LDSByteSize: 8672 bytes/workgroup (compile time only)
; SGPRBlocks: 0
; VGPRBlocks: 8
; NumSGPRsForWavesPerEU: 44
; NumVGPRsForWavesPerEU: 140
; NamedBarCnt: 0
; Occupancy: 7
; WaveLimiterHint : 1
; COMPUTE_PGM_RSRC2:SCRATCH_EN: 0
; COMPUTE_PGM_RSRC2:USER_SGPR: 2
; COMPUTE_PGM_RSRC2:TRAP_HANDLER: 0
; COMPUTE_PGM_RSRC2:TGID_X_EN: 1
; COMPUTE_PGM_RSRC2:TGID_Y_EN: 1
; COMPUTE_PGM_RSRC2:TGID_Z_EN: 1
; COMPUTE_PGM_RSRC2:TIDIG_COMP_CNT: 1
	.section	.text._ZL33flash_attn_stream_k_fixup_uniformILi72ELi4ELi4EEvPfPK15HIP_vector_typeIfLj2EEiiiiiiS1_IjLj3EES5_S5_,"axG",@progbits,_ZL33flash_attn_stream_k_fixup_uniformILi72ELi4ELi4EEvPfPK15HIP_vector_typeIfLj2EEiiiiiiS1_IjLj3EES5_S5_,comdat
	.globl	_ZL33flash_attn_stream_k_fixup_uniformILi72ELi4ELi4EEvPfPK15HIP_vector_typeIfLj2EEiiiiiiS1_IjLj3EES5_S5_ ; -- Begin function _ZL33flash_attn_stream_k_fixup_uniformILi72ELi4ELi4EEvPfPK15HIP_vector_typeIfLj2EEiiiiiiS1_IjLj3EES5_S5_
	.p2align	8
	.type	_ZL33flash_attn_stream_k_fixup_uniformILi72ELi4ELi4EEvPfPK15HIP_vector_typeIfLj2EEiiiiiiS1_IjLj3EES5_S5_,@function
_ZL33flash_attn_stream_k_fixup_uniformILi72ELi4ELi4EEvPfPK15HIP_vector_typeIfLj2EEiiiiiiS1_IjLj3EES5_S5_: ; @_ZL33flash_attn_stream_k_fixup_uniformILi72ELi4ELi4EEvPfPK15HIP_vector_typeIfLj2EEiiiiiiS1_IjLj3EES5_S5_
; %bb.0:
	s_load_b256 s[4:11], s[0:1], 0x1c
	s_bfe_u32 s2, ttmp6, 0x40014
	s_lshr_b32 s3, ttmp7, 16
	s_add_co_i32 s2, s2, 1
	s_bfe_u32 s13, ttmp6, 0x40010
	s_mul_i32 s2, s3, s2
	s_bfe_u32 s12, ttmp6, 0x40008
	s_and_b32 s15, ttmp7, 0xffff
	s_add_co_i32 s13, s13, 1
	s_bfe_u32 s14, ttmp6, 0x4000c
	s_add_co_i32 s2, s12, s2
	s_mul_i32 s12, s15, s13
	s_bfe_u32 s13, ttmp6, 0x40004
	s_add_co_i32 s14, s14, 1
	s_add_co_i32 s13, s13, s12
	s_and_b32 s12, ttmp6, 15
	s_mul_i32 s14, ttmp9, s14
	s_getreg_b32 s20, hwreg(HW_REG_IB_STS2, 6, 4)
	s_add_co_i32 s12, s12, s14
	s_load_b128 s[16:19], s[0:1], 0x3c
	s_cmp_eq_u32 s20, 0
	s_cselect_b32 s14, ttmp9, s12
	s_cselect_b32 s12, s15, s13
	s_wait_kmcnt 0x0
	s_mul_hi_u32 s7, s7, s14
	s_cselect_b32 s13, s3, s2
	s_add_co_i32 s2, s14, s7
	s_delay_alu instid0(SALU_CYCLE_1) | instskip(NEXT) | instid1(SALU_CYCLE_1)
	s_lshr_b32 s7, s2, s8
	s_mul_i32 s2, s7, s9
	s_delay_alu instid0(SALU_CYCLE_1) | instskip(NEXT) | instid1(SALU_CYCLE_1)
	s_sub_co_i32 s8, s14, s2
	s_mul_hi_u32 s2, s8, s10
	s_delay_alu instid0(SALU_CYCLE_1) | instskip(SKIP_2) | instid1(SALU_CYCLE_1)
	s_add_co_i32 s9, s8, s2
	s_load_b64 s[2:3], s[0:1], 0x10
	s_lshr_b32 s15, s9, s11
	s_mul_i32 s9, s15, s16
	s_delay_alu instid0(SALU_CYCLE_1) | instskip(NEXT) | instid1(SALU_CYCLE_1)
	s_sub_co_i32 s8, s8, s9
	s_mul_hi_u32 s9, s8, s17
	s_delay_alu instid0(SALU_CYCLE_1) | instskip(NEXT) | instid1(SALU_CYCLE_1)
	s_add_co_i32 s9, s8, s9
	s_lshr_b32 s9, s9, s18
	s_delay_alu instid0(SALU_CYCLE_1) | instskip(SKIP_2) | instid1(SALU_CYCLE_1)
	s_mul_i32 s10, s9, s19
	s_lshl_b32 s17, s9, 2
	s_sub_co_i32 s16, s8, s10
	s_lshl_b32 s8, s16, 2
	s_delay_alu instid0(SALU_CYCLE_1) | instskip(SKIP_4) | instid1(SALU_CYCLE_1)
	s_add_co_i32 s8, s8, s12
	s_wait_kmcnt 0x0
	s_cmp_lt_i32 s8, s2
	s_cselect_b32 s8, -1, 0
	s_add_co_i32 s17, s17, s13
	s_cmp_lt_i32 s17, s5
	s_cselect_b32 s9, -1, 0
	s_delay_alu instid0(SALU_CYCLE_1) | instskip(NEXT) | instid1(SALU_CYCLE_1)
	s_and_b32 s8, s8, s9
	s_and_not1_b32 vcc_lo, exec_lo, s8
	s_cbranch_vccnz .LBB25_6
; %bb.1:
	s_load_b128 s[8:11], s[0:1], 0x0
	s_wait_xcnt 0x0
	s_mul_i32 s0, s7, s2
	s_mul_i32 s15, s15, s5
	s_add_co_i32 s0, s0, s12
	s_add_co_i32 s1, s17, s15
	s_mul_i32 s0, s0, s3
	s_mul_i32 s2, s3, s16
	s_add_co_i32 s0, s1, s0
	s_mulk_i32 s2, 0x120
	s_mulk_i32 s0, 0x48
	s_mul_i32 s7, s6, s14
	v_add3_u32 v4, s0, s2, v0
	s_lshl_b32 s5, s12, 2
	s_add_co_i32 s15, s7, s6
	s_add_co_i32 s0, s5, s13
	s_lshl_b32 s1, s15, 4
	v_ashrrev_i32_e32 v5, 31, v4
	s_add_co_i32 s0, s0, s1
	s_add_co_i32 s2, s15, -2
	s_add_co_i32 s0, s0, -16
	s_wait_kmcnt 0x0
	global_load_b32 v3, v4, s[8:9] scale_offset
	s_ashr_i32 s1, s0, 31
	s_delay_alu instid0(SALU_CYCLE_1)
	s_lshl_b64 s[0:1], s[0:1], 3
	s_cmp_lt_i32 s2, s7
	s_add_nc_u64 s[0:1], s[10:11], s[0:1]
	s_load_b32 s16, s[0:1], 0x4
	s_cbranch_scc1 .LBB25_4
; %bb.2:
	s_wait_xcnt 0x0
	s_load_b32 s0, s[0:1], 0x0
	s_add_co_i32 s14, s14, 1
	s_mulk_i32 s12, 0x120
	s_wait_xcnt 0x0
	s_mul_i32 s1, s6, s14
	s_lshl_b32 s2, s4, 6
	s_lshl_b32 s6, s1, 4
	s_mulk_i32 s1, 0x480
	s_add_co_i32 s6, s13, s6
	s_mulk_i32 s13, 0x48
	s_lshl_b32 s4, s4, 4
	s_add_co_i32 s12, s13, s12
	s_ashr_i32 s3, s2, 31
	s_add_co_i32 s12, s12, s1
	s_add_co_i32 s1, s6, s4
	v_add3_u32 v0, s12, v0, 0xfffff700
	s_wait_kmcnt 0x0
	v_mov_b32_e32 v2, s16
	s_lshl_b64 s[2:3], s[2:3], 2
	s_add_co_i32 s4, s1, s5
	s_add_nc_u64 s[2:3], s[10:11], s[2:3]
	s_add_co_i32 s1, s15, -1
	s_sub_co_i32 s4, s4, 32
.LBB25_3:                               ; =>This Inner Loop Header: Depth=1
	global_load_b32 v7, v0, s[2:3] scale_offset
	s_ashr_i32 s5, s4, 31
	v_max_num_f32_e64 v1, s0, s0
	s_lshl_b64 s[12:13], s[4:5], 3
	s_delay_alu instid0(SALU_CYCLE_1) | instskip(SKIP_1) | instid1(VALU_DEP_1)
	s_add_nc_u64 s[12:13], s[10:11], s[12:13]
	s_load_b64 s[12:13], s[12:13], 0x0
	v_readfirstlane_b32 s5, v1
	v_add_nc_u32_e32 v0, 0xfffffb80, v0
	s_wait_kmcnt 0x0
	v_max_num_f32_e64 v1, s12, s12
	s_delay_alu instid0(VALU_DEP_1) | instskip(SKIP_1) | instid1(SALU_CYCLE_3)
	v_readfirstlane_b32 s6, v1
	s_max_num_f32 s5, s5, s6
	s_sub_f32 s0, s0, s5
	s_sub_f32 s6, s12, s5
	s_delay_alu instid0(SALU_CYCLE_2) | instskip(NEXT) | instid1(SALU_CYCLE_2)
	s_mul_f32 s12, s0, 0x3fb8aa3b
	s_mul_f32 s14, s6, 0x3fb8aa3b
	s_delay_alu instid0(SALU_CYCLE_2)
	s_xor_b32 s15, s12, 0x80000000
	s_rndne_f32 s16, s12
	s_fmamk_f32 s15, s0, 0x3fb8aa3b, s15
	s_cmp_nlt_f32 s0, 0xc2ce8ed0
	s_rndne_f32 s17, s14
	s_sub_f32 s12, s12, s16
	s_fmamk_f32 s15, s0, 0x32a5705f, s15
	s_cselect_b32 vcc_lo, -1, 0
	s_cmp_ngt_f32 s0, 0x42b17218
	s_delay_alu instid0(SALU_CYCLE_1) | instskip(SKIP_2) | instid1(SALU_CYCLE_1)
	s_add_f32 s12, s12, s15
	s_cvt_i32_f32 s15, s16
	s_sub_f32 s16, s14, s17
	v_s_exp_f32 s12, s12
	v_nop
	s_delay_alu instid0(TRANS32_DEP_1) | instskip(SKIP_1) | instid1(VALU_DEP_1)
	v_ldexp_f32 v1, s12, s15
	s_cvt_i32_f32 s12, s17
	v_cndmask_b32_e32 v1, 0, v1, vcc_lo
	s_cselect_b32 vcc_lo, -1, 0
	s_cmp_ge_f32 s0, 0xc1a00000
	s_delay_alu instid0(VALU_DEP_1)
	v_cndmask_b32_e32 v1, 0x7f800000, v1, vcc_lo
	s_cselect_b32 vcc_lo, -1, 0
	s_xor_b32 s0, s14, 0x80000000
	s_cmp_nlt_f32 s6, 0xc2ce8ed0
	s_fmamk_f32 s0, s6, 0x3fb8aa3b, s0
	v_cndmask_b32_e32 v10, 0, v1, vcc_lo
	s_delay_alu instid0(SALU_CYCLE_2) | instskip(NEXT) | instid1(SALU_CYCLE_3)
	s_fmamk_f32 s0, s6, 0x32a5705f, s0
	s_add_f32 s0, s16, s0
	s_delay_alu instid0(SALU_CYCLE_3) | instskip(SKIP_1) | instid1(TRANS32_DEP_1)
	v_s_exp_f32 s0, s0
	v_nop
	v_ldexp_f32 v6, s0, s12
	s_cselect_b32 s0, -1, 0
	s_cmp_ngt_f32 s6, 0x42b17218
	s_delay_alu instid0(VALU_DEP_1) | instskip(SKIP_2) | instid1(VALU_DEP_1)
	v_cndmask_b32_e64 v6, 0, v6, s0
	s_cselect_b32 s0, -1, 0
	s_cmp_ge_f32 s6, 0xc1a00000
	v_cndmask_b32_e64 v8, 0x7f800000, v6, s0
	s_cselect_b32 s0, -1, 0
	v_mov_b32_e32 v6, s13
	s_add_co_i32 s1, s1, -1
	s_add_co_i32 s4, s4, -16
	v_cndmask_b32_e64 v8, 0, v8, s0
	s_cmp_le_i32 s1, s7
	s_mov_b32 s0, s5
	s_wait_loadcnt 0x0
	s_delay_alu instid0(VALU_DEP_1) | instskip(NEXT) | instid1(VALU_DEP_1)
	v_pk_mul_f32 v[6:7], v[6:7], v[8:9] op_sel_hi:[1,0]
	v_pk_fma_f32 v[2:3], v[2:3], v[10:11], v[6:7] op_sel_hi:[1,0,1]
	s_cbranch_scc0 .LBB25_3
	s_branch .LBB25_5
.LBB25_4:
	s_wait_kmcnt 0x0
	v_mov_b32_e32 v2, s16
.LBB25_5:
	v_lshl_add_u64 v[0:1], v[4:5], 2, s[8:9]
	s_wait_loadcnt 0x0
	s_delay_alu instid0(VALU_DEP_2) | instskip(NEXT) | instid1(VALU_DEP_1)
	v_div_scale_f32 v4, null, v2, v2, v3
	v_rcp_f32_e32 v5, v4
	v_nop
	s_delay_alu instid0(TRANS32_DEP_1) | instskip(NEXT) | instid1(VALU_DEP_1)
	v_fma_f32 v6, -v4, v5, 1.0
	v_fmac_f32_e32 v5, v6, v5
	v_div_scale_f32 v6, vcc_lo, v3, v2, v3
	s_delay_alu instid0(VALU_DEP_1) | instskip(NEXT) | instid1(VALU_DEP_1)
	v_mul_f32_e32 v7, v6, v5
	v_fma_f32 v8, -v4, v7, v6
	s_delay_alu instid0(VALU_DEP_1) | instskip(NEXT) | instid1(VALU_DEP_1)
	v_fmac_f32_e32 v7, v8, v5
	v_fma_f32 v4, -v4, v7, v6
	s_delay_alu instid0(VALU_DEP_1) | instskip(NEXT) | instid1(VALU_DEP_1)
	v_div_fmas_f32 v4, v4, v5, v7
	v_div_fixup_f32 v2, v4, v2, v3
	global_store_b32 v[0:1], v2, off
.LBB25_6:
	s_endpgm
	.section	.rodata,"a",@progbits
	.p2align	6, 0x0
	.amdhsa_kernel _ZL33flash_attn_stream_k_fixup_uniformILi72ELi4ELi4EEvPfPK15HIP_vector_typeIfLj2EEiiiiiiS1_IjLj3EES5_S5_
		.amdhsa_group_segment_fixed_size 0
		.amdhsa_private_segment_fixed_size 0
		.amdhsa_kernarg_size 76
		.amdhsa_user_sgpr_count 2
		.amdhsa_user_sgpr_dispatch_ptr 0
		.amdhsa_user_sgpr_queue_ptr 0
		.amdhsa_user_sgpr_kernarg_segment_ptr 1
		.amdhsa_user_sgpr_dispatch_id 0
		.amdhsa_user_sgpr_kernarg_preload_length 0
		.amdhsa_user_sgpr_kernarg_preload_offset 0
		.amdhsa_user_sgpr_private_segment_size 0
		.amdhsa_wavefront_size32 1
		.amdhsa_uses_dynamic_stack 0
		.amdhsa_enable_private_segment 0
		.amdhsa_system_sgpr_workgroup_id_x 1
		.amdhsa_system_sgpr_workgroup_id_y 1
		.amdhsa_system_sgpr_workgroup_id_z 1
		.amdhsa_system_sgpr_workgroup_info 0
		.amdhsa_system_vgpr_workitem_id 0
		.amdhsa_next_free_vgpr 12
		.amdhsa_next_free_sgpr 21
		.amdhsa_named_barrier_count 0
		.amdhsa_reserve_vcc 1
		.amdhsa_float_round_mode_32 0
		.amdhsa_float_round_mode_16_64 0
		.amdhsa_float_denorm_mode_32 3
		.amdhsa_float_denorm_mode_16_64 3
		.amdhsa_fp16_overflow 0
		.amdhsa_memory_ordered 1
		.amdhsa_forward_progress 1
		.amdhsa_inst_pref_size 9
		.amdhsa_round_robin_scheduling 0
		.amdhsa_exception_fp_ieee_invalid_op 0
		.amdhsa_exception_fp_denorm_src 0
		.amdhsa_exception_fp_ieee_div_zero 0
		.amdhsa_exception_fp_ieee_overflow 0
		.amdhsa_exception_fp_ieee_underflow 0
		.amdhsa_exception_fp_ieee_inexact 0
		.amdhsa_exception_int_div_zero 0
	.end_amdhsa_kernel
	.section	.text._ZL33flash_attn_stream_k_fixup_uniformILi72ELi4ELi4EEvPfPK15HIP_vector_typeIfLj2EEiiiiiiS1_IjLj3EES5_S5_,"axG",@progbits,_ZL33flash_attn_stream_k_fixup_uniformILi72ELi4ELi4EEvPfPK15HIP_vector_typeIfLj2EEiiiiiiS1_IjLj3EES5_S5_,comdat
.Lfunc_end25:
	.size	_ZL33flash_attn_stream_k_fixup_uniformILi72ELi4ELi4EEvPfPK15HIP_vector_typeIfLj2EEiiiiiiS1_IjLj3EES5_S5_, .Lfunc_end25-_ZL33flash_attn_stream_k_fixup_uniformILi72ELi4ELi4EEvPfPK15HIP_vector_typeIfLj2EEiiiiiiS1_IjLj3EES5_S5_
                                        ; -- End function
	.set _ZL33flash_attn_stream_k_fixup_uniformILi72ELi4ELi4EEvPfPK15HIP_vector_typeIfLj2EEiiiiiiS1_IjLj3EES5_S5_.num_vgpr, 12
	.set _ZL33flash_attn_stream_k_fixup_uniformILi72ELi4ELi4EEvPfPK15HIP_vector_typeIfLj2EEiiiiiiS1_IjLj3EES5_S5_.num_agpr, 0
	.set _ZL33flash_attn_stream_k_fixup_uniformILi72ELi4ELi4EEvPfPK15HIP_vector_typeIfLj2EEiiiiiiS1_IjLj3EES5_S5_.numbered_sgpr, 21
	.set _ZL33flash_attn_stream_k_fixup_uniformILi72ELi4ELi4EEvPfPK15HIP_vector_typeIfLj2EEiiiiiiS1_IjLj3EES5_S5_.num_named_barrier, 0
	.set _ZL33flash_attn_stream_k_fixup_uniformILi72ELi4ELi4EEvPfPK15HIP_vector_typeIfLj2EEiiiiiiS1_IjLj3EES5_S5_.private_seg_size, 0
	.set _ZL33flash_attn_stream_k_fixup_uniformILi72ELi4ELi4EEvPfPK15HIP_vector_typeIfLj2EEiiiiiiS1_IjLj3EES5_S5_.uses_vcc, 1
	.set _ZL33flash_attn_stream_k_fixup_uniformILi72ELi4ELi4EEvPfPK15HIP_vector_typeIfLj2EEiiiiiiS1_IjLj3EES5_S5_.uses_flat_scratch, 0
	.set _ZL33flash_attn_stream_k_fixup_uniformILi72ELi4ELi4EEvPfPK15HIP_vector_typeIfLj2EEiiiiiiS1_IjLj3EES5_S5_.has_dyn_sized_stack, 0
	.set _ZL33flash_attn_stream_k_fixup_uniformILi72ELi4ELi4EEvPfPK15HIP_vector_typeIfLj2EEiiiiiiS1_IjLj3EES5_S5_.has_recursion, 0
	.set _ZL33flash_attn_stream_k_fixup_uniformILi72ELi4ELi4EEvPfPK15HIP_vector_typeIfLj2EEiiiiiiS1_IjLj3EES5_S5_.has_indirect_call, 0
	.section	.AMDGPU.csdata,"",@progbits
; Kernel info:
; codeLenInByte = 1084
; TotalNumSgprs: 23
; NumVgprs: 12
; ScratchSize: 0
; MemoryBound: 0
; FloatMode: 240
; IeeeMode: 1
; LDSByteSize: 0 bytes/workgroup (compile time only)
; SGPRBlocks: 0
; VGPRBlocks: 0
; NumSGPRsForWavesPerEU: 23
; NumVGPRsForWavesPerEU: 12
; NamedBarCnt: 0
; Occupancy: 16
; WaveLimiterHint : 0
; COMPUTE_PGM_RSRC2:SCRATCH_EN: 0
; COMPUTE_PGM_RSRC2:USER_SGPR: 2
; COMPUTE_PGM_RSRC2:TRAP_HANDLER: 0
; COMPUTE_PGM_RSRC2:TGID_X_EN: 1
; COMPUTE_PGM_RSRC2:TGID_Y_EN: 1
; COMPUTE_PGM_RSRC2:TGID_Z_EN: 1
; COMPUTE_PGM_RSRC2:TIDIG_COMP_CNT: 0
	.section	.text._ZL33flash_attn_stream_k_fixup_generalILi72ELi4ELi4EEvPfPK15HIP_vector_typeIfLj2EEiiiiS1_IjLj3EES5_S5_S5_,"axG",@progbits,_ZL33flash_attn_stream_k_fixup_generalILi72ELi4ELi4EEvPfPK15HIP_vector_typeIfLj2EEiiiiS1_IjLj3EES5_S5_S5_,comdat
	.globl	_ZL33flash_attn_stream_k_fixup_generalILi72ELi4ELi4EEvPfPK15HIP_vector_typeIfLj2EEiiiiS1_IjLj3EES5_S5_S5_ ; -- Begin function _ZL33flash_attn_stream_k_fixup_generalILi72ELi4ELi4EEvPfPK15HIP_vector_typeIfLj2EEiiiiS1_IjLj3EES5_S5_S5_
	.p2align	8
	.type	_ZL33flash_attn_stream_k_fixup_generalILi72ELi4ELi4EEvPfPK15HIP_vector_typeIfLj2EEiiiiS1_IjLj3EES5_S5_S5_,@function
_ZL33flash_attn_stream_k_fixup_generalILi72ELi4ELi4EEvPfPK15HIP_vector_typeIfLj2EEiiiiS1_IjLj3EES5_S5_S5_: ; @_ZL33flash_attn_stream_k_fixup_generalILi72ELi4ELi4EEvPfPK15HIP_vector_typeIfLj2EEiiiiS1_IjLj3EES5_S5_S5_
; %bb.0:
	s_clause 0x1
	s_load_b128 s[4:7], s[0:1], 0x10
	s_load_b32 s16, s[0:1], 0x50
	s_bfe_u32 s2, ttmp6, 0x4000c
	s_and_b32 s3, ttmp6, 15
	s_add_co_i32 s2, s2, 1
	s_getreg_b32 s15, hwreg(HW_REG_IB_STS2, 6, 4)
	s_mul_i32 s2, ttmp9, s2
	s_mov_b32 s17, 0
	s_add_co_i32 s3, s3, s2
	s_cmp_eq_u32 s15, 0
	s_cselect_b32 s2, ttmp9, s3
	s_delay_alu instid0(SALU_CYCLE_1) | instskip(SKIP_3) | instid1(SALU_CYCLE_1)
	s_ashr_i32 s3, s2, 31
	s_wait_kmcnt 0x0
	s_ashr_i32 s19, s7, 31
	s_mov_b32 s18, s7
	s_mul_u64 s[8:9], s[18:19], s[2:3]
	s_delay_alu instid0(SALU_CYCLE_1) | instskip(NEXT) | instid1(SALU_CYCLE_1)
	s_and_b64 s[10:11], s[8:9], 0xffffffff00000000
	s_cmp_lg_u64 s[10:11], 0
	s_cbranch_scc0 .LBB26_21
; %bb.1:
	s_add_nc_u64 s[10:11], s[16:17], 0
	s_mov_b32 s23, s17
	s_xor_b64 s[10:11], s[10:11], 0
	s_mov_b32 s27, s17
	s_cvt_f32_u32 s3, s10
	s_cvt_f32_u32 s7, s11
	s_sub_nc_u64 s[20:21], 0, s[10:11]
	s_delay_alu instid0(SALU_CYCLE_2) | instskip(NEXT) | instid1(SALU_CYCLE_3)
	s_fmamk_f32 s3, s7, 0x4f800000, s3
	v_s_rcp_f32 s3, s3
	s_delay_alu instid0(TRANS32_DEP_1) | instskip(NEXT) | instid1(SALU_CYCLE_3)
	s_mul_f32 s3, s3, 0x5f7ffffc
	s_mul_f32 s7, s3, 0x2f800000
	s_delay_alu instid0(SALU_CYCLE_3) | instskip(NEXT) | instid1(SALU_CYCLE_3)
	s_trunc_f32 s7, s7
	s_fmamk_f32 s3, s7, 0xcf800000, s3
	s_cvt_u32_f32 s13, s7
	s_delay_alu instid0(SALU_CYCLE_2) | instskip(NEXT) | instid1(SALU_CYCLE_3)
	s_cvt_u32_f32 s12, s3
	s_mul_u64 s[24:25], s[20:21], s[12:13]
	s_delay_alu instid0(SALU_CYCLE_1)
	s_mul_hi_u32 s29, s12, s25
	s_mul_i32 s28, s12, s25
	s_mul_hi_u32 s22, s12, s24
	s_mul_i32 s7, s13, s24
	s_add_nc_u64 s[22:23], s[22:23], s[28:29]
	s_mul_hi_u32 s3, s13, s24
	s_mul_hi_u32 s14, s13, s25
	s_add_co_u32 s7, s22, s7
	s_add_co_ci_u32 s26, s23, s3
	s_mul_i32 s24, s13, s25
	s_add_co_ci_u32 s25, s14, 0
	s_delay_alu instid0(SALU_CYCLE_1) | instskip(SKIP_3) | instid1(SALU_CYCLE_1)
	s_add_nc_u64 s[22:23], s[26:27], s[24:25]
	s_mov_b32 s25, s17
	s_add_co_u32 s12, s12, s22
	s_cselect_b32 s3, -1, 0
	s_cmp_lg_u32 s3, 0
	s_add_co_ci_u32 s13, s13, s23
	s_mov_b32 s23, s17
	s_mul_u64 s[20:21], s[20:21], s[12:13]
	s_delay_alu instid0(SALU_CYCLE_1)
	s_mul_hi_u32 s27, s12, s21
	s_mul_i32 s26, s12, s21
	s_mul_hi_u32 s22, s12, s20
	s_mul_i32 s7, s13, s20
	s_add_nc_u64 s[22:23], s[22:23], s[26:27]
	s_mul_hi_u32 s3, s13, s20
	s_mul_hi_u32 s14, s13, s21
	s_add_co_u32 s7, s22, s7
	s_add_co_ci_u32 s24, s23, s3
	s_mul_i32 s20, s13, s21
	s_add_co_ci_u32 s21, s14, 0
	s_mov_b32 s23, s17
	s_add_nc_u64 s[20:21], s[24:25], s[20:21]
	s_delay_alu instid0(SALU_CYCLE_1) | instskip(SKIP_1) | instid1(SALU_CYCLE_1)
	s_add_co_u32 s3, s12, s20
	s_cselect_b32 s7, -1, 0
	s_cmp_lg_u32 s7, 0
	s_add_co_ci_u32 s7, s13, s21
	s_ashr_i32 s12, s9, 31
	s_delay_alu instid0(SALU_CYCLE_1) | instskip(NEXT) | instid1(SALU_CYCLE_1)
	s_mov_b32 s13, s12
	s_add_nc_u64 s[20:21], s[8:9], s[12:13]
	s_delay_alu instid0(SALU_CYCLE_1) | instskip(NEXT) | instid1(SALU_CYCLE_1)
	s_xor_b64 s[20:21], s[20:21], s[12:13]
	s_mul_hi_u32 s27, s20, s7
	s_mul_i32 s26, s20, s7
	s_mul_hi_u32 s22, s20, s3
	s_mul_hi_u32 s14, s21, s3
	s_mul_i32 s3, s21, s3
	s_add_nc_u64 s[22:23], s[22:23], s[26:27]
	s_mul_hi_u32 s9, s21, s7
	s_add_co_u32 s3, s22, s3
	s_add_co_ci_u32 s24, s23, s14
	s_mul_i32 s26, s21, s7
	s_add_co_ci_u32 s27, s9, 0
	s_delay_alu instid0(SALU_CYCLE_1) | instskip(NEXT) | instid1(SALU_CYCLE_1)
	s_add_nc_u64 s[22:23], s[24:25], s[26:27]
	s_and_b64 s[24:25], s[22:23], 0xffffffff00000000
	s_delay_alu instid0(SALU_CYCLE_1) | instskip(NEXT) | instid1(SALU_CYCLE_1)
	s_or_b32 s24, s24, s22
	s_mul_u64 s[22:23], s[10:11], s[24:25]
	s_add_nc_u64 s[26:27], s[24:25], 1
	s_sub_co_u32 s3, s20, s22
	s_cselect_b32 s7, -1, 0
	s_sub_co_i32 s9, s21, s23
	s_cmp_lg_u32 s7, 0
	s_add_nc_u64 s[28:29], s[24:25], 2
	s_sub_co_ci_u32 s9, s9, s11
	s_sub_co_u32 s14, s3, s10
	s_cselect_b32 s20, -1, 0
	s_delay_alu instid0(SALU_CYCLE_1) | instskip(SKIP_1) | instid1(SALU_CYCLE_1)
	s_cmp_lg_u32 s20, 0
	s_sub_co_ci_u32 s9, s9, 0
	s_cmp_ge_u32 s9, s11
	s_cselect_b32 s20, -1, 0
	s_cmp_ge_u32 s14, s10
	s_cselect_b32 s14, -1, 0
	s_cmp_eq_u32 s9, s11
	s_cselect_b32 s9, s14, s20
	s_delay_alu instid0(SALU_CYCLE_1) | instskip(SKIP_4) | instid1(SALU_CYCLE_1)
	s_cmp_lg_u32 s9, 0
	s_cselect_b32 s9, s28, s26
	s_cselect_b32 s14, s29, s27
	s_cmp_lg_u32 s7, 0
	s_sub_co_ci_u32 s7, s21, s23
	s_cmp_ge_u32 s7, s11
	s_cselect_b32 s20, -1, 0
	s_cmp_ge_u32 s3, s10
	s_cselect_b32 s3, -1, 0
	s_cmp_eq_u32 s7, s11
	s_cselect_b32 s3, s3, s20
	s_delay_alu instid0(SALU_CYCLE_1) | instskip(SKIP_4) | instid1(SALU_CYCLE_1)
	s_cmp_lg_u32 s3, 0
	s_mov_b32 s3, s17
	s_cselect_b32 s11, s14, s25
	s_cselect_b32 s10, s9, s24
	s_xor_b64 s[12:13], s[12:13], 0
	s_xor_b64 s[10:11], s[10:11], s[12:13]
	s_delay_alu instid0(SALU_CYCLE_1)
	s_sub_nc_u64 s[20:21], s[10:11], s[12:13]
	s_and_not1_b32 vcc_lo, exec_lo, s3
	s_cbranch_vccnz .LBB26_3
.LBB26_2:
	v_cvt_f32_u32_e32 v1, s16
	s_sub_co_i32 s7, 0, s16
	s_mov_b32 s21, 0
	s_delay_alu instid0(VALU_DEP_1) | instskip(SKIP_1) | instid1(TRANS32_DEP_1)
	v_rcp_iflag_f32_e32 v1, v1
	v_nop
	v_mul_f32_e32 v1, 0x4f7ffffe, v1
	s_delay_alu instid0(VALU_DEP_1) | instskip(NEXT) | instid1(VALU_DEP_1)
	v_cvt_u32_f32_e32 v1, v1
	v_readfirstlane_b32 s3, v1
	s_mul_i32 s7, s7, s3
	s_delay_alu instid0(SALU_CYCLE_1) | instskip(NEXT) | instid1(SALU_CYCLE_1)
	s_mul_hi_u32 s7, s3, s7
	s_add_co_i32 s3, s3, s7
	s_delay_alu instid0(SALU_CYCLE_1) | instskip(NEXT) | instid1(SALU_CYCLE_1)
	s_mul_hi_u32 s3, s8, s3
	s_mul_i32 s7, s3, s16
	s_delay_alu instid0(SALU_CYCLE_1)
	s_sub_co_i32 s7, s8, s7
	s_add_co_i32 s8, s3, 1
	s_sub_co_i32 s9, s7, s16
	s_cmp_ge_u32 s7, s16
	s_cselect_b32 s3, s8, s3
	s_cselect_b32 s7, s9, s7
	s_add_co_i32 s8, s3, 1
	s_cmp_ge_u32 s7, s16
	s_cselect_b32 s20, s8, s3
.LBB26_3:
	s_add_co_i32 s8, s2, 1
	s_delay_alu instid0(SALU_CYCLE_1) | instskip(NEXT) | instid1(SALU_CYCLE_1)
	s_ashr_i32 s9, s8, 31
	s_mul_u64 s[8:9], s[18:19], s[8:9]
	s_delay_alu instid0(SALU_CYCLE_1) | instskip(NEXT) | instid1(SALU_CYCLE_1)
	s_and_b64 s[10:11], s[8:9], 0xffffffff00000000
	s_cmp_lg_u64 s[10:11], 0
	s_cbranch_scc0 .LBB26_22
; %bb.4:
	s_add_nc_u64 s[10:11], s[16:17], 0
	s_delay_alu instid0(SALU_CYCLE_1) | instskip(SKIP_4) | instid1(SALU_CYCLE_2)
	s_xor_b64 s[12:13], s[10:11], 0
	s_mov_b32 s11, 0
	s_cvt_f32_u32 s3, s12
	s_cvt_f32_u32 s7, s13
	s_sub_nc_u64 s[24:25], 0, s[12:13]
	s_fmamk_f32 s3, s7, 0x4f800000, s3
	s_delay_alu instid0(SALU_CYCLE_3) | instskip(NEXT) | instid1(TRANS32_DEP_1)
	v_s_rcp_f32 s3, s3
	s_mul_f32 s3, s3, 0x5f7ffffc
	s_delay_alu instid0(SALU_CYCLE_3) | instskip(NEXT) | instid1(SALU_CYCLE_3)
	s_mul_f32 s7, s3, 0x2f800000
	s_trunc_f32 s7, s7
	s_delay_alu instid0(SALU_CYCLE_3) | instskip(SKIP_1) | instid1(SALU_CYCLE_2)
	s_fmamk_f32 s3, s7, 0xcf800000, s3
	s_cvt_u32_f32 s23, s7
	s_cvt_u32_f32 s22, s3
	s_delay_alu instid0(SALU_CYCLE_3) | instskip(NEXT) | instid1(SALU_CYCLE_1)
	s_mul_u64 s[26:27], s[24:25], s[22:23]
	s_mul_hi_u32 s29, s22, s27
	s_mul_i32 s28, s22, s27
	s_mul_hi_u32 s10, s22, s26
	s_mul_i32 s7, s23, s26
	s_add_nc_u64 s[28:29], s[10:11], s[28:29]
	s_mul_hi_u32 s3, s23, s26
	s_mul_hi_u32 s14, s23, s27
	s_add_co_u32 s7, s28, s7
	s_add_co_ci_u32 s10, s29, s3
	s_mul_i32 s26, s23, s27
	s_add_co_ci_u32 s27, s14, 0
	s_delay_alu instid0(SALU_CYCLE_1) | instskip(NEXT) | instid1(SALU_CYCLE_1)
	s_add_nc_u64 s[26:27], s[10:11], s[26:27]
	s_add_co_u32 s22, s22, s26
	s_cselect_b32 s3, -1, 0
	s_delay_alu instid0(SALU_CYCLE_1) | instskip(SKIP_1) | instid1(SALU_CYCLE_1)
	s_cmp_lg_u32 s3, 0
	s_add_co_ci_u32 s23, s23, s27
	s_mul_u64 s[24:25], s[24:25], s[22:23]
	s_delay_alu instid0(SALU_CYCLE_1)
	s_mul_hi_u32 s27, s22, s25
	s_mul_i32 s26, s22, s25
	s_mul_hi_u32 s10, s22, s24
	s_mul_i32 s7, s23, s24
	s_add_nc_u64 s[26:27], s[10:11], s[26:27]
	s_mul_hi_u32 s3, s23, s24
	s_mul_hi_u32 s14, s23, s25
	s_add_co_u32 s7, s26, s7
	s_add_co_ci_u32 s10, s27, s3
	s_mul_i32 s24, s23, s25
	s_add_co_ci_u32 s25, s14, 0
	s_delay_alu instid0(SALU_CYCLE_1) | instskip(NEXT) | instid1(SALU_CYCLE_1)
	s_add_nc_u64 s[24:25], s[10:11], s[24:25]
	s_add_co_u32 s3, s22, s24
	s_cselect_b32 s7, -1, 0
	s_delay_alu instid0(SALU_CYCLE_1) | instskip(SKIP_2) | instid1(SALU_CYCLE_1)
	s_cmp_lg_u32 s7, 0
	s_add_co_ci_u32 s7, s23, s25
	s_ashr_i32 s22, s9, 31
	s_mov_b32 s23, s22
	s_delay_alu instid0(SALU_CYCLE_1) | instskip(NEXT) | instid1(SALU_CYCLE_1)
	s_add_nc_u64 s[24:25], s[8:9], s[22:23]
	s_xor_b64 s[24:25], s[24:25], s[22:23]
	s_delay_alu instid0(SALU_CYCLE_1)
	s_mul_hi_u32 s27, s24, s7
	s_mul_i32 s26, s24, s7
	s_mul_hi_u32 s10, s24, s3
	s_mul_hi_u32 s14, s25, s3
	s_mul_i32 s3, s25, s3
	s_add_nc_u64 s[26:27], s[10:11], s[26:27]
	s_mul_hi_u32 s9, s25, s7
	s_add_co_u32 s3, s26, s3
	s_add_co_ci_u32 s10, s27, s14
	s_mul_i32 s28, s25, s7
	s_add_co_ci_u32 s29, s9, 0
	s_delay_alu instid0(SALU_CYCLE_1) | instskip(NEXT) | instid1(SALU_CYCLE_1)
	s_add_nc_u64 s[26:27], s[10:11], s[28:29]
	s_and_b64 s[28:29], s[26:27], 0xffffffff00000000
	s_delay_alu instid0(SALU_CYCLE_1) | instskip(NEXT) | instid1(SALU_CYCLE_1)
	s_or_b32 s28, s28, s26
	s_mul_u64 s[26:27], s[12:13], s[28:29]
	s_add_nc_u64 s[30:31], s[28:29], 1
	s_sub_co_u32 s3, s24, s26
	s_cselect_b32 s7, -1, 0
	s_sub_co_i32 s9, s25, s27
	s_cmp_lg_u32 s7, 0
	s_add_nc_u64 s[34:35], s[28:29], 2
	s_sub_co_ci_u32 s9, s9, s13
	s_sub_co_u32 s10, s3, s12
	s_cselect_b32 s14, -1, 0
	s_delay_alu instid0(SALU_CYCLE_1) | instskip(SKIP_1) | instid1(SALU_CYCLE_1)
	s_cmp_lg_u32 s14, 0
	s_sub_co_ci_u32 s9, s9, 0
	s_cmp_ge_u32 s9, s13
	s_cselect_b32 s14, -1, 0
	s_cmp_ge_u32 s10, s12
	s_cselect_b32 s10, -1, 0
	s_cmp_eq_u32 s9, s13
	s_cselect_b32 s9, s10, s14
	s_delay_alu instid0(SALU_CYCLE_1) | instskip(SKIP_4) | instid1(SALU_CYCLE_1)
	s_cmp_lg_u32 s9, 0
	s_cselect_b32 s9, s34, s30
	s_cselect_b32 s10, s35, s31
	s_cmp_lg_u32 s7, 0
	s_sub_co_ci_u32 s7, s25, s27
	s_cmp_ge_u32 s7, s13
	s_cselect_b32 s14, -1, 0
	s_cmp_ge_u32 s3, s12
	s_cselect_b32 s3, -1, 0
	s_cmp_eq_u32 s7, s13
	s_cselect_b32 s3, s3, s14
	s_delay_alu instid0(SALU_CYCLE_1) | instskip(SKIP_3) | instid1(SALU_CYCLE_1)
	s_cmp_lg_u32 s3, 0
	s_cselect_b32 s13, s10, s29
	s_cselect_b32 s12, s9, s28
	s_xor_b64 s[22:23], s[22:23], 0
	s_xor_b64 s[12:13], s[12:13], s[22:23]
	s_delay_alu instid0(SALU_CYCLE_1)
	s_sub_nc_u64 s[24:25], s[12:13], s[22:23]
	s_load_b96 s[12:14], s[0:1], 0x44
	s_cbranch_execnz .LBB26_6
.LBB26_5:
	v_cvt_f32_u32_e32 v1, s16
	s_sub_co_i32 s7, 0, s16
	s_delay_alu instid0(VALU_DEP_1) | instskip(SKIP_1) | instid1(TRANS32_DEP_1)
	v_rcp_iflag_f32_e32 v1, v1
	v_nop
	v_mul_f32_e32 v1, 0x4f7ffffe, v1
	s_delay_alu instid0(VALU_DEP_1) | instskip(NEXT) | instid1(VALU_DEP_1)
	v_cvt_u32_f32_e32 v1, v1
	v_readfirstlane_b32 s3, v1
	s_mul_i32 s7, s7, s3
	s_delay_alu instid0(SALU_CYCLE_1) | instskip(NEXT) | instid1(SALU_CYCLE_1)
	s_mul_hi_u32 s7, s3, s7
	s_add_co_i32 s3, s3, s7
	s_delay_alu instid0(SALU_CYCLE_1) | instskip(NEXT) | instid1(SALU_CYCLE_1)
	s_mul_hi_u32 s3, s8, s3
	s_mul_i32 s7, s3, s16
	s_delay_alu instid0(SALU_CYCLE_1)
	s_sub_co_i32 s7, s8, s7
	s_add_co_i32 s8, s3, 1
	s_sub_co_i32 s9, s7, s16
	s_cmp_ge_u32 s7, s16
	s_cselect_b32 s3, s8, s3
	s_cselect_b32 s7, s9, s7
	s_add_co_i32 s8, s3, 1
	s_cmp_ge_u32 s7, s16
	s_cselect_b32 s24, s8, s3
.LBB26_6:
	s_delay_alu instid0(SALU_CYCLE_1)
	s_cmp_eq_u32 s20, s24
	s_mov_b64 s[8:9], 0xffffffff
	s_cselect_b32 s3, -1, 0
	s_and_b64 s[8:9], s[20:21], s[8:9]
	s_mov_b32 s23, 0
	s_wait_kmcnt 0x0
	s_mov_b32 s22, s12
	s_mov_b32 s25, s23
	s_mul_u64 s[10:11], s[8:9], s[22:23]
	s_delay_alu instid0(SALU_CYCLE_1) | instskip(SKIP_2) | instid1(SALU_CYCLE_1)
	s_add_co_i32 s7, s11, s20
	s_mul_u64 s[10:11], s[24:25], s[22:23]
	s_lshr_b32 s12, s7, s13
	s_mul_i32 s7, s12, s14
	s_delay_alu instid0(SALU_CYCLE_1) | instskip(SKIP_2) | instid1(SALU_CYCLE_1)
	s_cmp_eq_u32 s7, s20
	s_cselect_b32 s7, -1, 0
	s_add_co_i32 s10, s11, s24
	s_lshr_b32 s10, s10, s13
	s_delay_alu instid0(SALU_CYCLE_1)
	s_cmp_eq_u32 s12, s10
	s_mul_i32 s10, s10, s14
	s_cselect_b32 s11, -1, 0
	s_cmp_lg_u32 s10, s24
	s_cselect_b32 s10, -1, 0
	s_or_b32 s3, s3, s7
	s_and_b32 s10, s11, s10
	s_delay_alu instid0(SALU_CYCLE_1) | instskip(NEXT) | instid1(SALU_CYCLE_1)
	s_or_b32 s3, s3, s10
	s_and_b32 vcc_lo, exec_lo, s3
	s_cbranch_vccnz .LBB26_24
; %bb.7:
	s_load_b256 s[24:31], s[0:1], 0x20
	s_bfe_u32 s7, ttmp6, 0x40014
	s_bfe_u32 s33, ttmp6, 0x40010
	s_lshr_b32 s3, ttmp7, 16
	s_add_co_i32 s7, s7, 1
	s_and_b32 s21, ttmp7, 0xffff
	s_add_co_i32 s33, s33, 1
	s_bfe_u32 s10, ttmp6, 0x40008
	s_mul_i32 s7, s3, s7
	s_bfe_u32 s34, ttmp6, 0x40004
	s_mul_i32 s33, s21, s33
	s_mov_b32 s11, s23
	s_add_co_i32 s35, s10, s7
	s_add_co_i32 s34, s34, s33
	s_cmp_eq_u32 s15, 0
	s_cselect_b32 s7, s21, s34
	s_cselect_b32 s3, s3, s35
	s_wait_kmcnt 0x0
	s_mov_b32 s10, s24
	s_delay_alu instid0(SALU_CYCLE_1) | instskip(NEXT) | instid1(SALU_CYCLE_1)
	s_mul_u64 s[8:9], s[8:9], s[10:11]
	s_add_co_i32 s8, s9, s20
	s_delay_alu instid0(SALU_CYCLE_1) | instskip(SKIP_2) | instid1(SALU_CYCLE_1)
	s_lshr_b32 s15, s8, s25
	s_load_b32 s8, s[0:1], 0x40
	s_mul_i32 s9, s15, s26
	s_sub_co_i32 s9, s20, s9
	s_delay_alu instid0(SALU_CYCLE_1) | instskip(NEXT) | instid1(SALU_CYCLE_1)
	s_mul_hi_u32 s10, s9, s27
	s_add_co_i32 s10, s9, s10
	s_delay_alu instid0(SALU_CYCLE_1) | instskip(NEXT) | instid1(SALU_CYCLE_1)
	s_lshr_b32 s21, s10, s28
	s_mul_i32 s10, s21, s29
	s_delay_alu instid0(SALU_CYCLE_1) | instskip(NEXT) | instid1(SALU_CYCLE_1)
	s_sub_co_i32 s10, s9, s10
	s_mul_hi_u32 s9, s10, s30
	s_delay_alu instid0(SALU_CYCLE_1) | instskip(NEXT) | instid1(SALU_CYCLE_1)
	s_add_co_i32 s9, s10, s9
	s_lshr_b32 s25, s9, s31
	s_mov_b32 s9, s23
	s_wait_kmcnt 0x0
	s_mul_i32 s8, s25, s8
	s_lshl_b32 s25, s25, 2
	s_sub_co_i32 s8, s10, s8
	s_delay_alu instid0(SALU_CYCLE_1) | instskip(NEXT) | instid1(SALU_CYCLE_1)
	s_mul_u64 s[10:11], s[8:9], s[22:23]
	s_add_co_i32 s8, s8, s11
	s_delay_alu instid0(SALU_CYCLE_1) | instskip(NEXT) | instid1(SALU_CYCLE_1)
	s_lshr_b32 s24, s8, s13
	s_lshl_b32 s8, s24, 2
	s_delay_alu instid0(SALU_CYCLE_1) | instskip(NEXT) | instid1(SALU_CYCLE_1)
	s_add_co_i32 s8, s8, s7
	s_cmp_lt_i32 s8, s4
	s_cselect_b32 s8, -1, 0
	s_add_co_i32 s25, s25, s3
	s_delay_alu instid0(SALU_CYCLE_1) | instskip(SKIP_1) | instid1(SALU_CYCLE_1)
	s_cmp_lt_i32 s25, s6
	s_cselect_b32 s9, -1, 0
	s_and_b32 s8, s8, s9
	s_delay_alu instid0(SALU_CYCLE_1)
	s_and_not1_b32 vcc_lo, exec_lo, s8
	s_cbranch_vccnz .LBB26_24
; %bb.8:
	s_load_b128 s[8:11], s[0:1], 0x0
	s_wait_xcnt 0x0
	s_mul_i32 s0, s15, s4
	s_mul_i32 s21, s21, s6
	s_add_co_i32 s0, s0, s7
	s_add_co_i32 s1, s25, s21
	s_mul_i32 s0, s0, s5
	s_mul_i32 s4, s5, s24
	s_add_co_i32 s0, s1, s0
	s_mulk_i32 s4, 0x120
	s_mulk_i32 s0, 0x48
	s_lshl_b32 s15, s7, 2
	v_add3_u32 v2, s4, s0, v0
	s_add_nc_u64 s[0:1], s[16:17], 0
	s_add_co_i32 s15, s15, s3
	s_xor_b64 s[6:7], s[0:1], 0
	s_lshl_b32 s0, s2, 4
	s_cvt_f32_u32 s3, s6
	s_cvt_f32_u32 s4, s7
	s_add_co_i32 s0, s15, s0
	v_cvt_f32_u32_e32 v4, s16
	s_wait_kmcnt 0x0
	global_load_b32 v1, v2, s[8:9] scale_offset
	s_fmamk_f32 s3, s4, 0x4f800000, s3
	s_ashr_i32 s1, s0, 31
	s_lshl_b32 s24, s16, 6
	s_lshl_b64 s[0:1], s[0:1], 3
	v_s_rcp_f32 s3, s3
	s_add_nc_u64 s[0:1], s[10:11], s[0:1]
	v_rcp_iflag_f32_e32 v4, v4
	s_load_b64 s[28:29], s[0:1], 0x0
	s_mov_b32 s25, 0
	v_mad_u32 v6, 0x48, s15, v0
	v_ashrrev_i32_e32 v3, 31, v2
	s_wait_xcnt 0x0
	s_lshl_b64 s[0:1], s[24:25], 2
	s_mul_f32 s3, s3, 0x5f7ffffc
	v_mul_f32_e32 v4, 0x4f7ffffe, v4
	s_add_nc_u64 s[26:27], s[10:11], s[0:1]
	v_lshl_add_u64 v[2:3], v[2:3], 2, s[8:9]
	s_mul_f32 s4, s3, 0x2f800000
	s_mov_b64 s[8:9], 0xffffffff
	v_cvt_u32_f32_e32 v7, v4
	s_add_co_i32 s36, s2, -1
	s_trunc_f32 s4, s4
	s_sub_nc_u64 s[34:35], 0, s[6:7]
	s_delay_alu instid0(SALU_CYCLE_2)
	s_fmamk_f32 s0, s4, 0xcf800000, s3
	s_cvt_u32_f32 s31, s4
	s_wait_kmcnt 0x0
	v_mov_b32_e32 v0, s29
	s_cvt_u32_f32 s30, s0
.LBB26_9:                               ; =>This Inner Loop Header: Depth=1
	s_ashr_i32 s37, s36, 31
                                        ; implicit-def: $sgpr40_sgpr41
	s_delay_alu instid0(SALU_CYCLE_1) | instskip(NEXT) | instid1(SALU_CYCLE_1)
	s_mul_u64 s[0:1], s[36:37], s[18:19]
	s_and_b64 s[2:3], s[0:1], 0xffffffff00000000
	s_delay_alu instid0(SALU_CYCLE_1)
	s_cmp_lg_u64 s[2:3], 0
	s_mov_b32 s2, -1
	s_cbranch_scc0 .LBB26_11
; %bb.10:                               ;   in Loop: Header=BB26_9 Depth=1
	s_mul_u64 s[2:3], s[34:35], s[30:31]
	s_delay_alu instid0(SALU_CYCLE_1)
	s_mul_hi_u32 s5, s30, s3
	s_mul_i32 s4, s30, s3
	s_mul_hi_u32 s24, s30, s2
	s_mul_hi_u32 s17, s31, s2
	s_add_nc_u64 s[4:5], s[24:25], s[4:5]
	s_mul_i32 s2, s31, s2
	s_mul_hi_u32 s21, s31, s3
	s_add_co_u32 s2, s4, s2
	s_add_co_ci_u32 s24, s5, s17
	s_add_co_ci_u32 s5, s21, 0
	s_mul_i32 s4, s31, s3
	s_delay_alu instid0(SALU_CYCLE_1) | instskip(NEXT) | instid1(SALU_CYCLE_1)
	s_add_nc_u64 s[2:3], s[24:25], s[4:5]
	s_add_co_u32 s2, s30, s2
	s_cselect_b32 s4, -1, 0
	s_delay_alu instid0(SALU_CYCLE_1) | instskip(SKIP_1) | instid1(SALU_CYCLE_1)
	s_cmp_lg_u32 s4, 0
	s_add_co_ci_u32 s3, s31, s3
	s_mul_u64 s[4:5], s[34:35], s[2:3]
	s_delay_alu instid0(SALU_CYCLE_1)
	s_mul_hi_u32 s39, s2, s5
	s_mul_i32 s38, s2, s5
	s_mul_hi_u32 s24, s2, s4
	s_mul_hi_u32 s17, s3, s4
	s_mul_i32 s4, s3, s4
	s_add_nc_u64 s[38:39], s[24:25], s[38:39]
	s_mul_hi_u32 s21, s3, s5
	s_add_co_u32 s4, s38, s4
	s_add_co_ci_u32 s24, s39, s17
	s_mul_i32 s4, s3, s5
	s_add_co_ci_u32 s5, s21, 0
	s_delay_alu instid0(SALU_CYCLE_1) | instskip(NEXT) | instid1(SALU_CYCLE_1)
	s_add_nc_u64 s[4:5], s[24:25], s[4:5]
	s_add_co_u32 s17, s2, s4
	s_cselect_b32 s2, -1, 0
	s_delay_alu instid0(SALU_CYCLE_1) | instskip(SKIP_2) | instid1(SALU_CYCLE_1)
	s_cmp_lg_u32 s2, 0
	s_add_co_ci_u32 s21, s3, s5
	s_ashr_i32 s2, s1, 31
	s_mov_b32 s3, s2
	s_delay_alu instid0(SALU_CYCLE_1) | instskip(NEXT) | instid1(SALU_CYCLE_1)
	s_add_nc_u64 s[4:5], s[0:1], s[2:3]
	s_xor_b64 s[4:5], s[4:5], s[2:3]
	s_delay_alu instid0(SALU_CYCLE_1)
	s_mul_hi_u32 s39, s4, s21
	s_mul_i32 s38, s4, s21
	s_mul_hi_u32 s24, s4, s17
	s_mul_hi_u32 s29, s5, s17
	s_mul_i32 s17, s5, s17
	s_add_nc_u64 s[38:39], s[24:25], s[38:39]
	s_mul_hi_u32 s1, s5, s21
	s_add_co_u32 s17, s38, s17
	s_add_co_ci_u32 s24, s39, s29
	s_mul_i32 s40, s5, s21
	s_add_co_ci_u32 s41, s1, 0
	s_delay_alu instid0(SALU_CYCLE_1) | instskip(NEXT) | instid1(SALU_CYCLE_1)
	s_add_nc_u64 s[38:39], s[24:25], s[40:41]
	s_and_b64 s[40:41], s[38:39], 0xffffffff00000000
	s_delay_alu instid0(SALU_CYCLE_1) | instskip(NEXT) | instid1(SALU_CYCLE_1)
	s_or_b32 s40, s40, s38
	s_mul_u64 s[38:39], s[6:7], s[40:41]
	s_add_nc_u64 s[42:43], s[40:41], 1
	s_sub_co_u32 s1, s4, s38
	s_cselect_b32 s4, -1, 0
	s_sub_co_i32 s17, s5, s39
	s_cmp_lg_u32 s4, 0
	s_add_nc_u64 s[44:45], s[40:41], 2
	s_sub_co_ci_u32 s17, s17, s7
	s_sub_co_u32 s21, s1, s6
	s_cselect_b32 s24, -1, 0
	s_delay_alu instid0(SALU_CYCLE_1) | instskip(SKIP_1) | instid1(SALU_CYCLE_1)
	s_cmp_lg_u32 s24, 0
	s_sub_co_ci_u32 s17, s17, 0
	s_cmp_ge_u32 s17, s7
	s_cselect_b32 s24, -1, 0
	s_cmp_ge_u32 s21, s6
	s_cselect_b32 s21, -1, 0
	s_cmp_eq_u32 s17, s7
	s_cselect_b32 s17, s21, s24
	s_delay_alu instid0(SALU_CYCLE_1) | instskip(SKIP_4) | instid1(SALU_CYCLE_1)
	s_cmp_lg_u32 s17, 0
	s_cselect_b32 s17, s44, s42
	s_cselect_b32 s21, s45, s43
	s_cmp_lg_u32 s4, 0
	s_sub_co_ci_u32 s4, s5, s39
	s_cmp_ge_u32 s4, s7
	s_cselect_b32 s5, -1, 0
	s_cmp_ge_u32 s1, s6
	s_cselect_b32 s1, -1, 0
	s_cmp_eq_u32 s4, s7
	s_cselect_b32 s1, s1, s5
	s_delay_alu instid0(SALU_CYCLE_1) | instskip(SKIP_3) | instid1(SALU_CYCLE_1)
	s_cmp_lg_u32 s1, 0
	s_cselect_b32 s5, s21, s41
	s_cselect_b32 s4, s17, s40
	s_xor_b64 s[2:3], s[2:3], 0
	s_xor_b64 s[4:5], s[4:5], s[2:3]
	s_delay_alu instid0(SALU_CYCLE_1)
	s_sub_nc_u64 s[40:41], s[4:5], s[2:3]
	s_mov_b32 s2, 0
.LBB26_11:                              ;   in Loop: Header=BB26_9 Depth=1
	s_delay_alu instid0(SALU_CYCLE_1)
	s_and_not1_b32 vcc_lo, exec_lo, s2
	s_cbranch_vccnz .LBB26_13
; %bb.12:                               ;   in Loop: Header=BB26_9 Depth=1
	v_readfirstlane_b32 s1, v7
	s_sub_co_i32 s2, 0, s16
	s_delay_alu instid0(SALU_CYCLE_1) | instskip(NEXT) | instid1(SALU_CYCLE_1)
	s_mul_i32 s2, s2, s1
	s_mul_hi_u32 s2, s1, s2
	s_delay_alu instid0(SALU_CYCLE_1) | instskip(NEXT) | instid1(SALU_CYCLE_1)
	s_add_co_i32 s1, s1, s2
	s_mul_hi_u32 s1, s0, s1
	s_delay_alu instid0(SALU_CYCLE_1) | instskip(NEXT) | instid1(SALU_CYCLE_1)
	s_mul_i32 s2, s1, s16
	s_sub_co_i32 s0, s0, s2
	s_add_co_i32 s2, s1, 1
	s_sub_co_i32 s3, s0, s16
	s_cmp_ge_u32 s0, s16
	s_cselect_b32 s1, s2, s1
	s_cselect_b32 s0, s3, s0
	s_add_co_i32 s2, s1, 1
	s_cmp_ge_u32 s0, s16
	s_cselect_b32 s24, s2, s1
	s_delay_alu instid0(SALU_CYCLE_1)
	s_mov_b64 s[40:41], s[24:25]
.LBB26_13:                              ;   in Loop: Header=BB26_9 Depth=1
	s_delay_alu instid0(SALU_CYCLE_1)
	s_cmp_lg_u32 s20, s40
	s_mov_b32 s0, -1
                                        ; implicit-def: $vgpr4_vgpr5
                                        ; implicit-def: $sgpr24
                                        ; implicit-def: $sgpr17
                                        ; implicit-def: $sgpr21
                                        ; implicit-def: $sgpr29
	s_cbranch_scc0 .LBB26_18
; %bb.14:                               ;   in Loop: Header=BB26_9 Depth=1
	s_add_co_i32 s0, s36, s16
	v_max_num_f32_e64 v4, s28, s28
	s_lshl_b32 s0, s0, 4
	s_mov_b32 s29, s20
	s_add_co_i32 s0, s0, s15
	s_load_b64 s[38:39], s[10:11], s0 offset:0x0 scale_offset
	s_wait_xcnt 0x0
	v_readfirstlane_b32 s0, v4
	s_wait_kmcnt 0x0
	v_max_num_f32_e64 v5, s38, s38
	s_delay_alu instid0(VALU_DEP_1) | instskip(SKIP_1) | instid1(SALU_CYCLE_3)
	v_readfirstlane_b32 s1, v5
	s_max_num_f32 s17, s0, s1
	s_sub_f32 s33, s28, s17
	s_sub_f32 s37, s38, s17
	s_delay_alu instid0(SALU_CYCLE_2)
	s_cmp_nlt_f32 s33, 0xc2ce8ed0
	s_cselect_b32 s1, -1, 0
	s_cmp_ngt_f32 s33, 0x42b17218
	s_cselect_b32 s2, -1, 0
	s_cmp_ge_f32 s33, 0xc1a00000
	s_cselect_b32 s0, -1, 0
	s_cmp_nlt_f32 s37, 0xc2ce8ed0
	s_cselect_b32 s3, -1, 0
	s_cmp_ngt_f32 s37, 0x42b17218
	s_cselect_b32 s4, -1, 0
	s_cmp_ge_f32 s37, 0xc1a00000
	s_cselect_b32 s5, -1, 0
	s_and_b64 s[42:43], s[40:41], s[8:9]
	s_delay_alu instid0(SALU_CYCLE_1) | instskip(NEXT) | instid1(SALU_CYCLE_1)
	s_mul_u64 s[42:43], s[42:43], s[22:23]
	s_add_co_i32 s21, s43, s40
	s_delay_alu instid0(SALU_CYCLE_1) | instskip(NEXT) | instid1(SALU_CYCLE_1)
	s_lshr_b32 s21, s21, s13
	s_mul_i32 s24, s21, s14
	s_delay_alu instid0(SALU_CYCLE_1) | instskip(SKIP_3) | instid1(SALU_CYCLE_1)
	s_cmp_eq_u32 s24, s40
	s_cselect_b32 s24, -1, 0
	s_cmp_lt_u32 s21, s12
	s_cselect_b32 s21, -1, 0
	s_or_b32 s21, s21, s24
	s_mov_b32 s24, -1
	s_and_b32 vcc_lo, exec_lo, s21
	s_mov_b32 s21, s36
	s_cbranch_vccnz .LBB26_16
; %bb.15:                               ;   in Loop: Header=BB26_9 Depth=1
	s_add_co_i32 s21, s36, -1
	s_mov_b32 s24, 0
	s_mov_b32 s29, s40
.LBB26_16:                              ;   in Loop: Header=BB26_9 Depth=1
	v_mad_u32 v4, 0x480, s36, v6
	s_mul_f32 s40, s33, 0x3fb8aa3b
	s_mul_f32 s38, s37, 0x3fb8aa3b
	s_delay_alu instid0(SALU_CYCLE_2)
	s_xor_b32 s42, s40, 0x80000000
	s_rndne_f32 s44, s40
	s_fmamk_f32 s42, s33, 0x3fb8aa3b, s42
	s_xor_b32 s41, s38, 0x80000000
	s_rndne_f32 s43, s38
	s_sub_f32 s40, s40, s44
	global_load_b32 v5, v4, s[26:27] scale_offset
	s_fmamk_f32 s33, s33, 0x32a5705f, s42
	s_fmamk_f32 s41, s37, 0x3fb8aa3b, s41
	s_sub_f32 s38, s38, s43
	s_delay_alu instid0(SALU_CYCLE_1) | instskip(NEXT) | instid1(SALU_CYCLE_1)
	s_add_f32 s33, s40, s33
	s_fmamk_f32 s37, s37, 0x32a5705f, s41
	s_cvt_i32_f32 s40, s44
	s_delay_alu instid0(SALU_CYCLE_1) | instskip(NEXT) | instid1(SALU_CYCLE_1)
	v_s_exp_f32 s33, s33
	s_add_f32 s37, s38, s37
	s_cvt_i32_f32 s38, s43
	s_delay_alu instid0(SALU_CYCLE_2) | instskip(NEXT) | instid1(TRANS32_DEP_2)
	v_s_exp_f32 s37, s37
	v_ldexp_f32 v8, s33, s40
	s_wait_xcnt 0x0
	s_delay_alu instid0(TRANS32_DEP_1) | instskip(NEXT) | instid1(VALU_DEP_2)
	v_ldexp_f32 v4, s37, s38
	v_cndmask_b32_e64 v8, 0, v8, s1
	s_delay_alu instid0(VALU_DEP_1) | instskip(NEXT) | instid1(VALU_DEP_1)
	v_cndmask_b32_e64 v9, 0x7f800000, v8, s2
	v_dual_cndmask_b32 v4, 0, v4, s3 :: v_dual_cndmask_b32 v10, 0, v9, s0
	s_delay_alu instid0(VALU_DEP_1) | instskip(NEXT) | instid1(VALU_DEP_1)
	v_cndmask_b32_e64 v4, 0x7f800000, v4, s4
	v_dual_cndmask_b32 v8, 0, v4, s5 :: v_dual_mov_b32 v4, s39
	s_wait_loadcnt 0x0
	s_delay_alu instid0(VALU_DEP_1) | instskip(NEXT) | instid1(VALU_DEP_1)
	v_pk_mul_f32 v[4:5], v[4:5], v[8:9] op_sel_hi:[1,0]
	v_pk_fma_f32 v[4:5], v[0:1], v[10:11], v[4:5] op_sel_hi:[1,0,1]
	s_cbranch_execz .LBB26_19
.LBB26_17:                              ;   in Loop: Header=BB26_9 Depth=1
	s_and_not1_b32 vcc_lo, exec_lo, s24
	s_cbranch_vccnz .LBB26_20
	s_branch .LBB26_23
.LBB26_18:                              ;   in Loop: Header=BB26_9 Depth=1
	s_and_not1_b32 vcc_lo, exec_lo, s0
	s_cbranch_vccnz .LBB26_17
.LBB26_19:                              ;   in Loop: Header=BB26_9 Depth=1
	s_wait_loadcnt 0x0
	v_mov_b64_e32 v[4:5], v[0:1]
	s_add_co_i32 s21, s36, -1
	s_mov_b32 s29, s20
	s_mov_b32 s17, s28
	s_cbranch_execz .LBB26_23
.LBB26_20:                              ;   in Loop: Header=BB26_9 Depth=1
	s_wait_loadcnt 0x0
	s_delay_alu instid0(VALU_DEP_1)
	v_mov_b64_e32 v[0:1], v[4:5]
	s_mov_b32 s20, s29
	s_mov_b32 s36, s21
	;; [unrolled: 1-line block ×3, first 2 shown]
	s_branch .LBB26_9
.LBB26_21:
                                        ; implicit-def: $sgpr20_sgpr21
	s_branch .LBB26_2
.LBB26_22:
                                        ; implicit-def: $sgpr24_sgpr25
	s_load_b96 s[12:14], s[0:1], 0x44
	s_branch .LBB26_5
.LBB26_23:
	s_delay_alu instid0(VALU_DEP_1) | instskip(SKIP_1) | instid1(VALU_DEP_1)
	v_div_scale_f32 v0, null, v4, v4, v5
	s_wait_loadcnt 0x0
	v_rcp_f32_e32 v1, v0
	v_nop
	s_delay_alu instid0(TRANS32_DEP_1) | instskip(NEXT) | instid1(VALU_DEP_1)
	v_fma_f32 v6, -v0, v1, 1.0
	v_fmac_f32_e32 v1, v6, v1
	v_div_scale_f32 v6, vcc_lo, v5, v4, v5
	s_delay_alu instid0(VALU_DEP_1) | instskip(NEXT) | instid1(VALU_DEP_1)
	v_mul_f32_e32 v7, v6, v1
	v_fma_f32 v8, -v0, v7, v6
	s_delay_alu instid0(VALU_DEP_1) | instskip(NEXT) | instid1(VALU_DEP_1)
	v_fmac_f32_e32 v7, v8, v1
	v_fma_f32 v0, -v0, v7, v6
	s_delay_alu instid0(VALU_DEP_1) | instskip(NEXT) | instid1(VALU_DEP_1)
	v_div_fmas_f32 v0, v0, v1, v7
	v_div_fixup_f32 v0, v0, v4, v5
	global_store_b32 v[2:3], v0, off
.LBB26_24:
	s_endpgm
	.section	.rodata,"a",@progbits
	.p2align	6, 0x0
	.amdhsa_kernel _ZL33flash_attn_stream_k_fixup_generalILi72ELi4ELi4EEvPfPK15HIP_vector_typeIfLj2EEiiiiS1_IjLj3EES5_S5_S5_
		.amdhsa_group_segment_fixed_size 0
		.amdhsa_private_segment_fixed_size 0
		.amdhsa_kernarg_size 336
		.amdhsa_user_sgpr_count 2
		.amdhsa_user_sgpr_dispatch_ptr 0
		.amdhsa_user_sgpr_queue_ptr 0
		.amdhsa_user_sgpr_kernarg_segment_ptr 1
		.amdhsa_user_sgpr_dispatch_id 0
		.amdhsa_user_sgpr_kernarg_preload_length 0
		.amdhsa_user_sgpr_kernarg_preload_offset 0
		.amdhsa_user_sgpr_private_segment_size 0
		.amdhsa_wavefront_size32 1
		.amdhsa_uses_dynamic_stack 0
		.amdhsa_enable_private_segment 0
		.amdhsa_system_sgpr_workgroup_id_x 1
		.amdhsa_system_sgpr_workgroup_id_y 1
		.amdhsa_system_sgpr_workgroup_id_z 1
		.amdhsa_system_sgpr_workgroup_info 0
		.amdhsa_system_vgpr_workitem_id 0
		.amdhsa_next_free_vgpr 12
		.amdhsa_next_free_sgpr 46
		.amdhsa_named_barrier_count 0
		.amdhsa_reserve_vcc 1
		.amdhsa_float_round_mode_32 0
		.amdhsa_float_round_mode_16_64 0
		.amdhsa_float_denorm_mode_32 3
		.amdhsa_float_denorm_mode_16_64 3
		.amdhsa_fp16_overflow 0
		.amdhsa_memory_ordered 1
		.amdhsa_forward_progress 1
		.amdhsa_inst_pref_size 27
		.amdhsa_round_robin_scheduling 0
		.amdhsa_exception_fp_ieee_invalid_op 0
		.amdhsa_exception_fp_denorm_src 0
		.amdhsa_exception_fp_ieee_div_zero 0
		.amdhsa_exception_fp_ieee_overflow 0
		.amdhsa_exception_fp_ieee_underflow 0
		.amdhsa_exception_fp_ieee_inexact 0
		.amdhsa_exception_int_div_zero 0
	.end_amdhsa_kernel
	.section	.text._ZL33flash_attn_stream_k_fixup_generalILi72ELi4ELi4EEvPfPK15HIP_vector_typeIfLj2EEiiiiS1_IjLj3EES5_S5_S5_,"axG",@progbits,_ZL33flash_attn_stream_k_fixup_generalILi72ELi4ELi4EEvPfPK15HIP_vector_typeIfLj2EEiiiiS1_IjLj3EES5_S5_S5_,comdat
.Lfunc_end26:
	.size	_ZL33flash_attn_stream_k_fixup_generalILi72ELi4ELi4EEvPfPK15HIP_vector_typeIfLj2EEiiiiS1_IjLj3EES5_S5_S5_, .Lfunc_end26-_ZL33flash_attn_stream_k_fixup_generalILi72ELi4ELi4EEvPfPK15HIP_vector_typeIfLj2EEiiiiS1_IjLj3EES5_S5_S5_
                                        ; -- End function
	.set _ZL33flash_attn_stream_k_fixup_generalILi72ELi4ELi4EEvPfPK15HIP_vector_typeIfLj2EEiiiiS1_IjLj3EES5_S5_S5_.num_vgpr, 12
	.set _ZL33flash_attn_stream_k_fixup_generalILi72ELi4ELi4EEvPfPK15HIP_vector_typeIfLj2EEiiiiS1_IjLj3EES5_S5_S5_.num_agpr, 0
	.set _ZL33flash_attn_stream_k_fixup_generalILi72ELi4ELi4EEvPfPK15HIP_vector_typeIfLj2EEiiiiS1_IjLj3EES5_S5_S5_.numbered_sgpr, 46
	.set _ZL33flash_attn_stream_k_fixup_generalILi72ELi4ELi4EEvPfPK15HIP_vector_typeIfLj2EEiiiiS1_IjLj3EES5_S5_S5_.num_named_barrier, 0
	.set _ZL33flash_attn_stream_k_fixup_generalILi72ELi4ELi4EEvPfPK15HIP_vector_typeIfLj2EEiiiiS1_IjLj3EES5_S5_S5_.private_seg_size, 0
	.set _ZL33flash_attn_stream_k_fixup_generalILi72ELi4ELi4EEvPfPK15HIP_vector_typeIfLj2EEiiiiS1_IjLj3EES5_S5_S5_.uses_vcc, 1
	.set _ZL33flash_attn_stream_k_fixup_generalILi72ELi4ELi4EEvPfPK15HIP_vector_typeIfLj2EEiiiiS1_IjLj3EES5_S5_S5_.uses_flat_scratch, 0
	.set _ZL33flash_attn_stream_k_fixup_generalILi72ELi4ELi4EEvPfPK15HIP_vector_typeIfLj2EEiiiiS1_IjLj3EES5_S5_S5_.has_dyn_sized_stack, 0
	.set _ZL33flash_attn_stream_k_fixup_generalILi72ELi4ELi4EEvPfPK15HIP_vector_typeIfLj2EEiiiiS1_IjLj3EES5_S5_S5_.has_recursion, 0
	.set _ZL33flash_attn_stream_k_fixup_generalILi72ELi4ELi4EEvPfPK15HIP_vector_typeIfLj2EEiiiiS1_IjLj3EES5_S5_S5_.has_indirect_call, 0
	.section	.AMDGPU.csdata,"",@progbits
; Kernel info:
; codeLenInByte = 3352
; TotalNumSgprs: 48
; NumVgprs: 12
; ScratchSize: 0
; MemoryBound: 0
; FloatMode: 240
; IeeeMode: 1
; LDSByteSize: 0 bytes/workgroup (compile time only)
; SGPRBlocks: 0
; VGPRBlocks: 0
; NumSGPRsForWavesPerEU: 48
; NumVGPRsForWavesPerEU: 12
; NamedBarCnt: 0
; Occupancy: 16
; WaveLimiterHint : 0
; COMPUTE_PGM_RSRC2:SCRATCH_EN: 0
; COMPUTE_PGM_RSRC2:USER_SGPR: 2
; COMPUTE_PGM_RSRC2:TRAP_HANDLER: 0
; COMPUTE_PGM_RSRC2:TGID_X_EN: 1
; COMPUTE_PGM_RSRC2:TGID_Y_EN: 1
; COMPUTE_PGM_RSRC2:TGID_Z_EN: 1
; COMPUTE_PGM_RSRC2:TIDIG_COMP_CNT: 0
	.section	.text._ZL15flash_attn_tileILi72ELi72ELi2ELi4ELb0EEvPKcS1_S1_S1_S1_PKiPfP15HIP_vector_typeIfLj2EEffffjfiS5_IjLj3EEiiiiiiiiiiiliiliiiiil,"axG",@progbits,_ZL15flash_attn_tileILi72ELi72ELi2ELi4ELb0EEvPKcS1_S1_S1_S1_PKiPfP15HIP_vector_typeIfLj2EEffffjfiS5_IjLj3EEiiiiiiiiiiiliiliiiiil,comdat
	.globl	_ZL15flash_attn_tileILi72ELi72ELi2ELi4ELb0EEvPKcS1_S1_S1_S1_PKiPfP15HIP_vector_typeIfLj2EEffffjfiS5_IjLj3EEiiiiiiiiiiiliiliiiiil ; -- Begin function _ZL15flash_attn_tileILi72ELi72ELi2ELi4ELb0EEvPKcS1_S1_S1_S1_PKiPfP15HIP_vector_typeIfLj2EEffffjfiS5_IjLj3EEiiiiiiiiiiiliiliiiiil
	.p2align	8
	.type	_ZL15flash_attn_tileILi72ELi72ELi2ELi4ELb0EEvPKcS1_S1_S1_S1_PKiPfP15HIP_vector_typeIfLj2EEffffjfiS5_IjLj3EEiiiiiiiiiiiliiliiiiil,@function
_ZL15flash_attn_tileILi72ELi72ELi2ELi4ELb0EEvPKcS1_S1_S1_S1_PKiPfP15HIP_vector_typeIfLj2EEffffjfiS5_IjLj3EEiiiiiiiiiiiliiliiiiil: ; @_ZL15flash_attn_tileILi72ELi72ELi2ELi4ELb0EEvPKcS1_S1_S1_S1_PKiPfP15HIP_vector_typeIfLj2EEffffjfiS5_IjLj3EEiiiiiiiiiiiliiliiiiil
; %bb.0:
	s_clause 0x1
	s_load_b128 s[20:23], s[0:1], 0x5c
	s_load_b64 s[30:31], s[0:1], 0x80
	s_bfe_u32 s5, ttmp6, 0x40014
	s_lshr_b32 s4, ttmp7, 16
	s_add_co_i32 s5, s5, 1
	s_bfe_u32 s6, ttmp6, 0x40008
	s_mul_i32 s5, s4, s5
	s_getreg_b32 s24, hwreg(HW_REG_IB_STS2, 6, 4)
	s_add_co_i32 s6, s6, s5
	s_mov_b32 s37, 0
	s_mov_b64 s[34:35], 0
	s_wait_kmcnt 0x0
	s_ashr_i32 s2, s23, 31
	s_delay_alu instid0(SALU_CYCLE_1) | instskip(NEXT) | instid1(SALU_CYCLE_1)
	s_lshr_b32 s2, s2, 30
	s_add_co_i32 s2, s23, s2
	s_delay_alu instid0(SALU_CYCLE_1) | instskip(NEXT) | instid1(SALU_CYCLE_1)
	s_ashr_i32 s2, s2, 2
	s_cvt_f32_u32 s3, s2
	s_sub_co_i32 s7, 0, s2
	s_delay_alu instid0(SALU_CYCLE_2) | instskip(SKIP_1) | instid1(TRANS32_DEP_1)
	v_rcp_iflag_f32_e32 v1, s3
	v_nop
	v_readfirstlane_b32 s3, v1
	s_mul_f32 s3, s3, 0x4f7ffffe
	s_delay_alu instid0(SALU_CYCLE_3) | instskip(NEXT) | instid1(SALU_CYCLE_3)
	s_cvt_u32_f32 s3, s3
	s_mul_i32 s7, s7, s3
	s_delay_alu instid0(SALU_CYCLE_1) | instskip(NEXT) | instid1(SALU_CYCLE_1)
	s_mul_hi_u32 s7, s3, s7
	s_add_co_i32 s3, s3, s7
	s_cmp_eq_u32 s24, 0
	s_cselect_b32 s4, s4, s6
	s_delay_alu instid0(SALU_CYCLE_1) | instskip(NEXT) | instid1(SALU_CYCLE_1)
	s_mul_hi_u32 s3, s4, s3
	s_mul_i32 s5, s3, s2
	s_add_co_i32 s6, s3, 1
	s_sub_co_i32 s5, s4, s5
	s_delay_alu instid0(SALU_CYCLE_1)
	s_sub_co_i32 s7, s5, s2
	s_cmp_ge_u32 s5, s2
	s_cselect_b32 s3, s6, s3
	s_cselect_b32 s5, s7, s5
	s_add_co_i32 s6, s3, 1
	s_cmp_ge_u32 s5, s2
	s_cselect_b32 s28, s6, s3
	s_abs_i32 s2, s31
	s_abs_i32 s6, s23
	s_cvt_f32_u32 s3, s2
	s_sub_co_i32 s5, 0, s2
	s_lshl_b32 s25, s4, 2
	s_xor_b32 s4, s23, s31
	v_rcp_iflag_f32_e32 v1, s3
	s_ashr_i32 s26, s4, 31
	v_nop
	s_delay_alu instid0(TRANS32_DEP_1) | instskip(SKIP_1) | instid1(SALU_CYCLE_3)
	v_readfirstlane_b32 s3, v1
	s_mul_f32 s3, s3, 0x4f7ffffe
	s_cvt_u32_f32 s3, s3
	s_delay_alu instid0(SALU_CYCLE_3) | instskip(NEXT) | instid1(SALU_CYCLE_1)
	s_mul_i32 s5, s5, s3
	s_mul_hi_u32 s5, s3, s5
	s_delay_alu instid0(SALU_CYCLE_1) | instskip(NEXT) | instid1(SALU_CYCLE_1)
	s_add_co_i32 s3, s3, s5
	s_mul_hi_u32 s3, s6, s3
	s_delay_alu instid0(SALU_CYCLE_1) | instskip(NEXT) | instid1(SALU_CYCLE_1)
	s_mul_i32 s5, s3, s2
	s_sub_co_i32 s4, s6, s5
	s_add_co_i32 s5, s3, 1
	s_sub_co_i32 s6, s4, s2
	s_cmp_ge_u32 s4, s2
	s_cselect_b32 s3, s5, s3
	s_cselect_b32 s4, s6, s4
	s_add_co_i32 s5, s3, 1
	s_cmp_ge_u32 s4, s2
	s_cselect_b32 s2, s5, s3
	s_load_b512 s[4:19], s[0:1], 0x0
	s_xor_b32 s27, s2, s26
	s_load_b64 s[2:3], s[0:1], 0xb8
	s_sub_co_i32 s29, s27, s26
	s_delay_alu instid0(SALU_CYCLE_1) | instskip(NEXT) | instid1(SALU_CYCLE_1)
	s_abs_i32 s39, s29
	s_cvt_f32_u32 s26, s39
	s_delay_alu instid0(SALU_CYCLE_3) | instskip(SKIP_2) | instid1(TRANS32_DEP_1)
	v_rcp_iflag_f32_e32 v1, s26
	s_mul_i32 s26, s28, s23
	v_nop
	v_readfirstlane_b32 s36, v1
	s_wait_kmcnt 0x0
	s_cmp_eq_u64 s[10:11], 0
	s_cbranch_scc1 .LBB27_2
; %bb.1:
	s_abs_i32 s2, s2
	s_abs_i32 s33, s28
	s_cvt_f32_u32 s27, s2
	s_sub_co_i32 s31, 0, s2
	s_load_b64 s[34:35], s[0:1], 0xc8
	s_delay_alu instid0(SALU_CYCLE_1) | instskip(SKIP_1) | instid1(TRANS32_DEP_1)
	v_rcp_iflag_f32_e32 v1, s27
	v_nop
	v_readfirstlane_b32 s27, v1
	s_mul_f32 s27, s27, 0x4f7ffffe
	s_delay_alu instid0(SALU_CYCLE_3) | instskip(NEXT) | instid1(SALU_CYCLE_3)
	s_cvt_u32_f32 s27, s27
	s_mul_i32 s31, s31, s27
	s_delay_alu instid0(SALU_CYCLE_1) | instskip(NEXT) | instid1(SALU_CYCLE_1)
	s_mul_hi_u32 s31, s27, s31
	s_add_co_i32 s27, s27, s31
	s_ashr_i32 s31, s28, 31
	s_mul_hi_u32 s27, s33, s27
	s_delay_alu instid0(SALU_CYCLE_1) | instskip(NEXT) | instid1(SALU_CYCLE_1)
	s_mul_i32 s27, s27, s2
	s_sub_co_i32 s27, s33, s27
	s_delay_alu instid0(SALU_CYCLE_1) | instskip(SKIP_2) | instid1(SALU_CYCLE_1)
	s_sub_co_i32 s33, s27, s2
	s_cmp_ge_u32 s27, s2
	s_cselect_b32 s27, s33, s27
	s_sub_co_i32 s33, s27, s2
	s_cmp_ge_u32 s27, s2
	s_cselect_b32 s2, s33, s27
	s_delay_alu instid0(SALU_CYCLE_1) | instskip(NEXT) | instid1(SALU_CYCLE_1)
	s_xor_b32 s2, s2, s31
	s_sub_co_i32 s40, s2, s31
	s_delay_alu instid0(SALU_CYCLE_1) | instskip(SKIP_2) | instid1(SALU_CYCLE_1)
	s_ashr_i32 s41, s40, 31
	s_wait_kmcnt 0x0
	s_mul_u64 s[34:35], s[34:35], s[40:41]
	s_add_nc_u64 s[34:35], s[10:11], s[34:35]
.LBB27_2:
	s_bfe_u32 s2, ttmp6, 0x4000c
	v_and_b32_e32 v14, 0x3ff, v0
	s_add_co_i32 s2, s2, 1
	v_bfe_u32 v5, v0, 10, 10
	s_and_b32 s10, ttmp6, 15
	s_mul_i32 s2, ttmp9, s2
	s_sub_co_i32 s31, s25, s26
	s_add_co_i32 s10, s10, s2
	s_movk_i32 s11, 0x90
	s_cmp_eq_u32 s24, 0
	v_cmp_gt_u32_e64 s2, 18, v14
	v_mad_u32_u24 v13, v5, s11, 0x14e0
	v_dual_lshlrev_b32 v16, 3, v14 :: v_dual_bitop2_b32 v0, 3, v5 bitop3:0x40
	v_lshrrev_b32_e32 v15, 2, v5
	s_cselect_b32 s10, ttmp9, s10
	s_delay_alu instid0(SALU_CYCLE_1)
	s_lshl_b32 s33, s10, 1
	s_and_saveexec_b32 s11, s2
	s_cbranch_execz .LBB27_4
; %bb.3:
	v_add_nc_u32_e32 v2, s33, v15
	s_load_b96 s[40:42], s[0:1], 0x70
	v_lshlrev_b32_e32 v8, 4, v14
	s_delay_alu instid0(VALU_DEP_2) | instskip(NEXT) | instid1(VALU_DEP_1)
	v_mul_hi_u32 v1, s20, v2
	v_add_nc_u32_e32 v1, v2, v1
	s_delay_alu instid0(VALU_DEP_1)
	v_lshrrev_b32_e32 v1, s21, v1
	s_wait_kmcnt 0x0
	s_ashr_i32 s27, s41, 31
	s_mov_b32 s26, s41
	s_mul_i32 s44, s31, s41
	s_lshr_b64 s[26:27], s[26:27], 2
	v_mul_lo_u32 v4, v1, s22
	v_mov_b32_e32 v1, 0
	s_ashr_i32 s41, s40, 31
	s_ashr_i32 s45, s44, 31
	s_delay_alu instid0(VALU_DEP_1) | instskip(SKIP_2) | instid1(VALU_DEP_4)
	v_dual_mov_b32 v3, v1 :: v_dual_mov_b32 v9, v1
	v_mul_u64_e32 v[6:7], s[26:27], v[0:1]
	s_lshr_b64 s[26:27], s[40:41], 2
	v_sub_nc_u32_e32 v2, v2, v4
	s_delay_alu instid0(VALU_DEP_1) | instskip(SKIP_1) | instid1(SALU_CYCLE_1)
	v_mul_u64_e32 v[2:3], s[26:27], v[2:3]
	s_mul_i32 s26, s28, s42
	s_ashr_i32 s27, s26, 31
	s_delay_alu instid0(SALU_CYCLE_1) | instskip(NEXT) | instid1(SALU_CYCLE_1)
	s_add_nc_u64 s[4:5], s[4:5], s[26:27]
	s_add_nc_u64 s[4:5], s[4:5], s[44:45]
	s_delay_alu instid0(VALU_DEP_3) | instid1(SALU_CYCLE_1)
	v_lshl_add_u64 v[6:7], v[6:7], 2, s[4:5]
	s_load_b32 s4, s[0:1], 0x40
	s_delay_alu instid0(VALU_DEP_1) | instskip(NEXT) | instid1(VALU_DEP_1)
	v_lshl_add_u64 v[2:3], v[2:3], 2, v[6:7]
	v_add_nc_u64_e32 v[2:3], v[2:3], v[8:9]
	global_load_b128 v[6:9], v[2:3], off
	s_wait_loadcnt 0x0
	s_wait_kmcnt 0x0
	v_fma_mixlo_f16 v1, s4, v6, 0
	v_mov_b32_e32 v6, v9
	s_delay_alu instid0(VALU_DEP_2) | instskip(NEXT) | instid1(VALU_DEP_2)
	v_and_b32_e32 v1, 0xffff, v1
	v_pk_mul_f32 v[2:3], s[4:5], v[6:7] op_sel_hi:[0,1]
	s_delay_alu instid0(VALU_DEP_1) | instskip(SKIP_1) | instid1(VALU_DEP_2)
	v_cvt_pk_f16_f32 v2, v2, v3
	v_fma_mixlo_f16 v3, s4, v8, 0
	v_and_b32_e32 v4, 0xffff0000, v2
	s_delay_alu instid0(VALU_DEP_2) | instskip(NEXT) | instid1(VALU_DEP_2)
	v_and_b32_e32 v3, 0xffff, v3
	v_dual_lshlrev_b32 v2, 16, v2 :: v_dual_bitop2_b32 v1, v4, v1 bitop3:0x54
	v_add_nc_u32_e32 v4, v13, v16
	s_delay_alu instid0(VALU_DEP_2) | instskip(NEXT) | instid1(VALU_DEP_3)
	v_or3_b32 v3, v2, v3, 0
	v_or3_b32 v2, 0, 0, v1
	ds_store_b64 v4, v[2:3]
.LBB27_4:
	s_or_b32 exec_lo, exec_lo, s11
	s_cmp_eq_u64 s[14:15], 0
	s_wait_dscnt 0x0
	s_barrier_signal -1
	s_barrier_wait -1
	s_cbranch_scc1 .LBB27_6
; %bb.5:
	s_load_b32 s4, s[0:1], 0xd0
	s_wait_kmcnt 0x0
	s_mul_i32 s4, s4, s28
	s_delay_alu instid0(SALU_CYCLE_1)
	s_add_co_i32 s4, s4, s10
	s_load_b32 s30, s[14:15], s4 offset:0x0 scale_offset
.LBB27_6:
	s_wait_xcnt 0x0
	s_bfe_u32 s4, ttmp6, 0x40010
	s_and_b32 s5, ttmp7, 0xffff
	s_add_co_i32 s4, s4, 1
	s_bfe_u32 s10, ttmp6, 0x40004
	s_mul_i32 s4, s5, s4
	v_mbcnt_lo_u32_b32 v1, -1, 0
	s_add_co_i32 s10, s10, s4
	s_cmp_eq_u32 s24, 0
	s_cselect_b32 s38, s5, s10
	s_mov_b32 s5, 0
	s_lshl_b32 s4, s38, 5
	s_wait_kmcnt 0x0
	s_cmp_lt_i32 s4, s30
	s_cbranch_scc1 .LBB27_9
; %bb.7:
	v_mbcnt_lo_u32_b32 v2, -1, 0
	s_delay_alu instid0(VALU_DEP_1)
	v_dual_mov_b32 v17, 32 :: v_dual_bitop2_b32 v22, 16, v2 bitop3:0x14
	v_xor_b32_e32 v21, 8, v2
	v_xor_b32_e32 v20, 4, v2
	;; [unrolled: 1-line block ×4, first 2 shown]
	s_and_not1_b32 vcc_lo, exec_lo, s5
	s_cbranch_vccz .LBB27_10
; %bb.8:
	v_dual_mov_b32 v32, 0 :: v_dual_mov_b32 v34, 0
	v_dual_mov_b32 v12, 0xfeffffff :: v_dual_mov_b32 v33, 0
	s_branch .LBB27_18
.LBB27_9:
                                        ; implicit-def: $vgpr2
                                        ; implicit-def: $vgpr17
                                        ; implicit-def: $vgpr22
                                        ; implicit-def: $vgpr21
                                        ; implicit-def: $vgpr20
                                        ; implicit-def: $vgpr19
                                        ; implicit-def: $vgpr18
.LBB27_10:
	v_dual_add_nc_u32 v9, s33, v15 :: v_dual_lshrrev_b32 v3, 3, v14
	s_clause 0x1
	s_load_b64 s[14:15], s[0:1], 0x8c
	s_load_b128 s[24:27], s[0:1], 0x98
	s_mul_f32 s5, s36, 0x4f7ffffe
	v_dual_mov_b32 v7, 0 :: v_dual_lshlrev_b32 v4, 2, v14
	v_mul_hi_u32 v2, s20, v9
	s_delay_alu instid0(SALU_CYCLE_1)
	s_cvt_u32_f32 s5, s5
	s_sub_co_i32 s10, 0, s39
	v_lshl_add_u32 v12, v5, 2, v3
	s_abs_i32 s36, s31
	s_mul_i32 s10, s10, s5
	s_mov_b32 s11, s37
	s_mul_hi_u32 s10, s5, s10
	s_load_b64 s[40:41], s[0:1], 0xa8
	s_add_co_i32 s10, s5, s10
	s_delay_alu instid0(VALU_DEP_2)
	v_dual_add_nc_u32 v2, v9, v2 :: v_dual_bitop2_b32 v6, 28, v4 bitop3:0x40
	s_mul_u64 s[10:11], s[36:37], s[10:11]
	s_ashr_i32 s42, s31, 31
	s_mul_i32 s5, s11, s39
	s_ashr_i32 s43, s29, 31
	v_lshrrev_b32_e32 v3, s21, v2
	s_sub_co_i32 s5, s36, s5
	s_ashr_i32 s3, s3, 1
	s_ashr_i32 s29, s28, 31
	s_xor_b32 s37, s42, s43
	v_mul_lo_u32 v17, v3, s22
	s_wait_kmcnt 0x0
	s_ashr_i32 s10, s26, 2
	s_ashr_i32 s14, s14, 2
	s_add_co_i32 s26, s11, 1
	s_sub_co_i32 s36, s5, s39
	v_lshl_add_u32 v11, v5, 5, v14
	s_cmp_ge_u32 s5, s39
	v_mul_lo_u32 v2, s14, v12
	s_cselect_b32 s11, s26, s11
	s_cselect_b32 s5, s36, s5
	s_add_co_i32 s26, s11, 1
	v_mul_lo_u32 v4, s14, v11
	v_mul_lo_u32 v8, s10, v11
	;; [unrolled: 1-line block ×3, first 2 shown]
	v_sub_nc_u32_e32 v9, v9, v17
	s_cmp_ge_u32 s5, s39
	v_lshlrev_b32_e32 v18, 2, v6
	s_cselect_b32 s5, s26, s11
	v_lshl_add_u32 v25, v5, 6, 0x1960
	s_xor_b32 s5, s5, s37
	v_mad_u32 v27, v9, s3, v14
	s_mul_u64 s[24:25], s[24:25], s[28:29]
	s_sub_co_i32 s5, s5, s37
	s_add_nc_u64 s[6:7], s[6:7], s[24:25]
	s_mul_i32 s24, s5, s15
	s_mul_i32 s20, s5, s27
	s_movk_i32 s5, 0x80
	s_movk_i32 s3, 0x90
	s_mul_u64 s[36:37], s[40:41], s[28:29]
	v_cmp_gt_u32_e32 vcc_lo, 32, v11
	v_dual_ashrrev_i32 v3, 31, v2 :: v_dual_ashrrev_i32 v9, 31, v8
	v_mul_u32_u24_e32 v24, 0xa0, v14
	v_ashrrev_i32_e32 v5, 31, v4
	v_mad_u32_u24 v23, 0xa0, v12, v18
	v_mad_u32_u24 v26, 0xa0, v11, s5
	v_lshl_add_u32 v28, v14, 1, v25
	v_mad_u32_u24 v29, v11, s3, 0x80
	v_dual_ashrrev_i32 v11, 31, v10 :: v_dual_mov_b32 v17, 32
	v_mad_u32_u24 v30, 0x90, v12, v18
	v_dual_mov_b32 v35, 0xfeffffff :: v_dual_lshlrev_b32 v6, 2, v6
	v_dual_mov_b32 v33, v7 :: v_dual_bitop2_b32 v22, 16, v1 bitop3:0x14
	v_dual_mov_b32 v32, v7 :: v_dual_bitop2_b32 v21, 8, v1 bitop3:0x14
	;; [unrolled: 1-line block ×3, first 2 shown]
	v_xor_b32_e32 v19, 2, v1
	v_xor_b32_e32 v18, 1, v1
	s_ashr_i32 s25, s24, 31
	s_add_nc_u64 s[8:9], s[8:9], s[36:37]
	s_ashr_i32 s21, s20, 31
	s_add_nc_u64 s[6:7], s[6:7], s[24:25]
	s_add_nc_u64 s[8:9], s[8:9], s[20:21]
	s_ashr_i32 s15, s14, 31
	s_ashr_i32 s11, s10, 31
	s_add_nc_u64 s[20:21], s[0:1], 0xd0
.LBB27_11:                              ; =>This Inner Loop Header: Depth=1
	s_ashr_i32 s5, s4, 31
	s_delay_alu instid0(SALU_CYCLE_1) | instskip(NEXT) | instid1(SALU_CYCLE_1)
	s_mul_u64 s[24:25], s[4:5], s[14:15]
	s_lshl_b64 s[24:25], s[24:25], 2
	s_delay_alu instid0(SALU_CYCLE_1)
	s_add_nc_u64 s[24:25], s[6:7], s[24:25]
	s_and_saveexec_b32 s3, vcc_lo
	s_cbranch_execz .LBB27_13
; %bb.12:                               ;   in Loop: Header=BB27_11 Depth=1
	v_lshl_add_u64 v[36:37], v[4:5], 2, s[24:25]
	global_load_b128 v[36:39], v[36:37], off offset:128
	s_wait_loadcnt 0x0
	ds_store_b128 v26, v[36:39]
.LBB27_13:                              ;   in Loop: Header=BB27_11 Depth=1
	s_or_b32 exec_lo, exec_lo, s3
	v_lshl_add_u64 v[36:37], v[2:3], 2, s[24:25]
	v_dual_mov_b32 v34, 0 :: v_dual_add_nc_u32 v12, s4, v27
	v_cmp_gt_i32_e64 s3, 32, v22
	s_mul_u64 s[24:25], s[4:5], s[10:11]
	v_add_nc_u64_e32 v[36:37], v[36:37], v[6:7]
	s_lshl_b64 s[24:25], s[24:25], 2
	s_delay_alu instid0(SALU_CYCLE_1)
	s_add_nc_u64 s[24:25], s[8:9], s[24:25]
	global_load_b128 v[36:39], v[36:37], off
	s_wait_loadcnt 0x0
	ds_store_b128 v23, v[36:39]
	s_wait_dscnt 0x0
	s_barrier_signal -1
	s_barrier_wait -1
	ds_load_b128 v[36:39], v24
	ds_load_b128 v[40:43], v13
	s_wait_dscnt 0x0
	;;#ASMSTART
	v_dot2_f32_f16 v34, v36, v40, v34
	;;#ASMEND
	;;#ASMSTART
	v_dot2_f32_f16 v34, v37, v41, v34
	;;#ASMEND
	;;#ASMSTART
	v_dot2_f32_f16 v34, v38, v42, v34
	;;#ASMEND
	;;#ASMSTART
	v_dot2_f32_f16 v34, v39, v43, v34
	;;#ASMEND
	ds_load_b128 v[36:39], v24 offset:16
	ds_load_b128 v[40:43], v13 offset:16
	s_wait_dscnt 0x0
	;;#ASMSTART
	v_dot2_f32_f16 v34, v36, v40, v34
	;;#ASMEND
	;;#ASMSTART
	v_dot2_f32_f16 v34, v37, v41, v34
	;;#ASMEND
	;;#ASMSTART
	v_dot2_f32_f16 v34, v38, v42, v34
	;;#ASMEND
	;;#ASMSTART
	v_dot2_f32_f16 v34, v39, v43, v34
	;;#ASMEND
	ds_load_b128 v[36:39], v24 offset:32
	ds_load_b128 v[40:43], v13 offset:32
	s_wait_dscnt 0x0
	;;#ASMSTART
	v_dot2_f32_f16 v34, v36, v40, v34
	;;#ASMEND
	;;#ASMSTART
	v_dot2_f32_f16 v34, v37, v41, v34
	;;#ASMEND
	;;#ASMSTART
	v_dot2_f32_f16 v34, v38, v42, v34
	;;#ASMEND
	;;#ASMSTART
	v_dot2_f32_f16 v34, v39, v43, v34
	;;#ASMEND
	ds_load_b128 v[36:39], v24 offset:48
	ds_load_b128 v[40:43], v13 offset:48
	s_wait_dscnt 0x0
	;;#ASMSTART
	v_dot2_f32_f16 v34, v36, v40, v34
	;;#ASMEND
	;;#ASMSTART
	v_dot2_f32_f16 v34, v37, v41, v34
	;;#ASMEND
	;;#ASMSTART
	v_dot2_f32_f16 v34, v38, v42, v34
	;;#ASMEND
	;;#ASMSTART
	v_dot2_f32_f16 v34, v39, v43, v34
	;;#ASMEND
	ds_load_b128 v[36:39], v24 offset:64
	ds_load_b128 v[40:43], v13 offset:64
	s_wait_dscnt 0x0
	;;#ASMSTART
	v_dot2_f32_f16 v34, v36, v40, v34
	;;#ASMEND
	;;#ASMSTART
	v_dot2_f32_f16 v34, v37, v41, v34
	;;#ASMEND
	;;#ASMSTART
	v_dot2_f32_f16 v34, v38, v42, v34
	;;#ASMEND
	;;#ASMSTART
	v_dot2_f32_f16 v34, v39, v43, v34
	;;#ASMEND
	ds_load_b128 v[36:39], v24 offset:80
	ds_load_b128 v[40:43], v13 offset:80
	s_wait_dscnt 0x0
	;;#ASMSTART
	v_dot2_f32_f16 v34, v36, v40, v34
	;;#ASMEND
	;;#ASMSTART
	v_dot2_f32_f16 v34, v37, v41, v34
	;;#ASMEND
	;;#ASMSTART
	v_dot2_f32_f16 v34, v38, v42, v34
	;;#ASMEND
	;;#ASMSTART
	v_dot2_f32_f16 v34, v39, v43, v34
	;;#ASMEND
	ds_load_b128 v[36:39], v24 offset:96
	ds_load_b128 v[40:43], v13 offset:96
	s_wait_dscnt 0x0
	;;#ASMSTART
	v_dot2_f32_f16 v34, v36, v40, v34
	;;#ASMEND
	;;#ASMSTART
	v_dot2_f32_f16 v34, v37, v41, v34
	;;#ASMEND
	;;#ASMSTART
	v_dot2_f32_f16 v34, v38, v42, v34
	;;#ASMEND
	;;#ASMSTART
	v_dot2_f32_f16 v34, v39, v43, v34
	;;#ASMEND
	ds_load_b128 v[36:39], v24 offset:112
	ds_load_b128 v[40:43], v13 offset:112
	s_wait_dscnt 0x0
	;;#ASMSTART
	v_dot2_f32_f16 v34, v36, v40, v34
	;;#ASMEND
	;;#ASMSTART
	v_dot2_f32_f16 v34, v37, v41, v34
	;;#ASMEND
	;;#ASMSTART
	v_dot2_f32_f16 v34, v38, v42, v34
	;;#ASMEND
	;;#ASMSTART
	v_dot2_f32_f16 v34, v39, v43, v34
	;;#ASMEND
	ds_load_b128 v[36:39], v24 offset:128
	ds_load_b128 v[40:43], v13 offset:128
	s_wait_dscnt 0x0
	;;#ASMSTART
	v_dot2_f32_f16 v34, v36, v40, v34
	;;#ASMEND
	;;#ASMSTART
	v_dot2_f32_f16 v34, v37, v41, v34
	;;#ASMEND
	;; [unrolled: 3-line block ×4, first 2 shown]
	global_load_u16 v12, v12, s[34:35] scale_offset
	s_wait_loadcnt 0x0
	s_barrier_signal -1
	s_barrier_wait -1
	s_wait_xcnt 0x0
	v_cvt_f32_f16_e32 v12, v12
	s_delay_alu instid0(VALU_DEP_1) | instskip(SKIP_2) | instid1(VALU_DEP_3)
	v_dual_add_f32 v34, v34, v12 :: v_dual_cndmask_b32 v12, v1, v22, s3
	v_max_num_f32_e32 v36, v35, v35
	v_cmp_gt_i32_e64 s3, 32, v21
	v_dual_add_f32 v37, 0x40051340, v34 :: v_dual_lshlrev_b32 v12, 2, v12
	s_delay_alu instid0(VALU_DEP_1) | instskip(SKIP_4) | instid1(VALU_DEP_2)
	v_max_num_f32_e32 v36, v36, v37
	ds_bpermute_b32 v12, v12, v36
	v_cndmask_b32_e64 v37, v1, v21, s3
	v_cmp_gt_i32_e64 s3, 32, v20
	s_wait_dscnt 0x0
	v_dual_max_num_f32 v12, v12, v12 :: v_dual_lshlrev_b32 v37, 2, v37
	s_delay_alu instid0(VALU_DEP_1) | instskip(SKIP_4) | instid1(VALU_DEP_2)
	v_max_num_f32_e32 v12, v36, v12
	ds_bpermute_b32 v36, v37, v12
	v_cndmask_b32_e64 v37, v1, v20, s3
	v_cmp_gt_i32_e64 s3, 32, v19
	s_wait_dscnt 0x0
	v_dual_max_num_f32 v36, v36, v36 :: v_dual_lshlrev_b32 v37, 2, v37
	;; [unrolled: 7-line block ×3, first 2 shown]
	s_delay_alu instid0(VALU_DEP_1) | instskip(SKIP_3) | instid1(VALU_DEP_1)
	v_max_num_f32_e32 v12, v12, v36
	ds_bpermute_b32 v36, v37, v12
	v_cndmask_b32_e64 v37, v1, v18, s3
	s_wait_dscnt 0x0
	v_dual_max_num_f32 v36, v36, v36 :: v_dual_lshlrev_b32 v37, 2, v37
	s_delay_alu instid0(VALU_DEP_1) | instskip(SKIP_3) | instid1(VALU_DEP_1)
	v_max_num_f32_e32 v12, v12, v36
	ds_bpermute_b32 v36, v37, v12
	s_wait_dscnt 0x0
	v_max_num_f32_e32 v36, v36, v36
	v_max_num_f32_e32 v12, v12, v36
	s_delay_alu instid0(VALU_DEP_1) | instskip(NEXT) | instid1(VALU_DEP_1)
	v_sub_f32_e32 v34, v34, v12
	v_mul_f32_e32 v36, 0x3fb8aa3b, v34
	s_delay_alu instid0(VALU_DEP_1) | instskip(SKIP_1) | instid1(VALU_DEP_2)
	v_fma_f32 v37, 0x3fb8aa3b, v34, -v36
	v_rndne_f32_e32 v38, v36
	v_fmac_f32_e32 v37, 0x32a5705f, v34
	s_delay_alu instid0(VALU_DEP_2) | instskip(NEXT) | instid1(VALU_DEP_1)
	v_sub_f32_e32 v36, v36, v38
	v_add_f32_e32 v36, v36, v37
	v_cvt_i32_f32_e32 v37, v38
	v_cmp_ngt_f32_e64 s3, 0xc2ce8ed0, v34
	s_delay_alu instid0(VALU_DEP_3) | instskip(SKIP_1) | instid1(TRANS32_DEP_1)
	v_exp_f32_e32 v36, v36
	v_nop
	v_ldexp_f32 v36, v36, v37
	s_delay_alu instid0(VALU_DEP_1) | instskip(SKIP_1) | instid1(VALU_DEP_1)
	v_cndmask_b32_e64 v36, 0, v36, s3
	v_cmp_nlt_f32_e64 s3, 0x42b17218, v34
	v_cndmask_b32_e64 v34, 0x7f800000, v36, s3
	s_delay_alu instid0(VALU_DEP_1)
	v_cvt_f16_f32_e32 v36, v34
	ds_store_b16 v28, v36
	s_and_saveexec_b32 s3, vcc_lo
	s_cbranch_execz .LBB27_15
; %bb.14:                               ;   in Loop: Header=BB27_11 Depth=1
	v_lshl_add_u64 v[36:37], v[8:9], 2, s[24:25]
	global_load_b128 v[36:39], v[36:37], off offset:128
	s_wait_loadcnt 0x0
	ds_store_b128 v29, v[36:39]
.LBB27_15:                              ;   in Loop: Header=BB27_11 Depth=1
	s_or_b32 exec_lo, exec_lo, s3
	v_lshl_add_u64 v[36:37], v[10:11], 2, s[24:25]
	v_sub_f32_e32 v35, v35, v12
	v_add_nc_u32_e32 v60, 0x800, v16
	s_delay_alu instid0(VALU_DEP_3)
	v_add_nc_u64_e32 v[36:37], v[36:37], v[6:7]
	global_load_b128 v[36:39], v[36:37], off
	s_wait_loadcnt 0x0
	ds_store_b128 v30, v[36:39]
	s_wait_dscnt 0x0
	s_barrier_signal -1
	s_barrier_wait -1
	ds_load_b128 v[36:39], v25
	v_mul_f32_e32 v40, 0x3fb8aa3b, v35
	s_delay_alu instid0(VALU_DEP_1) | instskip(SKIP_1) | instid1(VALU_DEP_1)
	v_fma_f32 v41, 0x3fb8aa3b, v35, -v40
	v_rndne_f32_e32 v42, v40
	v_dual_sub_f32 v40, v40, v42 :: v_dual_fmac_f32 v41, 0x32a5705f, v35
	v_cmp_ngt_f32_e64 s3, 0xc2ce8ed0, v35
	s_delay_alu instid0(VALU_DEP_2) | instskip(SKIP_1) | instid1(VALU_DEP_2)
	v_add_f32_e32 v40, v40, v41
	v_cvt_i32_f32_e32 v41, v42
	v_exp_f32_e32 v40, v40
	v_nop
	s_delay_alu instid0(TRANS32_DEP_1) | instskip(NEXT) | instid1(VALU_DEP_1)
	v_ldexp_f32 v40, v40, v41
	v_cndmask_b32_e64 v44, 0, v40, s3
	ds_load_2addr_b64 v[40:43], v16 offset1:18
	v_cmp_nlt_f32_e64 s3, 0x42b17218, v35
	s_delay_alu instid0(VALU_DEP_1)
	v_cndmask_b32_e64 v35, 0x7f800000, v44, s3
	ds_load_b128 v[44:47], v25 offset:16
	s_wait_dscnt 0x2
	v_and_b32_e32 v52, 0xffff, v36
	v_lshrrev_b32_e32 v36, 16, v36
	v_and_b32_e32 v57, 0xffff, v37
	v_cvt_f16_f32_e32 v48, v35
	v_lshrrev_b32_e32 v37, 16, v37
	v_mul_u32_u24_e32 v52, 0x10001, v52
	v_mul_u32_u24_e32 v36, 0x10001, v36
	v_dual_fmac_f32 v34, v31, v35 :: v_dual_add_nc_u32 v61, 0xc00, v16
	v_and_b32_e32 v53, 0xffff, v48
	ds_load_2addr_b64 v[48:51], v16 offset0:36 offset1:54
	v_mul_u32_u24_e32 v37, 0x10001, v37
	s_wait_dscnt 0x2
	v_pk_mul_f16 v40, v40, v52
	v_pk_mul_f16 v41, v41, v52
	v_mul_u32_u24_e32 v56, 0x10001, v53
	ds_load_2addr_b64 v[52:55], v16 offset0:72 offset1:90
	v_pk_fma_f16 v33, v33, v56, v40
	v_pk_fma_f16 v32, v32, v56, v41
	v_mul_u32_u24_e32 v56, 0x10001, v57
	s_wait_dscnt 0x2
	v_and_b32_e32 v57, 0xffff, v45
	v_lshrrev_b32_e32 v45, 16, v45
	v_pk_fma_f16 v33, v42, v36, v33
	v_pk_fma_f16 v32, v43, v36, v32
	ds_load_2addr_b64 v[40:43], v16 offset0:108 offset1:126
	v_and_b32_e32 v36, 0xffff, v38
	v_lshrrev_b32_e32 v38, 16, v38
	v_mul_u32_u24_e32 v57, 0x10001, v57
	s_wait_dscnt 0x2
	v_pk_fma_f16 v33, v48, v56, v33
	v_pk_fma_f16 v32, v49, v56, v32
	v_mul_u32_u24_e32 v36, 0x10001, v36
	v_mul_u32_u24_e32 v38, 0x10001, v38
	v_add_nc_u32_e32 v56, 0x400, v16
	v_pk_fma_f16 v33, v50, v37, v33
	v_pk_fma_f16 v32, v51, v37, v32
	ds_load_2addr_b64 v[48:51], v16 offset0:144 offset1:162
	v_and_b32_e32 v37, 0xffff, v39
	v_mul_u32_u24_e32 v45, 0x10001, v45
	s_wait_dscnt 0x2
	v_pk_fma_f16 v33, v52, v36, v33
	v_pk_fma_f16 v32, v53, v36, v32
	v_lshrrev_b32_e32 v52, 16, v39
	v_mul_u32_u24_e32 v53, 0x10001, v37
	s_delay_alu instid0(VALU_DEP_4) | instskip(NEXT) | instid1(VALU_DEP_4)
	v_pk_fma_f16 v33, v54, v38, v33
	v_pk_fma_f16 v32, v55, v38, v32
	ds_load_2addr_b64 v[36:39], v16 offset0:180 offset1:198
	v_and_b32_e32 v54, 0xffff, v44
	v_mul_u32_u24_e32 v52, 0x10001, v52
	s_wait_dscnt 0x2
	v_pk_fma_f16 v33, v40, v53, v33
	v_pk_fma_f16 v32, v41, v53, v32
	v_lshrrev_b32_e32 v44, 16, v44
	v_mul_u32_u24_e32 v53, 0x10001, v54
	s_delay_alu instid0(VALU_DEP_4) | instskip(NEXT) | instid1(VALU_DEP_4)
	v_pk_fma_f16 v33, v42, v52, v33
	v_pk_fma_f16 v32, v43, v52, v32
	ds_load_2addr_b64 v[40:43], v16 offset0:216 offset1:234
	v_mul_u32_u24_e32 v44, 0x10001, v44
	s_wait_dscnt 0x2
	v_pk_fma_f16 v33, v48, v53, v33
	v_pk_fma_f16 v32, v49, v53, v32
	ds_load_b128 v[52:55], v25 offset:32
	v_pk_fma_f16 v33, v50, v44, v33
	v_pk_fma_f16 v32, v51, v44, v32
	ds_load_2addr_b64 v[48:51], v56 offset0:124 offset1:142
	v_and_b32_e32 v44, 0xffff, v46
	v_lshrrev_b32_e32 v46, 16, v46
	s_wait_dscnt 0x3
	v_pk_fma_f16 v33, v36, v57, v33
	v_pk_fma_f16 v32, v37, v57, v32
	ds_load_b128 v[56:59], v25 offset:48
	v_mul_u32_u24_e32 v44, 0x10001, v44
	v_pk_fma_f16 v33, v38, v45, v33
	v_pk_fma_f16 v32, v39, v45, v32
	ds_load_2addr_b64 v[36:39], v60 offset0:32 offset1:50
	v_and_b32_e32 v45, 0xffff, v47
	s_wait_dscnt 0x4
	v_pk_fma_f16 v33, v40, v44, v33
	v_pk_fma_f16 v32, v41, v44, v32
	v_lshrrev_b32_e32 v44, 16, v47
	v_mul_u32_u24_e32 v46, 0x10001, v46
	v_mul_u32_u24_e32 v45, 0x10001, v45
	s_wait_dscnt 0x3
	v_and_b32_e32 v64, 0xffff, v55
	v_mul_u32_u24_e32 v44, 0x10001, v44
	v_pk_fma_f16 v33, v42, v46, v33
	v_pk_fma_f16 v32, v43, v46, v32
	ds_load_2addr_b64 v[40:43], v60 offset0:68 offset1:86
	v_and_b32_e32 v46, 0xffff, v52
	s_wait_dscnt 0x3
	v_pk_fma_f16 v33, v48, v45, v33
	v_pk_fma_f16 v32, v49, v45, v32
	v_lshrrev_b32_e32 v48, 16, v52
	v_mul_u32_u24_e32 v49, 0x10001, v46
	v_add_nc_u32_e32 v52, 0x1000, v16
	v_pk_fma_f16 v33, v50, v44, v33
	v_pk_fma_f16 v32, v51, v44, v32
	ds_load_2addr_b64 v[44:47], v60 offset0:104 offset1:122
	v_and_b32_e32 v50, 0xffff, v53
	s_wait_dscnt 0x2
	v_pk_fma_f16 v33, v36, v49, v33
	v_pk_fma_f16 v32, v37, v49, v32
	v_lshrrev_b32_e32 v49, 16, v53
	v_mul_u32_u24_e32 v48, 0x10001, v48
	v_mul_u32_u24_e32 v50, 0x10001, v50
	v_and_b32_e32 v53, 0xffff, v54
	v_lshrrev_b32_e32 v54, 16, v54
	v_mul_u32_u24_e32 v62, 0x10001, v49
	v_pk_fma_f16 v33, v38, v48, v33
	v_pk_fma_f16 v32, v39, v48, v32
	ds_load_2addr_b64 v[36:39], v60 offset0:140 offset1:158
	v_mul_u32_u24_e32 v53, 0x10001, v53
	s_wait_dscnt 0x2
	v_pk_fma_f16 v33, v40, v50, v33
	v_pk_fma_f16 v32, v41, v50, v32
	ds_load_2addr_b64 v[48:51], v60 offset0:176 offset1:194
	v_pk_fma_f16 v33, v42, v62, v33
	v_pk_fma_f16 v32, v43, v62, v32
	ds_load_2addr_b64 v[40:43], v60 offset0:212 offset1:230
	ds_load_2addr_b64 v[60:63], v61 offset0:120 offset1:138
	s_wait_dscnt 0x4
	v_pk_fma_f16 v33, v44, v53, v33
	v_pk_fma_f16 v32, v45, v53, v32
	v_lshrrev_b32_e32 v53, 16, v55
	v_mul_u32_u24_e32 v54, 0x10001, v54
	v_mul_u32_u24_e32 v55, 0x10001, v64
	s_delay_alu instid0(VALU_DEP_3) | instskip(NEXT) | instid1(VALU_DEP_3)
	v_mul_u32_u24_e32 v53, 0x10001, v53
	v_pk_fma_f16 v33, v46, v54, v33
	v_pk_fma_f16 v32, v47, v54, v32
	ds_load_2addr_b64 v[44:47], v52 offset0:28 offset1:46
	v_and_b32_e32 v52, 0xffff, v56
	s_wait_dscnt 0x0
	v_pk_fma_f16 v33, v36, v55, v33
	v_pk_fma_f16 v32, v37, v55, v32
	v_lshrrev_b32_e32 v36, 16, v56
	v_mul_u32_u24_e32 v37, 0x10001, v52
	s_barrier_signal -1
	v_pk_fma_f16 v33, v38, v53, v33
	v_pk_fma_f16 v32, v39, v53, v32
	v_and_b32_e32 v38, 0xffff, v57
	s_barrier_wait -1
	s_delay_alu instid0(VALU_DEP_3) | instskip(NEXT) | instid1(VALU_DEP_3)
	v_pk_fma_f16 v33, v48, v37, v33
	v_pk_fma_f16 v32, v49, v37, v32
	v_lshrrev_b32_e32 v37, 16, v57
	v_mul_u32_u24_e32 v36, 0x10001, v36
	v_mul_u32_u24_e32 v38, 0x10001, v38
	s_load_b32 s3, s[20:21], 0x4
	s_delay_alu instid0(VALU_DEP_3) | instskip(NEXT) | instid1(VALU_DEP_3)
	v_mul_u32_u24_e32 v37, 0x10001, v37
	v_pk_fma_f16 v33, v50, v36, v33
	v_pk_fma_f16 v32, v51, v36, v32
	v_and_b32_e32 v36, 0xffff, v58
	s_delay_alu instid0(VALU_DEP_3) | instskip(NEXT) | instid1(VALU_DEP_3)
	v_pk_fma_f16 v33, v40, v38, v33
	v_pk_fma_f16 v32, v41, v38, v32
	v_lshrrev_b32_e32 v38, 16, v58
	s_delay_alu instid0(VALU_DEP_4) | instskip(NEXT) | instid1(VALU_DEP_4)
	v_mul_u32_u24_e32 v36, 0x10001, v36
	v_pk_fma_f16 v33, v42, v37, v33
	s_delay_alu instid0(VALU_DEP_4) | instskip(SKIP_1) | instid1(VALU_DEP_3)
	v_pk_fma_f16 v32, v43, v37, v32
	v_and_b32_e32 v37, 0xffff, v59
	v_pk_fma_f16 v33, v60, v36, v33
	s_delay_alu instid0(VALU_DEP_3)
	v_pk_fma_f16 v32, v61, v36, v32
	v_lshrrev_b32_e32 v36, 16, v59
	v_mul_u32_u24_e32 v38, 0x10001, v38
	v_mul_u32_u24_e32 v37, 0x10001, v37
	s_wait_kmcnt 0x0
	s_lshl_b32 s3, s3, 5
	v_mul_u32_u24_e32 v36, 0x10001, v36
	v_pk_fma_f16 v33, v62, v38, v33
	v_pk_fma_f16 v32, v63, v38, v32
	s_add_co_i32 s4, s3, s4
	s_delay_alu instid0(SALU_CYCLE_1) | instskip(NEXT) | instid1(VALU_DEP_2)
	s_cmp_ge_i32 s4, s30
	v_pk_fma_f16 v33, v44, v37, v33
	s_delay_alu instid0(VALU_DEP_2) | instskip(NEXT) | instid1(VALU_DEP_2)
	v_pk_fma_f16 v32, v45, v37, v32
	v_pk_fma_f16 v33, v46, v36, v33
	s_delay_alu instid0(VALU_DEP_2)
	v_pk_fma_f16 v32, v47, v36, v32
	s_cbranch_scc1 .LBB27_17
; %bb.16:                               ;   in Loop: Header=BB27_11 Depth=1
	v_dual_mov_b32 v35, v12 :: v_dual_mov_b32 v31, v34
	s_branch .LBB27_11
.LBB27_17:
	v_mov_b32_e32 v2, v1
.LBB27_18:
	v_cmp_lt_i32_e32 vcc_lo, v22, v17
	s_cmp_lg_u64 s[12:13], 0
	s_cselect_b32 s3, -1, 0
	s_cmp_eq_u32 s38, 0
	v_cndmask_b32_e32 v1, v2, v22, vcc_lo
	v_cmp_lt_i32_e32 vcc_lo, v21, v17
	s_cselect_b32 s4, -1, 0
	s_delay_alu instid0(SALU_CYCLE_1) | instskip(SKIP_3) | instid1(VALU_DEP_3)
	s_and_b32 s3, s4, s3
	v_cndmask_b32_e32 v3, v2, v21, vcc_lo
	v_lshlrev_b32_e32 v1, 2, v1
	v_cmp_lt_i32_e32 vcc_lo, v20, v17
	v_lshlrev_b32_e32 v3, 2, v3
	ds_bpermute_b32 v1, v1, v34
	v_cndmask_b32_e32 v4, v2, v20, vcc_lo
	v_cmp_lt_i32_e32 vcc_lo, v19, v17
	s_wait_dscnt 0x0
	s_delay_alu instid0(VALU_DEP_2)
	v_dual_add_f32 v1, v34, v1 :: v_dual_lshlrev_b32 v4, 2, v4
	ds_bpermute_b32 v3, v3, v1
	s_wait_dscnt 0x0
	v_add_f32_e32 v1, v1, v3
	ds_bpermute_b32 v3, v4, v1
	v_cndmask_b32_e32 v4, v2, v19, vcc_lo
	v_cmp_lt_i32_e32 vcc_lo, v18, v17
	s_delay_alu instid0(VALU_DEP_2)
	v_dual_cndmask_b32 v2, v2, v18, vcc_lo :: v_dual_lshlrev_b32 v4, 2, v4
	s_and_b32 vcc_lo, exec_lo, s3
	s_wait_dscnt 0x0
	v_add_f32_e32 v1, v1, v3
	ds_bpermute_b32 v3, v4, v1
	s_wait_dscnt 0x0
	v_dual_add_f32 v1, v1, v3 :: v_dual_lshlrev_b32 v2, 2, v2
	ds_bpermute_b32 v2, v2, v1
	s_wait_dscnt 0x0
	v_add_f32_e32 v13, v1, v2
	s_cbranch_vccz .LBB27_21
; %bb.19:
	v_max_num_f32_e32 v2, v12, v12
	v_add_nc_u32_e32 v1, s31, v0
	global_load_b32 v1, v1, s[12:13] scale_offset
	s_wait_loadcnt 0x0
	v_max_num_f32_e32 v3, v1, v1
	s_delay_alu instid0(VALU_DEP_1) | instskip(NEXT) | instid1(VALU_DEP_1)
	v_max_num_f32_e32 v2, v2, v3
	v_dual_sub_f32 v3, v12, v2 :: v_dual_sub_f32 v1, v1, v2
	s_delay_alu instid0(VALU_DEP_1) | instskip(SKIP_1) | instid1(VALU_DEP_2)
	v_dual_mul_f32 v4, 0x3fb8aa3b, v3 :: v_dual_mul_f32 v7, 0x3fb8aa3b, v1
	v_cmp_ngt_f32_e32 vcc_lo, 0xc2ce8ed0, v3
	v_fma_f32 v5, 0x3fb8aa3b, v3, -v4
	v_rndne_f32_e32 v6, v4
	s_delay_alu instid0(VALU_DEP_4) | instskip(SKIP_1) | instid1(VALU_DEP_3)
	v_fma_f32 v8, 0x3fb8aa3b, v1, -v7
	v_rndne_f32_e32 v9, v7
	v_dual_fmac_f32 v5, 0x32a5705f, v3 :: v_dual_sub_f32 v4, v4, v6
	s_delay_alu instid0(VALU_DEP_3) | instskip(SKIP_1) | instid1(VALU_DEP_3)
	v_fmac_f32_e32 v8, 0x32a5705f, v1
	v_cvt_i32_f32_e32 v6, v6
	v_add_f32_e32 v4, v4, v5
	v_sub_f32_e32 v5, v7, v9
	s_delay_alu instid0(VALU_DEP_1) | instskip(NEXT) | instid1(VALU_DEP_3)
	v_add_f32_e32 v5, v5, v8
	v_exp_f32_e32 v4, v4
	s_delay_alu instid0(VALU_DEP_1) | instskip(NEXT) | instid1(TRANS32_DEP_2)
	v_exp_f32_e32 v5, v5
	v_ldexp_f32 v4, v4, v6
	v_cvt_i32_f32_e32 v6, v9
	s_delay_alu instid0(VALU_DEP_2)
	v_cndmask_b32_e32 v4, 0, v4, vcc_lo
	v_cmp_nlt_f32_e32 vcc_lo, 0x42b17218, v3
	s_delay_alu instid0(TRANS32_DEP_1) | instid1(VALU_DEP_3)
	v_ldexp_f32 v3, v5, v6
	s_delay_alu instid0(VALU_DEP_3) | instskip(SKIP_1) | instid1(VALU_DEP_2)
	v_cndmask_b32_e32 v4, 0x7f800000, v4, vcc_lo
	v_cmp_ngt_f32_e32 vcc_lo, 0xc2ce8ed0, v1
	v_cvt_f16_f32_e32 v5, v4
	s_delay_alu instid0(VALU_DEP_4) | instskip(SKIP_1) | instid1(VALU_DEP_3)
	v_cndmask_b32_e32 v3, 0, v3, vcc_lo
	v_cmp_nlt_f32_e32 vcc_lo, 0x42b17218, v1
	v_and_b32_e32 v5, 0xffff, v5
	s_delay_alu instid0(VALU_DEP_3) | instskip(NEXT) | instid1(VALU_DEP_2)
	v_cndmask_b32_e32 v3, 0x7f800000, v3, vcc_lo
	v_mul_u32_u24_e32 v1, 0x10001, v5
	s_delay_alu instid0(VALU_DEP_2) | instskip(NEXT) | instid1(VALU_DEP_2)
	v_fmac_f32_e32 v3, v13, v4
	v_pk_mul_f16 v33, v33, v1
	v_pk_mul_f16 v32, v32, v1
	s_delay_alu instid0(VALU_DEP_3) | instskip(SKIP_2) | instid1(VALU_DEP_1)
	v_mov_b64_e32 v[12:13], v[2:3]
	v_add_nc_u32_e32 v1, s33, v15
	s_mov_b32 s3, exec_lo
	v_cmpx_gt_i32_e64 s22, v1
	s_cbranch_execnz .LBB27_22
.LBB27_20:
	s_sendmsg sendmsg(MSG_DEALLOC_VGPRS)
	s_endpgm
.LBB27_21:
	s_delay_alu instid0(VALU_DEP_1) | instskip(SKIP_1) | instid1(VALU_DEP_1)
	v_dual_mov_b32 v3, v13 :: v_dual_add_nc_u32 v1, s33, v15
	s_mov_b32 s3, exec_lo
	v_cmpx_gt_i32_e64 s22, v1
	s_cbranch_execz .LBB27_20
.LBB27_22:
	v_mad_u32 v1, s28, s22, v1
	s_load_b32 s0, s[0:1], 0xd4
	v_add_nc_u32_e32 v0, s31, v0
	s_delay_alu instid0(VALU_DEP_1) | instskip(SKIP_2) | instid1(VALU_DEP_1)
	v_mad_u32 v0, v1, s23, v0
	s_wait_kmcnt 0x0
	s_cmp_lg_u32 s0, 1
	v_mad_u32 v0, s0, v0, s38
	s_cselect_b32 s0, -1, 0
	s_and_saveexec_b32 s1, s2
	s_cbranch_execz .LBB27_24
; %bb.23:
	v_div_scale_f32 v1, null, v3, v3, 1.0
	v_div_scale_f32 v5, vcc_lo, 1.0, v3, 1.0
	v_lshrrev_b32_e32 v9, 16, v32
	s_delay_alu instid0(VALU_DEP_3) | instskip(SKIP_1) | instid1(TRANS32_DEP_1)
	v_rcp_f32_e32 v2, v1
	v_lshrrev_b32_e32 v7, 16, v33
	v_fma_f32 v4, -v1, v2, 1.0
	s_delay_alu instid0(VALU_DEP_1) | instskip(NEXT) | instid1(VALU_DEP_1)
	v_fmac_f32_e32 v2, v4, v2
	v_mul_f32_e32 v4, v5, v2
	s_delay_alu instid0(VALU_DEP_1) | instskip(NEXT) | instid1(VALU_DEP_1)
	v_fma_f32 v6, -v1, v4, v5
	v_fmac_f32_e32 v4, v6, v2
	s_delay_alu instid0(VALU_DEP_1) | instskip(SKIP_1) | instid1(VALU_DEP_2)
	v_dual_lshlrev_b32 v6, 2, v14 :: v_dual_fma_f32 v1, -v1, v4, v5
	v_mov_b32_e32 v5, 0
	v_div_fmas_f32 v1, v1, v2, v4
	s_delay_alu instid0(VALU_DEP_3) | instskip(SKIP_2) | instid1(VALU_DEP_4)
	v_mad_u32 v4, 0x48, v0, v6
	v_cvt_f32_f16_e32 v2, v33
	v_cvt_f32_f16_e32 v6, v32
	v_div_fixup_f32 v1, v1, v3, 1.0
	v_cvt_f32_f16_e32 v3, v7
	v_cvt_f32_f16_e32 v7, v9
	s_delay_alu instid0(VALU_DEP_3) | instskip(SKIP_1) | instid1(VALU_DEP_2)
	v_cndmask_b32_e64 v8, v1, 1.0, s0
	v_lshl_add_u64 v[10:11], v[4:5], 2, s[16:17]
	v_pk_mul_f32 v[2:3], v[8:9], v[2:3] op_sel_hi:[0,1]
	s_delay_alu instid0(VALU_DEP_4)
	v_pk_mul_f32 v[4:5], v[8:9], v[6:7] op_sel_hi:[0,1]
	global_store_b128 v[10:11], v[2:5], off
.LBB27_24:
	s_wait_xcnt 0x0
	s_or_b32 exec_lo, exec_lo, s1
	v_cmp_eq_u32_e32 vcc_lo, 0, v14
	s_and_b32 s0, vcc_lo, s0
	s_delay_alu instid0(SALU_CYCLE_1)
	s_and_b32 exec_lo, exec_lo, s0
	s_cbranch_execz .LBB27_20
; %bb.25:
	global_store_b64 v0, v[12:13], s[18:19] scale_offset
	s_sendmsg sendmsg(MSG_DEALLOC_VGPRS)
	s_endpgm
	.section	.rodata,"a",@progbits
	.p2align	6, 0x0
	.amdhsa_kernel _ZL15flash_attn_tileILi72ELi72ELi2ELi4ELb0EEvPKcS1_S1_S1_S1_PKiPfP15HIP_vector_typeIfLj2EEffffjfiS5_IjLj3EEiiiiiiiiiiiliiliiiiil
		.amdhsa_group_segment_fixed_size 7008
		.amdhsa_private_segment_fixed_size 0
		.amdhsa_kernarg_size 464
		.amdhsa_user_sgpr_count 2
		.amdhsa_user_sgpr_dispatch_ptr 0
		.amdhsa_user_sgpr_queue_ptr 0
		.amdhsa_user_sgpr_kernarg_segment_ptr 1
		.amdhsa_user_sgpr_dispatch_id 0
		.amdhsa_user_sgpr_kernarg_preload_length 0
		.amdhsa_user_sgpr_kernarg_preload_offset 0
		.amdhsa_user_sgpr_private_segment_size 0
		.amdhsa_wavefront_size32 1
		.amdhsa_uses_dynamic_stack 0
		.amdhsa_enable_private_segment 0
		.amdhsa_system_sgpr_workgroup_id_x 1
		.amdhsa_system_sgpr_workgroup_id_y 1
		.amdhsa_system_sgpr_workgroup_id_z 1
		.amdhsa_system_sgpr_workgroup_info 0
		.amdhsa_system_vgpr_workitem_id 1
		.amdhsa_next_free_vgpr 65
		.amdhsa_next_free_sgpr 46
		.amdhsa_named_barrier_count 0
		.amdhsa_reserve_vcc 1
		.amdhsa_float_round_mode_32 0
		.amdhsa_float_round_mode_16_64 0
		.amdhsa_float_denorm_mode_32 3
		.amdhsa_float_denorm_mode_16_64 3
		.amdhsa_fp16_overflow 0
		.amdhsa_memory_ordered 1
		.amdhsa_forward_progress 1
		.amdhsa_inst_pref_size 38
		.amdhsa_round_robin_scheduling 0
		.amdhsa_exception_fp_ieee_invalid_op 0
		.amdhsa_exception_fp_denorm_src 0
		.amdhsa_exception_fp_ieee_div_zero 0
		.amdhsa_exception_fp_ieee_overflow 0
		.amdhsa_exception_fp_ieee_underflow 0
		.amdhsa_exception_fp_ieee_inexact 0
		.amdhsa_exception_int_div_zero 0
	.end_amdhsa_kernel
	.section	.text._ZL15flash_attn_tileILi72ELi72ELi2ELi4ELb0EEvPKcS1_S1_S1_S1_PKiPfP15HIP_vector_typeIfLj2EEffffjfiS5_IjLj3EEiiiiiiiiiiiliiliiiiil,"axG",@progbits,_ZL15flash_attn_tileILi72ELi72ELi2ELi4ELb0EEvPKcS1_S1_S1_S1_PKiPfP15HIP_vector_typeIfLj2EEffffjfiS5_IjLj3EEiiiiiiiiiiiliiliiiiil,comdat
.Lfunc_end27:
	.size	_ZL15flash_attn_tileILi72ELi72ELi2ELi4ELb0EEvPKcS1_S1_S1_S1_PKiPfP15HIP_vector_typeIfLj2EEffffjfiS5_IjLj3EEiiiiiiiiiiiliiliiiiil, .Lfunc_end27-_ZL15flash_attn_tileILi72ELi72ELi2ELi4ELb0EEvPKcS1_S1_S1_S1_PKiPfP15HIP_vector_typeIfLj2EEffffjfiS5_IjLj3EEiiiiiiiiiiiliiliiiiil
                                        ; -- End function
	.set _ZL15flash_attn_tileILi72ELi72ELi2ELi4ELb0EEvPKcS1_S1_S1_S1_PKiPfP15HIP_vector_typeIfLj2EEffffjfiS5_IjLj3EEiiiiiiiiiiiliiliiiiil.num_vgpr, 65
	.set _ZL15flash_attn_tileILi72ELi72ELi2ELi4ELb0EEvPKcS1_S1_S1_S1_PKiPfP15HIP_vector_typeIfLj2EEffffjfiS5_IjLj3EEiiiiiiiiiiiliiliiiiil.num_agpr, 0
	.set _ZL15flash_attn_tileILi72ELi72ELi2ELi4ELb0EEvPKcS1_S1_S1_S1_PKiPfP15HIP_vector_typeIfLj2EEffffjfiS5_IjLj3EEiiiiiiiiiiiliiliiiiil.numbered_sgpr, 46
	.set _ZL15flash_attn_tileILi72ELi72ELi2ELi4ELb0EEvPKcS1_S1_S1_S1_PKiPfP15HIP_vector_typeIfLj2EEffffjfiS5_IjLj3EEiiiiiiiiiiiliiliiiiil.num_named_barrier, 0
	.set _ZL15flash_attn_tileILi72ELi72ELi2ELi4ELb0EEvPKcS1_S1_S1_S1_PKiPfP15HIP_vector_typeIfLj2EEffffjfiS5_IjLj3EEiiiiiiiiiiiliiliiiiil.private_seg_size, 0
	.set _ZL15flash_attn_tileILi72ELi72ELi2ELi4ELb0EEvPKcS1_S1_S1_S1_PKiPfP15HIP_vector_typeIfLj2EEffffjfiS5_IjLj3EEiiiiiiiiiiiliiliiiiil.uses_vcc, 1
	.set _ZL15flash_attn_tileILi72ELi72ELi2ELi4ELb0EEvPKcS1_S1_S1_S1_PKiPfP15HIP_vector_typeIfLj2EEffffjfiS5_IjLj3EEiiiiiiiiiiiliiliiiiil.uses_flat_scratch, 0
	.set _ZL15flash_attn_tileILi72ELi72ELi2ELi4ELb0EEvPKcS1_S1_S1_S1_PKiPfP15HIP_vector_typeIfLj2EEffffjfiS5_IjLj3EEiiiiiiiiiiiliiliiiiil.has_dyn_sized_stack, 0
	.set _ZL15flash_attn_tileILi72ELi72ELi2ELi4ELb0EEvPKcS1_S1_S1_S1_PKiPfP15HIP_vector_typeIfLj2EEffffjfiS5_IjLj3EEiiiiiiiiiiiliiliiiiil.has_recursion, 0
	.set _ZL15flash_attn_tileILi72ELi72ELi2ELi4ELb0EEvPKcS1_S1_S1_S1_PKiPfP15HIP_vector_typeIfLj2EEffffjfiS5_IjLj3EEiiiiiiiiiiiliiliiiiil.has_indirect_call, 0
	.section	.AMDGPU.csdata,"",@progbits
; Kernel info:
; codeLenInByte = 4840
; TotalNumSgprs: 48
; NumVgprs: 65
; ScratchSize: 0
; MemoryBound: 0
; FloatMode: 240
; IeeeMode: 1
; LDSByteSize: 7008 bytes/workgroup (compile time only)
; SGPRBlocks: 0
; VGPRBlocks: 4
; NumSGPRsForWavesPerEU: 48
; NumVGPRsForWavesPerEU: 65
; NamedBarCnt: 0
; Occupancy: 12
; WaveLimiterHint : 1
; COMPUTE_PGM_RSRC2:SCRATCH_EN: 0
; COMPUTE_PGM_RSRC2:USER_SGPR: 2
; COMPUTE_PGM_RSRC2:TRAP_HANDLER: 0
; COMPUTE_PGM_RSRC2:TGID_X_EN: 1
; COMPUTE_PGM_RSRC2:TGID_Y_EN: 1
; COMPUTE_PGM_RSRC2:TGID_Z_EN: 1
; COMPUTE_PGM_RSRC2:TIDIG_COMP_CNT: 1
	.section	.text._ZL33flash_attn_stream_k_fixup_uniformILi72ELi2ELi4EEvPfPK15HIP_vector_typeIfLj2EEiiiiiiS1_IjLj3EES5_S5_,"axG",@progbits,_ZL33flash_attn_stream_k_fixup_uniformILi72ELi2ELi4EEvPfPK15HIP_vector_typeIfLj2EEiiiiiiS1_IjLj3EES5_S5_,comdat
	.globl	_ZL33flash_attn_stream_k_fixup_uniformILi72ELi2ELi4EEvPfPK15HIP_vector_typeIfLj2EEiiiiiiS1_IjLj3EES5_S5_ ; -- Begin function _ZL33flash_attn_stream_k_fixup_uniformILi72ELi2ELi4EEvPfPK15HIP_vector_typeIfLj2EEiiiiiiS1_IjLj3EES5_S5_
	.p2align	8
	.type	_ZL33flash_attn_stream_k_fixup_uniformILi72ELi2ELi4EEvPfPK15HIP_vector_typeIfLj2EEiiiiiiS1_IjLj3EES5_S5_,@function
_ZL33flash_attn_stream_k_fixup_uniformILi72ELi2ELi4EEvPfPK15HIP_vector_typeIfLj2EEiiiiiiS1_IjLj3EES5_S5_: ; @_ZL33flash_attn_stream_k_fixup_uniformILi72ELi2ELi4EEvPfPK15HIP_vector_typeIfLj2EEiiiiiiS1_IjLj3EES5_S5_
; %bb.0:
	s_load_b256 s[4:11], s[0:1], 0x1c
	s_bfe_u32 s2, ttmp6, 0x40014
	s_lshr_b32 s3, ttmp7, 16
	s_add_co_i32 s2, s2, 1
	s_bfe_u32 s13, ttmp6, 0x40010
	s_mul_i32 s2, s3, s2
	s_bfe_u32 s12, ttmp6, 0x40008
	s_and_b32 s15, ttmp7, 0xffff
	s_add_co_i32 s13, s13, 1
	s_bfe_u32 s14, ttmp6, 0x4000c
	s_add_co_i32 s2, s12, s2
	s_mul_i32 s12, s15, s13
	s_bfe_u32 s13, ttmp6, 0x40004
	s_add_co_i32 s14, s14, 1
	s_add_co_i32 s13, s13, s12
	s_and_b32 s12, ttmp6, 15
	s_mul_i32 s14, ttmp9, s14
	s_getreg_b32 s20, hwreg(HW_REG_IB_STS2, 6, 4)
	s_add_co_i32 s12, s12, s14
	s_load_b128 s[16:19], s[0:1], 0x3c
	s_cmp_eq_u32 s20, 0
	s_cselect_b32 s14, ttmp9, s12
	s_cselect_b32 s12, s15, s13
	s_wait_kmcnt 0x0
	s_mul_hi_u32 s7, s7, s14
	s_cselect_b32 s13, s3, s2
	s_add_co_i32 s2, s14, s7
	s_delay_alu instid0(SALU_CYCLE_1) | instskip(NEXT) | instid1(SALU_CYCLE_1)
	s_lshr_b32 s7, s2, s8
	s_mul_i32 s2, s7, s9
	s_delay_alu instid0(SALU_CYCLE_1) | instskip(NEXT) | instid1(SALU_CYCLE_1)
	s_sub_co_i32 s8, s14, s2
	s_mul_hi_u32 s2, s8, s10
	s_delay_alu instid0(SALU_CYCLE_1) | instskip(SKIP_2) | instid1(SALU_CYCLE_1)
	s_add_co_i32 s9, s8, s2
	s_load_b64 s[2:3], s[0:1], 0x10
	s_lshr_b32 s15, s9, s11
	s_mul_i32 s9, s15, s16
	s_delay_alu instid0(SALU_CYCLE_1) | instskip(NEXT) | instid1(SALU_CYCLE_1)
	s_sub_co_i32 s8, s8, s9
	s_mul_hi_u32 s9, s8, s17
	s_delay_alu instid0(SALU_CYCLE_1) | instskip(NEXT) | instid1(SALU_CYCLE_1)
	s_add_co_i32 s9, s8, s9
	s_lshr_b32 s9, s9, s18
	s_delay_alu instid0(SALU_CYCLE_1) | instskip(SKIP_2) | instid1(SALU_CYCLE_1)
	s_mul_i32 s10, s9, s19
	s_lshl_b32 s17, s9, 2
	s_sub_co_i32 s16, s8, s10
	s_lshl_b32 s8, s16, 1
	s_delay_alu instid0(SALU_CYCLE_1) | instskip(SKIP_4) | instid1(SALU_CYCLE_1)
	s_add_co_i32 s8, s8, s12
	s_wait_kmcnt 0x0
	s_cmp_lt_i32 s8, s2
	s_cselect_b32 s8, -1, 0
	s_add_co_i32 s17, s17, s13
	s_cmp_lt_i32 s17, s5
	s_cselect_b32 s9, -1, 0
	s_delay_alu instid0(SALU_CYCLE_1) | instskip(NEXT) | instid1(SALU_CYCLE_1)
	s_and_b32 s8, s8, s9
	s_and_not1_b32 vcc_lo, exec_lo, s8
	s_cbranch_vccnz .LBB28_6
; %bb.1:
	s_load_b128 s[8:11], s[0:1], 0x0
	s_wait_xcnt 0x0
	s_mul_i32 s0, s7, s2
	s_mul_i32 s15, s15, s5
	s_add_co_i32 s0, s0, s12
	s_add_co_i32 s1, s17, s15
	s_mul_i32 s0, s0, s3
	s_mul_i32 s2, s3, s16
	s_add_co_i32 s0, s1, s0
	s_mulk_i32 s2, 0x90
	s_mulk_i32 s0, 0x48
	s_mul_i32 s7, s6, s14
	v_add3_u32 v4, s0, s2, v0
	s_lshl_b32 s5, s12, 2
	s_add_co_i32 s15, s7, s6
	s_add_co_i32 s0, s5, s13
	s_lshl_b32 s1, s15, 3
	v_ashrrev_i32_e32 v5, 31, v4
	s_add_co_i32 s0, s0, s1
	s_add_co_i32 s2, s15, -2
	s_add_co_i32 s0, s0, -8
	s_wait_kmcnt 0x0
	global_load_b32 v3, v4, s[8:9] scale_offset
	s_ashr_i32 s1, s0, 31
	s_delay_alu instid0(SALU_CYCLE_1)
	s_lshl_b64 s[0:1], s[0:1], 3
	s_cmp_lt_i32 s2, s7
	s_add_nc_u64 s[0:1], s[10:11], s[0:1]
	s_load_b32 s16, s[0:1], 0x4
	s_cbranch_scc1 .LBB28_4
; %bb.2:
	s_wait_xcnt 0x0
	s_load_b32 s0, s[0:1], 0x0
	s_add_co_i32 s14, s14, 1
	s_mulk_i32 s12, 0x120
	s_wait_xcnt 0x0
	s_mul_i32 s1, s6, s14
	s_lshl_b32 s2, s4, 5
	s_lshl_b32 s6, s1, 3
	s_mulk_i32 s1, 0x240
	s_add_co_i32 s6, s13, s6
	s_mulk_i32 s13, 0x48
	s_lshl_b32 s4, s4, 3
	s_add_co_i32 s12, s13, s12
	s_ashr_i32 s3, s2, 31
	s_add_co_i32 s12, s12, s1
	s_add_co_i32 s1, s6, s4
	v_add3_u32 v0, s12, v0, 0xfffffb80
	s_wait_kmcnt 0x0
	v_mov_b32_e32 v2, s16
	s_lshl_b64 s[2:3], s[2:3], 2
	s_add_co_i32 s4, s1, s5
	s_add_nc_u64 s[2:3], s[10:11], s[2:3]
	s_add_co_i32 s1, s15, -1
	s_add_co_i32 s4, s4, -16
.LBB28_3:                               ; =>This Inner Loop Header: Depth=1
	global_load_b32 v7, v0, s[2:3] scale_offset
	s_ashr_i32 s5, s4, 31
	v_max_num_f32_e64 v1, s0, s0
	s_lshl_b64 s[12:13], s[4:5], 3
	s_delay_alu instid0(SALU_CYCLE_1) | instskip(SKIP_1) | instid1(VALU_DEP_1)
	s_add_nc_u64 s[12:13], s[10:11], s[12:13]
	s_load_b64 s[12:13], s[12:13], 0x0
	v_readfirstlane_b32 s5, v1
	v_add_nc_u32_e32 v0, 0xfffffdc0, v0
	s_wait_kmcnt 0x0
	v_max_num_f32_e64 v1, s12, s12
	s_delay_alu instid0(VALU_DEP_1) | instskip(SKIP_1) | instid1(SALU_CYCLE_3)
	v_readfirstlane_b32 s6, v1
	s_max_num_f32 s5, s5, s6
	s_sub_f32 s0, s0, s5
	s_sub_f32 s6, s12, s5
	s_delay_alu instid0(SALU_CYCLE_2) | instskip(NEXT) | instid1(SALU_CYCLE_2)
	s_mul_f32 s12, s0, 0x3fb8aa3b
	s_mul_f32 s14, s6, 0x3fb8aa3b
	s_delay_alu instid0(SALU_CYCLE_2)
	s_xor_b32 s15, s12, 0x80000000
	s_rndne_f32 s16, s12
	s_fmamk_f32 s15, s0, 0x3fb8aa3b, s15
	s_cmp_nlt_f32 s0, 0xc2ce8ed0
	s_rndne_f32 s17, s14
	s_sub_f32 s12, s12, s16
	s_fmamk_f32 s15, s0, 0x32a5705f, s15
	s_cselect_b32 vcc_lo, -1, 0
	s_cmp_ngt_f32 s0, 0x42b17218
	s_delay_alu instid0(SALU_CYCLE_1) | instskip(SKIP_2) | instid1(SALU_CYCLE_1)
	s_add_f32 s12, s12, s15
	s_cvt_i32_f32 s15, s16
	s_sub_f32 s16, s14, s17
	v_s_exp_f32 s12, s12
	v_nop
	s_delay_alu instid0(TRANS32_DEP_1) | instskip(SKIP_1) | instid1(VALU_DEP_1)
	v_ldexp_f32 v1, s12, s15
	s_cvt_i32_f32 s12, s17
	v_cndmask_b32_e32 v1, 0, v1, vcc_lo
	s_cselect_b32 vcc_lo, -1, 0
	s_cmp_ge_f32 s0, 0xc1a00000
	s_delay_alu instid0(VALU_DEP_1)
	v_cndmask_b32_e32 v1, 0x7f800000, v1, vcc_lo
	s_cselect_b32 vcc_lo, -1, 0
	s_xor_b32 s0, s14, 0x80000000
	s_cmp_nlt_f32 s6, 0xc2ce8ed0
	s_fmamk_f32 s0, s6, 0x3fb8aa3b, s0
	v_cndmask_b32_e32 v10, 0, v1, vcc_lo
	s_delay_alu instid0(SALU_CYCLE_2) | instskip(NEXT) | instid1(SALU_CYCLE_3)
	s_fmamk_f32 s0, s6, 0x32a5705f, s0
	s_add_f32 s0, s16, s0
	s_delay_alu instid0(SALU_CYCLE_3) | instskip(SKIP_1) | instid1(TRANS32_DEP_1)
	v_s_exp_f32 s0, s0
	v_nop
	v_ldexp_f32 v6, s0, s12
	s_cselect_b32 s0, -1, 0
	s_cmp_ngt_f32 s6, 0x42b17218
	s_delay_alu instid0(VALU_DEP_1) | instskip(SKIP_2) | instid1(VALU_DEP_1)
	v_cndmask_b32_e64 v6, 0, v6, s0
	s_cselect_b32 s0, -1, 0
	s_cmp_ge_f32 s6, 0xc1a00000
	v_cndmask_b32_e64 v8, 0x7f800000, v6, s0
	s_cselect_b32 s0, -1, 0
	v_mov_b32_e32 v6, s13
	s_add_co_i32 s1, s1, -1
	s_add_co_i32 s4, s4, -8
	v_cndmask_b32_e64 v8, 0, v8, s0
	s_cmp_le_i32 s1, s7
	s_mov_b32 s0, s5
	s_wait_loadcnt 0x0
	s_delay_alu instid0(VALU_DEP_1) | instskip(NEXT) | instid1(VALU_DEP_1)
	v_pk_mul_f32 v[6:7], v[6:7], v[8:9] op_sel_hi:[1,0]
	v_pk_fma_f32 v[2:3], v[2:3], v[10:11], v[6:7] op_sel_hi:[1,0,1]
	s_cbranch_scc0 .LBB28_3
	s_branch .LBB28_5
.LBB28_4:
	s_wait_kmcnt 0x0
	v_mov_b32_e32 v2, s16
.LBB28_5:
	v_lshl_add_u64 v[0:1], v[4:5], 2, s[8:9]
	s_wait_loadcnt 0x0
	s_delay_alu instid0(VALU_DEP_2) | instskip(NEXT) | instid1(VALU_DEP_1)
	v_div_scale_f32 v4, null, v2, v2, v3
	v_rcp_f32_e32 v5, v4
	v_nop
	s_delay_alu instid0(TRANS32_DEP_1) | instskip(NEXT) | instid1(VALU_DEP_1)
	v_fma_f32 v6, -v4, v5, 1.0
	v_fmac_f32_e32 v5, v6, v5
	v_div_scale_f32 v6, vcc_lo, v3, v2, v3
	s_delay_alu instid0(VALU_DEP_1) | instskip(NEXT) | instid1(VALU_DEP_1)
	v_mul_f32_e32 v7, v6, v5
	v_fma_f32 v8, -v4, v7, v6
	s_delay_alu instid0(VALU_DEP_1) | instskip(NEXT) | instid1(VALU_DEP_1)
	v_fmac_f32_e32 v7, v8, v5
	v_fma_f32 v4, -v4, v7, v6
	s_delay_alu instid0(VALU_DEP_1) | instskip(NEXT) | instid1(VALU_DEP_1)
	v_div_fmas_f32 v4, v4, v5, v7
	v_div_fixup_f32 v2, v4, v2, v3
	global_store_b32 v[0:1], v2, off
.LBB28_6:
	s_endpgm
	.section	.rodata,"a",@progbits
	.p2align	6, 0x0
	.amdhsa_kernel _ZL33flash_attn_stream_k_fixup_uniformILi72ELi2ELi4EEvPfPK15HIP_vector_typeIfLj2EEiiiiiiS1_IjLj3EES5_S5_
		.amdhsa_group_segment_fixed_size 0
		.amdhsa_private_segment_fixed_size 0
		.amdhsa_kernarg_size 76
		.amdhsa_user_sgpr_count 2
		.amdhsa_user_sgpr_dispatch_ptr 0
		.amdhsa_user_sgpr_queue_ptr 0
		.amdhsa_user_sgpr_kernarg_segment_ptr 1
		.amdhsa_user_sgpr_dispatch_id 0
		.amdhsa_user_sgpr_kernarg_preload_length 0
		.amdhsa_user_sgpr_kernarg_preload_offset 0
		.amdhsa_user_sgpr_private_segment_size 0
		.amdhsa_wavefront_size32 1
		.amdhsa_uses_dynamic_stack 0
		.amdhsa_enable_private_segment 0
		.amdhsa_system_sgpr_workgroup_id_x 1
		.amdhsa_system_sgpr_workgroup_id_y 1
		.amdhsa_system_sgpr_workgroup_id_z 1
		.amdhsa_system_sgpr_workgroup_info 0
		.amdhsa_system_vgpr_workitem_id 0
		.amdhsa_next_free_vgpr 12
		.amdhsa_next_free_sgpr 21
		.amdhsa_named_barrier_count 0
		.amdhsa_reserve_vcc 1
		.amdhsa_float_round_mode_32 0
		.amdhsa_float_round_mode_16_64 0
		.amdhsa_float_denorm_mode_32 3
		.amdhsa_float_denorm_mode_16_64 3
		.amdhsa_fp16_overflow 0
		.amdhsa_memory_ordered 1
		.amdhsa_forward_progress 1
		.amdhsa_inst_pref_size 9
		.amdhsa_round_robin_scheduling 0
		.amdhsa_exception_fp_ieee_invalid_op 0
		.amdhsa_exception_fp_denorm_src 0
		.amdhsa_exception_fp_ieee_div_zero 0
		.amdhsa_exception_fp_ieee_overflow 0
		.amdhsa_exception_fp_ieee_underflow 0
		.amdhsa_exception_fp_ieee_inexact 0
		.amdhsa_exception_int_div_zero 0
	.end_amdhsa_kernel
	.section	.text._ZL33flash_attn_stream_k_fixup_uniformILi72ELi2ELi4EEvPfPK15HIP_vector_typeIfLj2EEiiiiiiS1_IjLj3EES5_S5_,"axG",@progbits,_ZL33flash_attn_stream_k_fixup_uniformILi72ELi2ELi4EEvPfPK15HIP_vector_typeIfLj2EEiiiiiiS1_IjLj3EES5_S5_,comdat
.Lfunc_end28:
	.size	_ZL33flash_attn_stream_k_fixup_uniformILi72ELi2ELi4EEvPfPK15HIP_vector_typeIfLj2EEiiiiiiS1_IjLj3EES5_S5_, .Lfunc_end28-_ZL33flash_attn_stream_k_fixup_uniformILi72ELi2ELi4EEvPfPK15HIP_vector_typeIfLj2EEiiiiiiS1_IjLj3EES5_S5_
                                        ; -- End function
	.set _ZL33flash_attn_stream_k_fixup_uniformILi72ELi2ELi4EEvPfPK15HIP_vector_typeIfLj2EEiiiiiiS1_IjLj3EES5_S5_.num_vgpr, 12
	.set _ZL33flash_attn_stream_k_fixup_uniformILi72ELi2ELi4EEvPfPK15HIP_vector_typeIfLj2EEiiiiiiS1_IjLj3EES5_S5_.num_agpr, 0
	.set _ZL33flash_attn_stream_k_fixup_uniformILi72ELi2ELi4EEvPfPK15HIP_vector_typeIfLj2EEiiiiiiS1_IjLj3EES5_S5_.numbered_sgpr, 21
	.set _ZL33flash_attn_stream_k_fixup_uniformILi72ELi2ELi4EEvPfPK15HIP_vector_typeIfLj2EEiiiiiiS1_IjLj3EES5_S5_.num_named_barrier, 0
	.set _ZL33flash_attn_stream_k_fixup_uniformILi72ELi2ELi4EEvPfPK15HIP_vector_typeIfLj2EEiiiiiiS1_IjLj3EES5_S5_.private_seg_size, 0
	.set _ZL33flash_attn_stream_k_fixup_uniformILi72ELi2ELi4EEvPfPK15HIP_vector_typeIfLj2EEiiiiiiS1_IjLj3EES5_S5_.uses_vcc, 1
	.set _ZL33flash_attn_stream_k_fixup_uniformILi72ELi2ELi4EEvPfPK15HIP_vector_typeIfLj2EEiiiiiiS1_IjLj3EES5_S5_.uses_flat_scratch, 0
	.set _ZL33flash_attn_stream_k_fixup_uniformILi72ELi2ELi4EEvPfPK15HIP_vector_typeIfLj2EEiiiiiiS1_IjLj3EES5_S5_.has_dyn_sized_stack, 0
	.set _ZL33flash_attn_stream_k_fixup_uniformILi72ELi2ELi4EEvPfPK15HIP_vector_typeIfLj2EEiiiiiiS1_IjLj3EES5_S5_.has_recursion, 0
	.set _ZL33flash_attn_stream_k_fixup_uniformILi72ELi2ELi4EEvPfPK15HIP_vector_typeIfLj2EEiiiiiiS1_IjLj3EES5_S5_.has_indirect_call, 0
	.section	.AMDGPU.csdata,"",@progbits
; Kernel info:
; codeLenInByte = 1084
; TotalNumSgprs: 23
; NumVgprs: 12
; ScratchSize: 0
; MemoryBound: 0
; FloatMode: 240
; IeeeMode: 1
; LDSByteSize: 0 bytes/workgroup (compile time only)
; SGPRBlocks: 0
; VGPRBlocks: 0
; NumSGPRsForWavesPerEU: 23
; NumVGPRsForWavesPerEU: 12
; NamedBarCnt: 0
; Occupancy: 16
; WaveLimiterHint : 0
; COMPUTE_PGM_RSRC2:SCRATCH_EN: 0
; COMPUTE_PGM_RSRC2:USER_SGPR: 2
; COMPUTE_PGM_RSRC2:TRAP_HANDLER: 0
; COMPUTE_PGM_RSRC2:TGID_X_EN: 1
; COMPUTE_PGM_RSRC2:TGID_Y_EN: 1
; COMPUTE_PGM_RSRC2:TGID_Z_EN: 1
; COMPUTE_PGM_RSRC2:TIDIG_COMP_CNT: 0
	.section	.text._ZL33flash_attn_stream_k_fixup_generalILi72ELi2ELi4EEvPfPK15HIP_vector_typeIfLj2EEiiiiS1_IjLj3EES5_S5_S5_,"axG",@progbits,_ZL33flash_attn_stream_k_fixup_generalILi72ELi2ELi4EEvPfPK15HIP_vector_typeIfLj2EEiiiiS1_IjLj3EES5_S5_S5_,comdat
	.globl	_ZL33flash_attn_stream_k_fixup_generalILi72ELi2ELi4EEvPfPK15HIP_vector_typeIfLj2EEiiiiS1_IjLj3EES5_S5_S5_ ; -- Begin function _ZL33flash_attn_stream_k_fixup_generalILi72ELi2ELi4EEvPfPK15HIP_vector_typeIfLj2EEiiiiS1_IjLj3EES5_S5_S5_
	.p2align	8
	.type	_ZL33flash_attn_stream_k_fixup_generalILi72ELi2ELi4EEvPfPK15HIP_vector_typeIfLj2EEiiiiS1_IjLj3EES5_S5_S5_,@function
_ZL33flash_attn_stream_k_fixup_generalILi72ELi2ELi4EEvPfPK15HIP_vector_typeIfLj2EEiiiiS1_IjLj3EES5_S5_S5_: ; @_ZL33flash_attn_stream_k_fixup_generalILi72ELi2ELi4EEvPfPK15HIP_vector_typeIfLj2EEiiiiS1_IjLj3EES5_S5_S5_
; %bb.0:
	s_clause 0x1
	s_load_b128 s[4:7], s[0:1], 0x10
	s_load_b32 s16, s[0:1], 0x50
	s_bfe_u32 s2, ttmp6, 0x4000c
	s_and_b32 s3, ttmp6, 15
	s_add_co_i32 s2, s2, 1
	s_getreg_b32 s15, hwreg(HW_REG_IB_STS2, 6, 4)
	s_mul_i32 s2, ttmp9, s2
	s_mov_b32 s17, 0
	s_add_co_i32 s3, s3, s2
	s_cmp_eq_u32 s15, 0
	s_cselect_b32 s2, ttmp9, s3
	s_delay_alu instid0(SALU_CYCLE_1) | instskip(SKIP_3) | instid1(SALU_CYCLE_1)
	s_ashr_i32 s3, s2, 31
	s_wait_kmcnt 0x0
	s_ashr_i32 s19, s7, 31
	s_mov_b32 s18, s7
	s_mul_u64 s[8:9], s[18:19], s[2:3]
	s_delay_alu instid0(SALU_CYCLE_1) | instskip(NEXT) | instid1(SALU_CYCLE_1)
	s_and_b64 s[10:11], s[8:9], 0xffffffff00000000
	s_cmp_lg_u64 s[10:11], 0
	s_cbranch_scc0 .LBB29_21
; %bb.1:
	s_add_nc_u64 s[10:11], s[16:17], 0
	s_mov_b32 s23, s17
	s_xor_b64 s[10:11], s[10:11], 0
	s_mov_b32 s27, s17
	s_cvt_f32_u32 s3, s10
	s_cvt_f32_u32 s7, s11
	s_sub_nc_u64 s[20:21], 0, s[10:11]
	s_delay_alu instid0(SALU_CYCLE_2) | instskip(NEXT) | instid1(SALU_CYCLE_3)
	s_fmamk_f32 s3, s7, 0x4f800000, s3
	v_s_rcp_f32 s3, s3
	s_delay_alu instid0(TRANS32_DEP_1) | instskip(NEXT) | instid1(SALU_CYCLE_3)
	s_mul_f32 s3, s3, 0x5f7ffffc
	s_mul_f32 s7, s3, 0x2f800000
	s_delay_alu instid0(SALU_CYCLE_3) | instskip(NEXT) | instid1(SALU_CYCLE_3)
	s_trunc_f32 s7, s7
	s_fmamk_f32 s3, s7, 0xcf800000, s3
	s_cvt_u32_f32 s13, s7
	s_delay_alu instid0(SALU_CYCLE_2) | instskip(NEXT) | instid1(SALU_CYCLE_3)
	s_cvt_u32_f32 s12, s3
	s_mul_u64 s[24:25], s[20:21], s[12:13]
	s_delay_alu instid0(SALU_CYCLE_1)
	s_mul_hi_u32 s29, s12, s25
	s_mul_i32 s28, s12, s25
	s_mul_hi_u32 s22, s12, s24
	s_mul_i32 s7, s13, s24
	s_add_nc_u64 s[22:23], s[22:23], s[28:29]
	s_mul_hi_u32 s3, s13, s24
	s_mul_hi_u32 s14, s13, s25
	s_add_co_u32 s7, s22, s7
	s_add_co_ci_u32 s26, s23, s3
	s_mul_i32 s24, s13, s25
	s_add_co_ci_u32 s25, s14, 0
	s_delay_alu instid0(SALU_CYCLE_1) | instskip(SKIP_3) | instid1(SALU_CYCLE_1)
	s_add_nc_u64 s[22:23], s[26:27], s[24:25]
	s_mov_b32 s25, s17
	s_add_co_u32 s12, s12, s22
	s_cselect_b32 s3, -1, 0
	s_cmp_lg_u32 s3, 0
	s_add_co_ci_u32 s13, s13, s23
	s_mov_b32 s23, s17
	s_mul_u64 s[20:21], s[20:21], s[12:13]
	s_delay_alu instid0(SALU_CYCLE_1)
	s_mul_hi_u32 s27, s12, s21
	s_mul_i32 s26, s12, s21
	s_mul_hi_u32 s22, s12, s20
	s_mul_i32 s7, s13, s20
	s_add_nc_u64 s[22:23], s[22:23], s[26:27]
	s_mul_hi_u32 s3, s13, s20
	s_mul_hi_u32 s14, s13, s21
	s_add_co_u32 s7, s22, s7
	s_add_co_ci_u32 s24, s23, s3
	s_mul_i32 s20, s13, s21
	s_add_co_ci_u32 s21, s14, 0
	s_mov_b32 s23, s17
	s_add_nc_u64 s[20:21], s[24:25], s[20:21]
	s_delay_alu instid0(SALU_CYCLE_1) | instskip(SKIP_1) | instid1(SALU_CYCLE_1)
	s_add_co_u32 s3, s12, s20
	s_cselect_b32 s7, -1, 0
	s_cmp_lg_u32 s7, 0
	s_add_co_ci_u32 s7, s13, s21
	s_ashr_i32 s12, s9, 31
	s_delay_alu instid0(SALU_CYCLE_1) | instskip(NEXT) | instid1(SALU_CYCLE_1)
	s_mov_b32 s13, s12
	s_add_nc_u64 s[20:21], s[8:9], s[12:13]
	s_delay_alu instid0(SALU_CYCLE_1) | instskip(NEXT) | instid1(SALU_CYCLE_1)
	s_xor_b64 s[20:21], s[20:21], s[12:13]
	s_mul_hi_u32 s27, s20, s7
	s_mul_i32 s26, s20, s7
	s_mul_hi_u32 s22, s20, s3
	s_mul_hi_u32 s14, s21, s3
	s_mul_i32 s3, s21, s3
	s_add_nc_u64 s[22:23], s[22:23], s[26:27]
	s_mul_hi_u32 s9, s21, s7
	s_add_co_u32 s3, s22, s3
	s_add_co_ci_u32 s24, s23, s14
	s_mul_i32 s26, s21, s7
	s_add_co_ci_u32 s27, s9, 0
	s_delay_alu instid0(SALU_CYCLE_1) | instskip(NEXT) | instid1(SALU_CYCLE_1)
	s_add_nc_u64 s[22:23], s[24:25], s[26:27]
	s_and_b64 s[24:25], s[22:23], 0xffffffff00000000
	s_delay_alu instid0(SALU_CYCLE_1) | instskip(NEXT) | instid1(SALU_CYCLE_1)
	s_or_b32 s24, s24, s22
	s_mul_u64 s[22:23], s[10:11], s[24:25]
	s_add_nc_u64 s[26:27], s[24:25], 1
	s_sub_co_u32 s3, s20, s22
	s_cselect_b32 s7, -1, 0
	s_sub_co_i32 s9, s21, s23
	s_cmp_lg_u32 s7, 0
	s_add_nc_u64 s[28:29], s[24:25], 2
	s_sub_co_ci_u32 s9, s9, s11
	s_sub_co_u32 s14, s3, s10
	s_cselect_b32 s20, -1, 0
	s_delay_alu instid0(SALU_CYCLE_1) | instskip(SKIP_1) | instid1(SALU_CYCLE_1)
	s_cmp_lg_u32 s20, 0
	s_sub_co_ci_u32 s9, s9, 0
	s_cmp_ge_u32 s9, s11
	s_cselect_b32 s20, -1, 0
	s_cmp_ge_u32 s14, s10
	s_cselect_b32 s14, -1, 0
	s_cmp_eq_u32 s9, s11
	s_cselect_b32 s9, s14, s20
	s_delay_alu instid0(SALU_CYCLE_1) | instskip(SKIP_4) | instid1(SALU_CYCLE_1)
	s_cmp_lg_u32 s9, 0
	s_cselect_b32 s9, s28, s26
	s_cselect_b32 s14, s29, s27
	s_cmp_lg_u32 s7, 0
	s_sub_co_ci_u32 s7, s21, s23
	s_cmp_ge_u32 s7, s11
	s_cselect_b32 s20, -1, 0
	s_cmp_ge_u32 s3, s10
	s_cselect_b32 s3, -1, 0
	s_cmp_eq_u32 s7, s11
	s_cselect_b32 s3, s3, s20
	s_delay_alu instid0(SALU_CYCLE_1) | instskip(SKIP_4) | instid1(SALU_CYCLE_1)
	s_cmp_lg_u32 s3, 0
	s_mov_b32 s3, s17
	s_cselect_b32 s11, s14, s25
	s_cselect_b32 s10, s9, s24
	s_xor_b64 s[12:13], s[12:13], 0
	s_xor_b64 s[10:11], s[10:11], s[12:13]
	s_delay_alu instid0(SALU_CYCLE_1)
	s_sub_nc_u64 s[20:21], s[10:11], s[12:13]
	s_and_not1_b32 vcc_lo, exec_lo, s3
	s_cbranch_vccnz .LBB29_3
.LBB29_2:
	v_cvt_f32_u32_e32 v1, s16
	s_sub_co_i32 s7, 0, s16
	s_mov_b32 s21, 0
	s_delay_alu instid0(VALU_DEP_1) | instskip(SKIP_1) | instid1(TRANS32_DEP_1)
	v_rcp_iflag_f32_e32 v1, v1
	v_nop
	v_mul_f32_e32 v1, 0x4f7ffffe, v1
	s_delay_alu instid0(VALU_DEP_1) | instskip(NEXT) | instid1(VALU_DEP_1)
	v_cvt_u32_f32_e32 v1, v1
	v_readfirstlane_b32 s3, v1
	s_mul_i32 s7, s7, s3
	s_delay_alu instid0(SALU_CYCLE_1) | instskip(NEXT) | instid1(SALU_CYCLE_1)
	s_mul_hi_u32 s7, s3, s7
	s_add_co_i32 s3, s3, s7
	s_delay_alu instid0(SALU_CYCLE_1) | instskip(NEXT) | instid1(SALU_CYCLE_1)
	s_mul_hi_u32 s3, s8, s3
	s_mul_i32 s7, s3, s16
	s_delay_alu instid0(SALU_CYCLE_1)
	s_sub_co_i32 s7, s8, s7
	s_add_co_i32 s8, s3, 1
	s_sub_co_i32 s9, s7, s16
	s_cmp_ge_u32 s7, s16
	s_cselect_b32 s3, s8, s3
	s_cselect_b32 s7, s9, s7
	s_add_co_i32 s8, s3, 1
	s_cmp_ge_u32 s7, s16
	s_cselect_b32 s20, s8, s3
.LBB29_3:
	s_add_co_i32 s8, s2, 1
	s_delay_alu instid0(SALU_CYCLE_1) | instskip(NEXT) | instid1(SALU_CYCLE_1)
	s_ashr_i32 s9, s8, 31
	s_mul_u64 s[8:9], s[18:19], s[8:9]
	s_delay_alu instid0(SALU_CYCLE_1) | instskip(NEXT) | instid1(SALU_CYCLE_1)
	s_and_b64 s[10:11], s[8:9], 0xffffffff00000000
	s_cmp_lg_u64 s[10:11], 0
	s_cbranch_scc0 .LBB29_22
; %bb.4:
	s_add_nc_u64 s[10:11], s[16:17], 0
	s_delay_alu instid0(SALU_CYCLE_1) | instskip(SKIP_4) | instid1(SALU_CYCLE_2)
	s_xor_b64 s[12:13], s[10:11], 0
	s_mov_b32 s11, 0
	s_cvt_f32_u32 s3, s12
	s_cvt_f32_u32 s7, s13
	s_sub_nc_u64 s[24:25], 0, s[12:13]
	s_fmamk_f32 s3, s7, 0x4f800000, s3
	s_delay_alu instid0(SALU_CYCLE_3) | instskip(NEXT) | instid1(TRANS32_DEP_1)
	v_s_rcp_f32 s3, s3
	s_mul_f32 s3, s3, 0x5f7ffffc
	s_delay_alu instid0(SALU_CYCLE_3) | instskip(NEXT) | instid1(SALU_CYCLE_3)
	s_mul_f32 s7, s3, 0x2f800000
	s_trunc_f32 s7, s7
	s_delay_alu instid0(SALU_CYCLE_3) | instskip(SKIP_1) | instid1(SALU_CYCLE_2)
	s_fmamk_f32 s3, s7, 0xcf800000, s3
	s_cvt_u32_f32 s23, s7
	s_cvt_u32_f32 s22, s3
	s_delay_alu instid0(SALU_CYCLE_3) | instskip(NEXT) | instid1(SALU_CYCLE_1)
	s_mul_u64 s[26:27], s[24:25], s[22:23]
	s_mul_hi_u32 s29, s22, s27
	s_mul_i32 s28, s22, s27
	s_mul_hi_u32 s10, s22, s26
	s_mul_i32 s7, s23, s26
	s_add_nc_u64 s[28:29], s[10:11], s[28:29]
	s_mul_hi_u32 s3, s23, s26
	s_mul_hi_u32 s14, s23, s27
	s_add_co_u32 s7, s28, s7
	s_add_co_ci_u32 s10, s29, s3
	s_mul_i32 s26, s23, s27
	s_add_co_ci_u32 s27, s14, 0
	s_delay_alu instid0(SALU_CYCLE_1) | instskip(NEXT) | instid1(SALU_CYCLE_1)
	s_add_nc_u64 s[26:27], s[10:11], s[26:27]
	s_add_co_u32 s22, s22, s26
	s_cselect_b32 s3, -1, 0
	s_delay_alu instid0(SALU_CYCLE_1) | instskip(SKIP_1) | instid1(SALU_CYCLE_1)
	s_cmp_lg_u32 s3, 0
	s_add_co_ci_u32 s23, s23, s27
	s_mul_u64 s[24:25], s[24:25], s[22:23]
	s_delay_alu instid0(SALU_CYCLE_1)
	s_mul_hi_u32 s27, s22, s25
	s_mul_i32 s26, s22, s25
	s_mul_hi_u32 s10, s22, s24
	s_mul_i32 s7, s23, s24
	s_add_nc_u64 s[26:27], s[10:11], s[26:27]
	s_mul_hi_u32 s3, s23, s24
	s_mul_hi_u32 s14, s23, s25
	s_add_co_u32 s7, s26, s7
	s_add_co_ci_u32 s10, s27, s3
	s_mul_i32 s24, s23, s25
	s_add_co_ci_u32 s25, s14, 0
	s_delay_alu instid0(SALU_CYCLE_1) | instskip(NEXT) | instid1(SALU_CYCLE_1)
	s_add_nc_u64 s[24:25], s[10:11], s[24:25]
	s_add_co_u32 s3, s22, s24
	s_cselect_b32 s7, -1, 0
	s_delay_alu instid0(SALU_CYCLE_1) | instskip(SKIP_2) | instid1(SALU_CYCLE_1)
	s_cmp_lg_u32 s7, 0
	s_add_co_ci_u32 s7, s23, s25
	s_ashr_i32 s22, s9, 31
	s_mov_b32 s23, s22
	s_delay_alu instid0(SALU_CYCLE_1) | instskip(NEXT) | instid1(SALU_CYCLE_1)
	s_add_nc_u64 s[24:25], s[8:9], s[22:23]
	s_xor_b64 s[24:25], s[24:25], s[22:23]
	s_delay_alu instid0(SALU_CYCLE_1)
	s_mul_hi_u32 s27, s24, s7
	s_mul_i32 s26, s24, s7
	s_mul_hi_u32 s10, s24, s3
	s_mul_hi_u32 s14, s25, s3
	s_mul_i32 s3, s25, s3
	s_add_nc_u64 s[26:27], s[10:11], s[26:27]
	s_mul_hi_u32 s9, s25, s7
	s_add_co_u32 s3, s26, s3
	s_add_co_ci_u32 s10, s27, s14
	s_mul_i32 s28, s25, s7
	s_add_co_ci_u32 s29, s9, 0
	s_delay_alu instid0(SALU_CYCLE_1) | instskip(NEXT) | instid1(SALU_CYCLE_1)
	s_add_nc_u64 s[26:27], s[10:11], s[28:29]
	s_and_b64 s[28:29], s[26:27], 0xffffffff00000000
	s_delay_alu instid0(SALU_CYCLE_1) | instskip(NEXT) | instid1(SALU_CYCLE_1)
	s_or_b32 s28, s28, s26
	s_mul_u64 s[26:27], s[12:13], s[28:29]
	s_add_nc_u64 s[30:31], s[28:29], 1
	s_sub_co_u32 s3, s24, s26
	s_cselect_b32 s7, -1, 0
	s_sub_co_i32 s9, s25, s27
	s_cmp_lg_u32 s7, 0
	s_add_nc_u64 s[34:35], s[28:29], 2
	s_sub_co_ci_u32 s9, s9, s13
	s_sub_co_u32 s10, s3, s12
	s_cselect_b32 s14, -1, 0
	s_delay_alu instid0(SALU_CYCLE_1) | instskip(SKIP_1) | instid1(SALU_CYCLE_1)
	s_cmp_lg_u32 s14, 0
	s_sub_co_ci_u32 s9, s9, 0
	s_cmp_ge_u32 s9, s13
	s_cselect_b32 s14, -1, 0
	s_cmp_ge_u32 s10, s12
	s_cselect_b32 s10, -1, 0
	s_cmp_eq_u32 s9, s13
	s_cselect_b32 s9, s10, s14
	s_delay_alu instid0(SALU_CYCLE_1) | instskip(SKIP_4) | instid1(SALU_CYCLE_1)
	s_cmp_lg_u32 s9, 0
	s_cselect_b32 s9, s34, s30
	s_cselect_b32 s10, s35, s31
	s_cmp_lg_u32 s7, 0
	s_sub_co_ci_u32 s7, s25, s27
	s_cmp_ge_u32 s7, s13
	s_cselect_b32 s14, -1, 0
	s_cmp_ge_u32 s3, s12
	s_cselect_b32 s3, -1, 0
	s_cmp_eq_u32 s7, s13
	s_cselect_b32 s3, s3, s14
	s_delay_alu instid0(SALU_CYCLE_1) | instskip(SKIP_3) | instid1(SALU_CYCLE_1)
	s_cmp_lg_u32 s3, 0
	s_cselect_b32 s13, s10, s29
	s_cselect_b32 s12, s9, s28
	s_xor_b64 s[22:23], s[22:23], 0
	s_xor_b64 s[12:13], s[12:13], s[22:23]
	s_delay_alu instid0(SALU_CYCLE_1)
	s_sub_nc_u64 s[24:25], s[12:13], s[22:23]
	s_load_b96 s[12:14], s[0:1], 0x44
	s_cbranch_execnz .LBB29_6
.LBB29_5:
	v_cvt_f32_u32_e32 v1, s16
	s_sub_co_i32 s7, 0, s16
	s_delay_alu instid0(VALU_DEP_1) | instskip(SKIP_1) | instid1(TRANS32_DEP_1)
	v_rcp_iflag_f32_e32 v1, v1
	v_nop
	v_mul_f32_e32 v1, 0x4f7ffffe, v1
	s_delay_alu instid0(VALU_DEP_1) | instskip(NEXT) | instid1(VALU_DEP_1)
	v_cvt_u32_f32_e32 v1, v1
	v_readfirstlane_b32 s3, v1
	s_mul_i32 s7, s7, s3
	s_delay_alu instid0(SALU_CYCLE_1) | instskip(NEXT) | instid1(SALU_CYCLE_1)
	s_mul_hi_u32 s7, s3, s7
	s_add_co_i32 s3, s3, s7
	s_delay_alu instid0(SALU_CYCLE_1) | instskip(NEXT) | instid1(SALU_CYCLE_1)
	s_mul_hi_u32 s3, s8, s3
	s_mul_i32 s7, s3, s16
	s_delay_alu instid0(SALU_CYCLE_1)
	s_sub_co_i32 s7, s8, s7
	s_add_co_i32 s8, s3, 1
	s_sub_co_i32 s9, s7, s16
	s_cmp_ge_u32 s7, s16
	s_cselect_b32 s3, s8, s3
	s_cselect_b32 s7, s9, s7
	s_add_co_i32 s8, s3, 1
	s_cmp_ge_u32 s7, s16
	s_cselect_b32 s24, s8, s3
.LBB29_6:
	s_delay_alu instid0(SALU_CYCLE_1)
	s_cmp_eq_u32 s20, s24
	s_mov_b64 s[8:9], 0xffffffff
	s_cselect_b32 s3, -1, 0
	s_and_b64 s[8:9], s[20:21], s[8:9]
	s_mov_b32 s23, 0
	s_wait_kmcnt 0x0
	s_mov_b32 s22, s12
	s_mov_b32 s25, s23
	s_mul_u64 s[10:11], s[8:9], s[22:23]
	s_delay_alu instid0(SALU_CYCLE_1) | instskip(SKIP_2) | instid1(SALU_CYCLE_1)
	s_add_co_i32 s7, s11, s20
	s_mul_u64 s[10:11], s[24:25], s[22:23]
	s_lshr_b32 s12, s7, s13
	s_mul_i32 s7, s12, s14
	s_delay_alu instid0(SALU_CYCLE_1) | instskip(SKIP_2) | instid1(SALU_CYCLE_1)
	s_cmp_eq_u32 s7, s20
	s_cselect_b32 s7, -1, 0
	s_add_co_i32 s10, s11, s24
	s_lshr_b32 s10, s10, s13
	s_delay_alu instid0(SALU_CYCLE_1)
	s_cmp_eq_u32 s12, s10
	s_mul_i32 s10, s10, s14
	s_cselect_b32 s11, -1, 0
	s_cmp_lg_u32 s10, s24
	s_cselect_b32 s10, -1, 0
	s_or_b32 s3, s3, s7
	s_and_b32 s10, s11, s10
	s_delay_alu instid0(SALU_CYCLE_1) | instskip(NEXT) | instid1(SALU_CYCLE_1)
	s_or_b32 s3, s3, s10
	s_and_b32 vcc_lo, exec_lo, s3
	s_cbranch_vccnz .LBB29_24
; %bb.7:
	s_load_b256 s[24:31], s[0:1], 0x20
	s_bfe_u32 s7, ttmp6, 0x40014
	s_bfe_u32 s33, ttmp6, 0x40010
	s_lshr_b32 s3, ttmp7, 16
	s_add_co_i32 s7, s7, 1
	s_and_b32 s21, ttmp7, 0xffff
	s_add_co_i32 s33, s33, 1
	s_bfe_u32 s10, ttmp6, 0x40008
	s_mul_i32 s7, s3, s7
	s_bfe_u32 s34, ttmp6, 0x40004
	s_mul_i32 s33, s21, s33
	s_mov_b32 s11, s23
	s_add_co_i32 s35, s10, s7
	s_add_co_i32 s34, s34, s33
	s_cmp_eq_u32 s15, 0
	s_cselect_b32 s7, s21, s34
	s_cselect_b32 s3, s3, s35
	s_wait_kmcnt 0x0
	s_mov_b32 s10, s24
	s_delay_alu instid0(SALU_CYCLE_1) | instskip(NEXT) | instid1(SALU_CYCLE_1)
	s_mul_u64 s[8:9], s[8:9], s[10:11]
	s_add_co_i32 s8, s9, s20
	s_delay_alu instid0(SALU_CYCLE_1) | instskip(SKIP_2) | instid1(SALU_CYCLE_1)
	s_lshr_b32 s15, s8, s25
	s_load_b32 s8, s[0:1], 0x40
	s_mul_i32 s9, s15, s26
	s_sub_co_i32 s9, s20, s9
	s_delay_alu instid0(SALU_CYCLE_1) | instskip(NEXT) | instid1(SALU_CYCLE_1)
	s_mul_hi_u32 s10, s9, s27
	s_add_co_i32 s10, s9, s10
	s_delay_alu instid0(SALU_CYCLE_1) | instskip(NEXT) | instid1(SALU_CYCLE_1)
	s_lshr_b32 s21, s10, s28
	s_mul_i32 s10, s21, s29
	s_delay_alu instid0(SALU_CYCLE_1) | instskip(NEXT) | instid1(SALU_CYCLE_1)
	s_sub_co_i32 s10, s9, s10
	s_mul_hi_u32 s9, s10, s30
	s_delay_alu instid0(SALU_CYCLE_1) | instskip(NEXT) | instid1(SALU_CYCLE_1)
	s_add_co_i32 s9, s10, s9
	s_lshr_b32 s25, s9, s31
	s_mov_b32 s9, s23
	s_wait_kmcnt 0x0
	s_mul_i32 s8, s25, s8
	s_lshl_b32 s25, s25, 2
	s_sub_co_i32 s8, s10, s8
	s_delay_alu instid0(SALU_CYCLE_1) | instskip(NEXT) | instid1(SALU_CYCLE_1)
	s_mul_u64 s[10:11], s[8:9], s[22:23]
	s_add_co_i32 s8, s8, s11
	s_delay_alu instid0(SALU_CYCLE_1) | instskip(NEXT) | instid1(SALU_CYCLE_1)
	s_lshr_b32 s24, s8, s13
	s_lshl_b32 s8, s24, 1
	s_delay_alu instid0(SALU_CYCLE_1) | instskip(NEXT) | instid1(SALU_CYCLE_1)
	s_add_co_i32 s8, s8, s7
	s_cmp_lt_i32 s8, s4
	s_cselect_b32 s8, -1, 0
	s_add_co_i32 s25, s25, s3
	s_delay_alu instid0(SALU_CYCLE_1) | instskip(SKIP_1) | instid1(SALU_CYCLE_1)
	s_cmp_lt_i32 s25, s6
	s_cselect_b32 s9, -1, 0
	s_and_b32 s8, s8, s9
	s_delay_alu instid0(SALU_CYCLE_1)
	s_and_not1_b32 vcc_lo, exec_lo, s8
	s_cbranch_vccnz .LBB29_24
; %bb.8:
	s_load_b128 s[8:11], s[0:1], 0x0
	s_wait_xcnt 0x0
	s_mul_i32 s0, s15, s4
	s_mul_i32 s21, s21, s6
	s_add_co_i32 s0, s0, s7
	s_add_co_i32 s1, s25, s21
	s_mul_i32 s0, s0, s5
	s_mul_i32 s4, s5, s24
	s_add_co_i32 s0, s1, s0
	s_mulk_i32 s4, 0x90
	s_mulk_i32 s0, 0x48
	s_lshl_b32 s15, s7, 2
	v_add3_u32 v2, s4, s0, v0
	s_add_nc_u64 s[0:1], s[16:17], 0
	s_add_co_i32 s15, s15, s3
	s_xor_b64 s[6:7], s[0:1], 0
	s_lshl_b32 s0, s2, 3
	s_cvt_f32_u32 s3, s6
	s_cvt_f32_u32 s4, s7
	s_add_co_i32 s0, s15, s0
	v_cvt_f32_u32_e32 v4, s16
	s_wait_kmcnt 0x0
	global_load_b32 v1, v2, s[8:9] scale_offset
	s_fmamk_f32 s3, s4, 0x4f800000, s3
	s_ashr_i32 s1, s0, 31
	s_lshl_b32 s24, s16, 5
	s_lshl_b64 s[0:1], s[0:1], 3
	v_s_rcp_f32 s3, s3
	s_add_nc_u64 s[0:1], s[10:11], s[0:1]
	v_rcp_iflag_f32_e32 v4, v4
	s_load_b64 s[28:29], s[0:1], 0x0
	s_mov_b32 s25, 0
	v_mad_u32 v6, 0x48, s15, v0
	v_ashrrev_i32_e32 v3, 31, v2
	s_wait_xcnt 0x0
	s_lshl_b64 s[0:1], s[24:25], 2
	s_mul_f32 s3, s3, 0x5f7ffffc
	v_mul_f32_e32 v4, 0x4f7ffffe, v4
	s_add_nc_u64 s[26:27], s[10:11], s[0:1]
	v_lshl_add_u64 v[2:3], v[2:3], 2, s[8:9]
	s_mul_f32 s4, s3, 0x2f800000
	s_mov_b64 s[8:9], 0xffffffff
	v_cvt_u32_f32_e32 v7, v4
	s_add_co_i32 s36, s2, -1
	s_trunc_f32 s4, s4
	s_sub_nc_u64 s[34:35], 0, s[6:7]
	s_delay_alu instid0(SALU_CYCLE_2)
	s_fmamk_f32 s0, s4, 0xcf800000, s3
	s_cvt_u32_f32 s31, s4
	s_wait_kmcnt 0x0
	v_mov_b32_e32 v0, s29
	s_cvt_u32_f32 s30, s0
.LBB29_9:                               ; =>This Inner Loop Header: Depth=1
	s_ashr_i32 s37, s36, 31
                                        ; implicit-def: $sgpr40_sgpr41
	s_delay_alu instid0(SALU_CYCLE_1) | instskip(NEXT) | instid1(SALU_CYCLE_1)
	s_mul_u64 s[0:1], s[36:37], s[18:19]
	s_and_b64 s[2:3], s[0:1], 0xffffffff00000000
	s_delay_alu instid0(SALU_CYCLE_1)
	s_cmp_lg_u64 s[2:3], 0
	s_mov_b32 s2, -1
	s_cbranch_scc0 .LBB29_11
; %bb.10:                               ;   in Loop: Header=BB29_9 Depth=1
	s_mul_u64 s[2:3], s[34:35], s[30:31]
	s_delay_alu instid0(SALU_CYCLE_1)
	s_mul_hi_u32 s5, s30, s3
	s_mul_i32 s4, s30, s3
	s_mul_hi_u32 s24, s30, s2
	s_mul_hi_u32 s17, s31, s2
	s_add_nc_u64 s[4:5], s[24:25], s[4:5]
	s_mul_i32 s2, s31, s2
	s_mul_hi_u32 s21, s31, s3
	s_add_co_u32 s2, s4, s2
	s_add_co_ci_u32 s24, s5, s17
	s_add_co_ci_u32 s5, s21, 0
	s_mul_i32 s4, s31, s3
	s_delay_alu instid0(SALU_CYCLE_1) | instskip(NEXT) | instid1(SALU_CYCLE_1)
	s_add_nc_u64 s[2:3], s[24:25], s[4:5]
	s_add_co_u32 s2, s30, s2
	s_cselect_b32 s4, -1, 0
	s_delay_alu instid0(SALU_CYCLE_1) | instskip(SKIP_1) | instid1(SALU_CYCLE_1)
	s_cmp_lg_u32 s4, 0
	s_add_co_ci_u32 s3, s31, s3
	s_mul_u64 s[4:5], s[34:35], s[2:3]
	s_delay_alu instid0(SALU_CYCLE_1)
	s_mul_hi_u32 s39, s2, s5
	s_mul_i32 s38, s2, s5
	s_mul_hi_u32 s24, s2, s4
	s_mul_hi_u32 s17, s3, s4
	s_mul_i32 s4, s3, s4
	s_add_nc_u64 s[38:39], s[24:25], s[38:39]
	s_mul_hi_u32 s21, s3, s5
	s_add_co_u32 s4, s38, s4
	s_add_co_ci_u32 s24, s39, s17
	s_mul_i32 s4, s3, s5
	s_add_co_ci_u32 s5, s21, 0
	s_delay_alu instid0(SALU_CYCLE_1) | instskip(NEXT) | instid1(SALU_CYCLE_1)
	s_add_nc_u64 s[4:5], s[24:25], s[4:5]
	s_add_co_u32 s17, s2, s4
	s_cselect_b32 s2, -1, 0
	s_delay_alu instid0(SALU_CYCLE_1) | instskip(SKIP_2) | instid1(SALU_CYCLE_1)
	s_cmp_lg_u32 s2, 0
	s_add_co_ci_u32 s21, s3, s5
	s_ashr_i32 s2, s1, 31
	s_mov_b32 s3, s2
	s_delay_alu instid0(SALU_CYCLE_1) | instskip(NEXT) | instid1(SALU_CYCLE_1)
	s_add_nc_u64 s[4:5], s[0:1], s[2:3]
	s_xor_b64 s[4:5], s[4:5], s[2:3]
	s_delay_alu instid0(SALU_CYCLE_1)
	s_mul_hi_u32 s39, s4, s21
	s_mul_i32 s38, s4, s21
	s_mul_hi_u32 s24, s4, s17
	s_mul_hi_u32 s29, s5, s17
	s_mul_i32 s17, s5, s17
	s_add_nc_u64 s[38:39], s[24:25], s[38:39]
	s_mul_hi_u32 s1, s5, s21
	s_add_co_u32 s17, s38, s17
	s_add_co_ci_u32 s24, s39, s29
	s_mul_i32 s40, s5, s21
	s_add_co_ci_u32 s41, s1, 0
	s_delay_alu instid0(SALU_CYCLE_1) | instskip(NEXT) | instid1(SALU_CYCLE_1)
	s_add_nc_u64 s[38:39], s[24:25], s[40:41]
	s_and_b64 s[40:41], s[38:39], 0xffffffff00000000
	s_delay_alu instid0(SALU_CYCLE_1) | instskip(NEXT) | instid1(SALU_CYCLE_1)
	s_or_b32 s40, s40, s38
	s_mul_u64 s[38:39], s[6:7], s[40:41]
	s_add_nc_u64 s[42:43], s[40:41], 1
	s_sub_co_u32 s1, s4, s38
	s_cselect_b32 s4, -1, 0
	s_sub_co_i32 s17, s5, s39
	s_cmp_lg_u32 s4, 0
	s_add_nc_u64 s[44:45], s[40:41], 2
	s_sub_co_ci_u32 s17, s17, s7
	s_sub_co_u32 s21, s1, s6
	s_cselect_b32 s24, -1, 0
	s_delay_alu instid0(SALU_CYCLE_1) | instskip(SKIP_1) | instid1(SALU_CYCLE_1)
	s_cmp_lg_u32 s24, 0
	s_sub_co_ci_u32 s17, s17, 0
	s_cmp_ge_u32 s17, s7
	s_cselect_b32 s24, -1, 0
	s_cmp_ge_u32 s21, s6
	s_cselect_b32 s21, -1, 0
	s_cmp_eq_u32 s17, s7
	s_cselect_b32 s17, s21, s24
	s_delay_alu instid0(SALU_CYCLE_1) | instskip(SKIP_4) | instid1(SALU_CYCLE_1)
	s_cmp_lg_u32 s17, 0
	s_cselect_b32 s17, s44, s42
	s_cselect_b32 s21, s45, s43
	s_cmp_lg_u32 s4, 0
	s_sub_co_ci_u32 s4, s5, s39
	s_cmp_ge_u32 s4, s7
	s_cselect_b32 s5, -1, 0
	s_cmp_ge_u32 s1, s6
	s_cselect_b32 s1, -1, 0
	s_cmp_eq_u32 s4, s7
	s_cselect_b32 s1, s1, s5
	s_delay_alu instid0(SALU_CYCLE_1) | instskip(SKIP_3) | instid1(SALU_CYCLE_1)
	s_cmp_lg_u32 s1, 0
	s_cselect_b32 s5, s21, s41
	s_cselect_b32 s4, s17, s40
	s_xor_b64 s[2:3], s[2:3], 0
	s_xor_b64 s[4:5], s[4:5], s[2:3]
	s_delay_alu instid0(SALU_CYCLE_1)
	s_sub_nc_u64 s[40:41], s[4:5], s[2:3]
	s_mov_b32 s2, 0
.LBB29_11:                              ;   in Loop: Header=BB29_9 Depth=1
	s_delay_alu instid0(SALU_CYCLE_1)
	s_and_not1_b32 vcc_lo, exec_lo, s2
	s_cbranch_vccnz .LBB29_13
; %bb.12:                               ;   in Loop: Header=BB29_9 Depth=1
	v_readfirstlane_b32 s1, v7
	s_sub_co_i32 s2, 0, s16
	s_delay_alu instid0(SALU_CYCLE_1) | instskip(NEXT) | instid1(SALU_CYCLE_1)
	s_mul_i32 s2, s2, s1
	s_mul_hi_u32 s2, s1, s2
	s_delay_alu instid0(SALU_CYCLE_1) | instskip(NEXT) | instid1(SALU_CYCLE_1)
	s_add_co_i32 s1, s1, s2
	s_mul_hi_u32 s1, s0, s1
	s_delay_alu instid0(SALU_CYCLE_1) | instskip(NEXT) | instid1(SALU_CYCLE_1)
	s_mul_i32 s2, s1, s16
	s_sub_co_i32 s0, s0, s2
	s_add_co_i32 s2, s1, 1
	s_sub_co_i32 s3, s0, s16
	s_cmp_ge_u32 s0, s16
	s_cselect_b32 s1, s2, s1
	s_cselect_b32 s0, s3, s0
	s_add_co_i32 s2, s1, 1
	s_cmp_ge_u32 s0, s16
	s_cselect_b32 s24, s2, s1
	s_delay_alu instid0(SALU_CYCLE_1)
	s_mov_b64 s[40:41], s[24:25]
.LBB29_13:                              ;   in Loop: Header=BB29_9 Depth=1
	s_delay_alu instid0(SALU_CYCLE_1)
	s_cmp_lg_u32 s20, s40
	s_mov_b32 s0, -1
                                        ; implicit-def: $vgpr4_vgpr5
                                        ; implicit-def: $sgpr24
                                        ; implicit-def: $sgpr17
                                        ; implicit-def: $sgpr21
                                        ; implicit-def: $sgpr29
	s_cbranch_scc0 .LBB29_18
; %bb.14:                               ;   in Loop: Header=BB29_9 Depth=1
	s_add_co_i32 s0, s36, s16
	v_max_num_f32_e64 v4, s28, s28
	s_lshl_b32 s0, s0, 3
	s_mov_b32 s29, s20
	s_add_co_i32 s0, s0, s15
	s_load_b64 s[38:39], s[10:11], s0 offset:0x0 scale_offset
	s_wait_xcnt 0x0
	v_readfirstlane_b32 s0, v4
	s_wait_kmcnt 0x0
	v_max_num_f32_e64 v5, s38, s38
	s_delay_alu instid0(VALU_DEP_1) | instskip(SKIP_1) | instid1(SALU_CYCLE_3)
	v_readfirstlane_b32 s1, v5
	s_max_num_f32 s17, s0, s1
	s_sub_f32 s33, s28, s17
	s_sub_f32 s37, s38, s17
	s_delay_alu instid0(SALU_CYCLE_2)
	s_cmp_nlt_f32 s33, 0xc2ce8ed0
	s_cselect_b32 s1, -1, 0
	s_cmp_ngt_f32 s33, 0x42b17218
	s_cselect_b32 s2, -1, 0
	s_cmp_ge_f32 s33, 0xc1a00000
	s_cselect_b32 s0, -1, 0
	s_cmp_nlt_f32 s37, 0xc2ce8ed0
	s_cselect_b32 s3, -1, 0
	s_cmp_ngt_f32 s37, 0x42b17218
	s_cselect_b32 s4, -1, 0
	s_cmp_ge_f32 s37, 0xc1a00000
	s_cselect_b32 s5, -1, 0
	s_and_b64 s[42:43], s[40:41], s[8:9]
	s_delay_alu instid0(SALU_CYCLE_1) | instskip(NEXT) | instid1(SALU_CYCLE_1)
	s_mul_u64 s[42:43], s[42:43], s[22:23]
	s_add_co_i32 s21, s43, s40
	s_delay_alu instid0(SALU_CYCLE_1) | instskip(NEXT) | instid1(SALU_CYCLE_1)
	s_lshr_b32 s21, s21, s13
	s_mul_i32 s24, s21, s14
	s_delay_alu instid0(SALU_CYCLE_1) | instskip(SKIP_3) | instid1(SALU_CYCLE_1)
	s_cmp_eq_u32 s24, s40
	s_cselect_b32 s24, -1, 0
	s_cmp_lt_u32 s21, s12
	s_cselect_b32 s21, -1, 0
	s_or_b32 s21, s21, s24
	s_mov_b32 s24, -1
	s_and_b32 vcc_lo, exec_lo, s21
	s_mov_b32 s21, s36
	s_cbranch_vccnz .LBB29_16
; %bb.15:                               ;   in Loop: Header=BB29_9 Depth=1
	s_add_co_i32 s21, s36, -1
	s_mov_b32 s24, 0
	s_mov_b32 s29, s40
.LBB29_16:                              ;   in Loop: Header=BB29_9 Depth=1
	v_mad_u32 v4, 0x240, s36, v6
	s_mul_f32 s40, s33, 0x3fb8aa3b
	s_mul_f32 s38, s37, 0x3fb8aa3b
	s_delay_alu instid0(SALU_CYCLE_2)
	s_xor_b32 s42, s40, 0x80000000
	s_rndne_f32 s44, s40
	s_fmamk_f32 s42, s33, 0x3fb8aa3b, s42
	s_xor_b32 s41, s38, 0x80000000
	s_rndne_f32 s43, s38
	s_sub_f32 s40, s40, s44
	global_load_b32 v5, v4, s[26:27] scale_offset
	s_fmamk_f32 s33, s33, 0x32a5705f, s42
	s_fmamk_f32 s41, s37, 0x3fb8aa3b, s41
	s_sub_f32 s38, s38, s43
	s_delay_alu instid0(SALU_CYCLE_1) | instskip(NEXT) | instid1(SALU_CYCLE_1)
	s_add_f32 s33, s40, s33
	s_fmamk_f32 s37, s37, 0x32a5705f, s41
	s_cvt_i32_f32 s40, s44
	s_delay_alu instid0(SALU_CYCLE_1) | instskip(NEXT) | instid1(SALU_CYCLE_1)
	v_s_exp_f32 s33, s33
	s_add_f32 s37, s38, s37
	s_cvt_i32_f32 s38, s43
	s_delay_alu instid0(SALU_CYCLE_2) | instskip(NEXT) | instid1(TRANS32_DEP_2)
	v_s_exp_f32 s37, s37
	v_ldexp_f32 v8, s33, s40
	s_wait_xcnt 0x0
	s_delay_alu instid0(TRANS32_DEP_1) | instskip(NEXT) | instid1(VALU_DEP_2)
	v_ldexp_f32 v4, s37, s38
	v_cndmask_b32_e64 v8, 0, v8, s1
	s_delay_alu instid0(VALU_DEP_1) | instskip(NEXT) | instid1(VALU_DEP_1)
	v_cndmask_b32_e64 v9, 0x7f800000, v8, s2
	v_dual_cndmask_b32 v4, 0, v4, s3 :: v_dual_cndmask_b32 v10, 0, v9, s0
	s_delay_alu instid0(VALU_DEP_1) | instskip(NEXT) | instid1(VALU_DEP_1)
	v_cndmask_b32_e64 v4, 0x7f800000, v4, s4
	v_dual_cndmask_b32 v8, 0, v4, s5 :: v_dual_mov_b32 v4, s39
	s_wait_loadcnt 0x0
	s_delay_alu instid0(VALU_DEP_1) | instskip(NEXT) | instid1(VALU_DEP_1)
	v_pk_mul_f32 v[4:5], v[4:5], v[8:9] op_sel_hi:[1,0]
	v_pk_fma_f32 v[4:5], v[0:1], v[10:11], v[4:5] op_sel_hi:[1,0,1]
	s_cbranch_execz .LBB29_19
.LBB29_17:                              ;   in Loop: Header=BB29_9 Depth=1
	s_and_not1_b32 vcc_lo, exec_lo, s24
	s_cbranch_vccnz .LBB29_20
	s_branch .LBB29_23
.LBB29_18:                              ;   in Loop: Header=BB29_9 Depth=1
	s_and_not1_b32 vcc_lo, exec_lo, s0
	s_cbranch_vccnz .LBB29_17
.LBB29_19:                              ;   in Loop: Header=BB29_9 Depth=1
	s_wait_loadcnt 0x0
	v_mov_b64_e32 v[4:5], v[0:1]
	s_add_co_i32 s21, s36, -1
	s_mov_b32 s29, s20
	s_mov_b32 s17, s28
	s_cbranch_execz .LBB29_23
.LBB29_20:                              ;   in Loop: Header=BB29_9 Depth=1
	s_wait_loadcnt 0x0
	s_delay_alu instid0(VALU_DEP_1)
	v_mov_b64_e32 v[0:1], v[4:5]
	s_mov_b32 s20, s29
	s_mov_b32 s36, s21
	;; [unrolled: 1-line block ×3, first 2 shown]
	s_branch .LBB29_9
.LBB29_21:
                                        ; implicit-def: $sgpr20_sgpr21
	s_branch .LBB29_2
.LBB29_22:
                                        ; implicit-def: $sgpr24_sgpr25
	s_load_b96 s[12:14], s[0:1], 0x44
	s_branch .LBB29_5
.LBB29_23:
	s_delay_alu instid0(VALU_DEP_1) | instskip(SKIP_1) | instid1(VALU_DEP_1)
	v_div_scale_f32 v0, null, v4, v4, v5
	s_wait_loadcnt 0x0
	v_rcp_f32_e32 v1, v0
	v_nop
	s_delay_alu instid0(TRANS32_DEP_1) | instskip(NEXT) | instid1(VALU_DEP_1)
	v_fma_f32 v6, -v0, v1, 1.0
	v_fmac_f32_e32 v1, v6, v1
	v_div_scale_f32 v6, vcc_lo, v5, v4, v5
	s_delay_alu instid0(VALU_DEP_1) | instskip(NEXT) | instid1(VALU_DEP_1)
	v_mul_f32_e32 v7, v6, v1
	v_fma_f32 v8, -v0, v7, v6
	s_delay_alu instid0(VALU_DEP_1) | instskip(NEXT) | instid1(VALU_DEP_1)
	v_fmac_f32_e32 v7, v8, v1
	v_fma_f32 v0, -v0, v7, v6
	s_delay_alu instid0(VALU_DEP_1) | instskip(NEXT) | instid1(VALU_DEP_1)
	v_div_fmas_f32 v0, v0, v1, v7
	v_div_fixup_f32 v0, v0, v4, v5
	global_store_b32 v[2:3], v0, off
.LBB29_24:
	s_endpgm
	.section	.rodata,"a",@progbits
	.p2align	6, 0x0
	.amdhsa_kernel _ZL33flash_attn_stream_k_fixup_generalILi72ELi2ELi4EEvPfPK15HIP_vector_typeIfLj2EEiiiiS1_IjLj3EES5_S5_S5_
		.amdhsa_group_segment_fixed_size 0
		.amdhsa_private_segment_fixed_size 0
		.amdhsa_kernarg_size 336
		.amdhsa_user_sgpr_count 2
		.amdhsa_user_sgpr_dispatch_ptr 0
		.amdhsa_user_sgpr_queue_ptr 0
		.amdhsa_user_sgpr_kernarg_segment_ptr 1
		.amdhsa_user_sgpr_dispatch_id 0
		.amdhsa_user_sgpr_kernarg_preload_length 0
		.amdhsa_user_sgpr_kernarg_preload_offset 0
		.amdhsa_user_sgpr_private_segment_size 0
		.amdhsa_wavefront_size32 1
		.amdhsa_uses_dynamic_stack 0
		.amdhsa_enable_private_segment 0
		.amdhsa_system_sgpr_workgroup_id_x 1
		.amdhsa_system_sgpr_workgroup_id_y 1
		.amdhsa_system_sgpr_workgroup_id_z 1
		.amdhsa_system_sgpr_workgroup_info 0
		.amdhsa_system_vgpr_workitem_id 0
		.amdhsa_next_free_vgpr 12
		.amdhsa_next_free_sgpr 46
		.amdhsa_named_barrier_count 0
		.amdhsa_reserve_vcc 1
		.amdhsa_float_round_mode_32 0
		.amdhsa_float_round_mode_16_64 0
		.amdhsa_float_denorm_mode_32 3
		.amdhsa_float_denorm_mode_16_64 3
		.amdhsa_fp16_overflow 0
		.amdhsa_memory_ordered 1
		.amdhsa_forward_progress 1
		.amdhsa_inst_pref_size 27
		.amdhsa_round_robin_scheduling 0
		.amdhsa_exception_fp_ieee_invalid_op 0
		.amdhsa_exception_fp_denorm_src 0
		.amdhsa_exception_fp_ieee_div_zero 0
		.amdhsa_exception_fp_ieee_overflow 0
		.amdhsa_exception_fp_ieee_underflow 0
		.amdhsa_exception_fp_ieee_inexact 0
		.amdhsa_exception_int_div_zero 0
	.end_amdhsa_kernel
	.section	.text._ZL33flash_attn_stream_k_fixup_generalILi72ELi2ELi4EEvPfPK15HIP_vector_typeIfLj2EEiiiiS1_IjLj3EES5_S5_S5_,"axG",@progbits,_ZL33flash_attn_stream_k_fixup_generalILi72ELi2ELi4EEvPfPK15HIP_vector_typeIfLj2EEiiiiS1_IjLj3EES5_S5_S5_,comdat
.Lfunc_end29:
	.size	_ZL33flash_attn_stream_k_fixup_generalILi72ELi2ELi4EEvPfPK15HIP_vector_typeIfLj2EEiiiiS1_IjLj3EES5_S5_S5_, .Lfunc_end29-_ZL33flash_attn_stream_k_fixup_generalILi72ELi2ELi4EEvPfPK15HIP_vector_typeIfLj2EEiiiiS1_IjLj3EES5_S5_S5_
                                        ; -- End function
	.set _ZL33flash_attn_stream_k_fixup_generalILi72ELi2ELi4EEvPfPK15HIP_vector_typeIfLj2EEiiiiS1_IjLj3EES5_S5_S5_.num_vgpr, 12
	.set _ZL33flash_attn_stream_k_fixup_generalILi72ELi2ELi4EEvPfPK15HIP_vector_typeIfLj2EEiiiiS1_IjLj3EES5_S5_S5_.num_agpr, 0
	.set _ZL33flash_attn_stream_k_fixup_generalILi72ELi2ELi4EEvPfPK15HIP_vector_typeIfLj2EEiiiiS1_IjLj3EES5_S5_S5_.numbered_sgpr, 46
	.set _ZL33flash_attn_stream_k_fixup_generalILi72ELi2ELi4EEvPfPK15HIP_vector_typeIfLj2EEiiiiS1_IjLj3EES5_S5_S5_.num_named_barrier, 0
	.set _ZL33flash_attn_stream_k_fixup_generalILi72ELi2ELi4EEvPfPK15HIP_vector_typeIfLj2EEiiiiS1_IjLj3EES5_S5_S5_.private_seg_size, 0
	.set _ZL33flash_attn_stream_k_fixup_generalILi72ELi2ELi4EEvPfPK15HIP_vector_typeIfLj2EEiiiiS1_IjLj3EES5_S5_S5_.uses_vcc, 1
	.set _ZL33flash_attn_stream_k_fixup_generalILi72ELi2ELi4EEvPfPK15HIP_vector_typeIfLj2EEiiiiS1_IjLj3EES5_S5_S5_.uses_flat_scratch, 0
	.set _ZL33flash_attn_stream_k_fixup_generalILi72ELi2ELi4EEvPfPK15HIP_vector_typeIfLj2EEiiiiS1_IjLj3EES5_S5_S5_.has_dyn_sized_stack, 0
	.set _ZL33flash_attn_stream_k_fixup_generalILi72ELi2ELi4EEvPfPK15HIP_vector_typeIfLj2EEiiiiS1_IjLj3EES5_S5_S5_.has_recursion, 0
	.set _ZL33flash_attn_stream_k_fixup_generalILi72ELi2ELi4EEvPfPK15HIP_vector_typeIfLj2EEiiiiS1_IjLj3EES5_S5_S5_.has_indirect_call, 0
	.section	.AMDGPU.csdata,"",@progbits
; Kernel info:
; codeLenInByte = 3352
; TotalNumSgprs: 48
; NumVgprs: 12
; ScratchSize: 0
; MemoryBound: 0
; FloatMode: 240
; IeeeMode: 1
; LDSByteSize: 0 bytes/workgroup (compile time only)
; SGPRBlocks: 0
; VGPRBlocks: 0
; NumSGPRsForWavesPerEU: 48
; NumVGPRsForWavesPerEU: 12
; NamedBarCnt: 0
; Occupancy: 16
; WaveLimiterHint : 0
; COMPUTE_PGM_RSRC2:SCRATCH_EN: 0
; COMPUTE_PGM_RSRC2:USER_SGPR: 2
; COMPUTE_PGM_RSRC2:TRAP_HANDLER: 0
; COMPUTE_PGM_RSRC2:TGID_X_EN: 1
; COMPUTE_PGM_RSRC2:TGID_Y_EN: 1
; COMPUTE_PGM_RSRC2:TGID_Z_EN: 1
; COMPUTE_PGM_RSRC2:TIDIG_COMP_CNT: 0
	.section	.text._ZL15flash_attn_tileILi72ELi72ELi1ELi4ELb0EEvPKcS1_S1_S1_S1_PKiPfP15HIP_vector_typeIfLj2EEffffjfiS5_IjLj3EEiiiiiiiiiiiliiliiiiil,"axG",@progbits,_ZL15flash_attn_tileILi72ELi72ELi1ELi4ELb0EEvPKcS1_S1_S1_S1_PKiPfP15HIP_vector_typeIfLj2EEffffjfiS5_IjLj3EEiiiiiiiiiiiliiliiiiil,comdat
	.globl	_ZL15flash_attn_tileILi72ELi72ELi1ELi4ELb0EEvPKcS1_S1_S1_S1_PKiPfP15HIP_vector_typeIfLj2EEffffjfiS5_IjLj3EEiiiiiiiiiiiliiliiiiil ; -- Begin function _ZL15flash_attn_tileILi72ELi72ELi1ELi4ELb0EEvPKcS1_S1_S1_S1_PKiPfP15HIP_vector_typeIfLj2EEffffjfiS5_IjLj3EEiiiiiiiiiiiliiliiiiil
	.p2align	8
	.type	_ZL15flash_attn_tileILi72ELi72ELi1ELi4ELb0EEvPKcS1_S1_S1_S1_PKiPfP15HIP_vector_typeIfLj2EEffffjfiS5_IjLj3EEiiiiiiiiiiiliiliiiiil,@function
_ZL15flash_attn_tileILi72ELi72ELi1ELi4ELb0EEvPKcS1_S1_S1_S1_PKiPfP15HIP_vector_typeIfLj2EEffffjfiS5_IjLj3EEiiiiiiiiiiiliiliiiiil: ; @_ZL15flash_attn_tileILi72ELi72ELi1ELi4ELb0EEvPKcS1_S1_S1_S1_PKiPfP15HIP_vector_typeIfLj2EEffffjfiS5_IjLj3EEiiiiiiiiiiiliiliiiiil
; %bb.0:
	s_clause 0x1
	s_load_b128 s[20:23], s[0:1], 0x5c
	s_load_b64 s[30:31], s[0:1], 0x80
	s_bfe_u32 s5, ttmp6, 0x40014
	s_lshr_b32 s4, ttmp7, 16
	s_add_co_i32 s5, s5, 1
	s_bfe_u32 s6, ttmp6, 0x40008
	s_mul_i32 s5, s4, s5
	s_getreg_b32 s24, hwreg(HW_REG_IB_STS2, 6, 4)
	s_add_co_i32 s6, s6, s5
	s_mov_b32 s37, 0
	s_mov_b64 s[34:35], 0
	s_wait_kmcnt 0x0
	s_ashr_i32 s2, s23, 31
	s_delay_alu instid0(SALU_CYCLE_1) | instskip(NEXT) | instid1(SALU_CYCLE_1)
	s_lshr_b32 s2, s2, 30
	s_add_co_i32 s2, s23, s2
	s_delay_alu instid0(SALU_CYCLE_1) | instskip(NEXT) | instid1(SALU_CYCLE_1)
	s_ashr_i32 s2, s2, 2
	s_cvt_f32_u32 s3, s2
	s_sub_co_i32 s7, 0, s2
	s_delay_alu instid0(SALU_CYCLE_2) | instskip(SKIP_1) | instid1(TRANS32_DEP_1)
	v_rcp_iflag_f32_e32 v1, s3
	v_nop
	v_readfirstlane_b32 s3, v1
	s_mul_f32 s3, s3, 0x4f7ffffe
	s_delay_alu instid0(SALU_CYCLE_3) | instskip(NEXT) | instid1(SALU_CYCLE_3)
	s_cvt_u32_f32 s3, s3
	s_mul_i32 s7, s7, s3
	s_delay_alu instid0(SALU_CYCLE_1) | instskip(NEXT) | instid1(SALU_CYCLE_1)
	s_mul_hi_u32 s7, s3, s7
	s_add_co_i32 s3, s3, s7
	s_cmp_eq_u32 s24, 0
	s_cselect_b32 s4, s4, s6
	s_delay_alu instid0(SALU_CYCLE_1) | instskip(NEXT) | instid1(SALU_CYCLE_1)
	s_mul_hi_u32 s3, s4, s3
	s_mul_i32 s5, s3, s2
	s_add_co_i32 s6, s3, 1
	s_sub_co_i32 s5, s4, s5
	s_delay_alu instid0(SALU_CYCLE_1)
	s_sub_co_i32 s7, s5, s2
	s_cmp_ge_u32 s5, s2
	s_cselect_b32 s3, s6, s3
	s_cselect_b32 s5, s7, s5
	s_add_co_i32 s6, s3, 1
	s_cmp_ge_u32 s5, s2
	s_cselect_b32 s28, s6, s3
	s_abs_i32 s2, s31
	s_abs_i32 s6, s23
	s_cvt_f32_u32 s3, s2
	s_sub_co_i32 s5, 0, s2
	s_lshl_b32 s25, s4, 2
	s_xor_b32 s4, s23, s31
	v_rcp_iflag_f32_e32 v1, s3
	s_ashr_i32 s26, s4, 31
	v_nop
	s_delay_alu instid0(TRANS32_DEP_1) | instskip(SKIP_1) | instid1(SALU_CYCLE_3)
	v_readfirstlane_b32 s3, v1
	s_mul_f32 s3, s3, 0x4f7ffffe
	s_cvt_u32_f32 s3, s3
	s_delay_alu instid0(SALU_CYCLE_3) | instskip(NEXT) | instid1(SALU_CYCLE_1)
	s_mul_i32 s5, s5, s3
	s_mul_hi_u32 s5, s3, s5
	s_delay_alu instid0(SALU_CYCLE_1) | instskip(NEXT) | instid1(SALU_CYCLE_1)
	s_add_co_i32 s3, s3, s5
	s_mul_hi_u32 s3, s6, s3
	s_delay_alu instid0(SALU_CYCLE_1) | instskip(NEXT) | instid1(SALU_CYCLE_1)
	s_mul_i32 s5, s3, s2
	s_sub_co_i32 s4, s6, s5
	s_add_co_i32 s5, s3, 1
	s_sub_co_i32 s6, s4, s2
	s_cmp_ge_u32 s4, s2
	s_cselect_b32 s3, s5, s3
	s_cselect_b32 s4, s6, s4
	s_add_co_i32 s5, s3, 1
	s_cmp_ge_u32 s4, s2
	s_cselect_b32 s2, s5, s3
	s_load_b512 s[4:19], s[0:1], 0x0
	s_xor_b32 s27, s2, s26
	s_load_b64 s[2:3], s[0:1], 0xb8
	s_sub_co_i32 s29, s27, s26
	s_delay_alu instid0(SALU_CYCLE_1) | instskip(NEXT) | instid1(SALU_CYCLE_1)
	s_abs_i32 s39, s29
	s_cvt_f32_u32 s26, s39
	s_delay_alu instid0(SALU_CYCLE_3) | instskip(SKIP_2) | instid1(TRANS32_DEP_1)
	v_rcp_iflag_f32_e32 v1, s26
	s_mul_i32 s26, s28, s23
	v_nop
	v_readfirstlane_b32 s36, v1
	s_wait_kmcnt 0x0
	s_cmp_eq_u64 s[10:11], 0
	s_cbranch_scc1 .LBB30_2
; %bb.1:
	s_abs_i32 s2, s2
	s_abs_i32 s33, s28
	s_cvt_f32_u32 s27, s2
	s_sub_co_i32 s31, 0, s2
	s_load_b64 s[34:35], s[0:1], 0xc8
	s_delay_alu instid0(SALU_CYCLE_1) | instskip(SKIP_1) | instid1(TRANS32_DEP_1)
	v_rcp_iflag_f32_e32 v1, s27
	v_nop
	v_readfirstlane_b32 s27, v1
	s_mul_f32 s27, s27, 0x4f7ffffe
	s_delay_alu instid0(SALU_CYCLE_3) | instskip(NEXT) | instid1(SALU_CYCLE_3)
	s_cvt_u32_f32 s27, s27
	s_mul_i32 s31, s31, s27
	s_delay_alu instid0(SALU_CYCLE_1) | instskip(NEXT) | instid1(SALU_CYCLE_1)
	s_mul_hi_u32 s31, s27, s31
	s_add_co_i32 s27, s27, s31
	s_ashr_i32 s31, s28, 31
	s_mul_hi_u32 s27, s33, s27
	s_delay_alu instid0(SALU_CYCLE_1) | instskip(NEXT) | instid1(SALU_CYCLE_1)
	s_mul_i32 s27, s27, s2
	s_sub_co_i32 s27, s33, s27
	s_delay_alu instid0(SALU_CYCLE_1) | instskip(SKIP_2) | instid1(SALU_CYCLE_1)
	s_sub_co_i32 s33, s27, s2
	s_cmp_ge_u32 s27, s2
	s_cselect_b32 s27, s33, s27
	s_sub_co_i32 s33, s27, s2
	s_cmp_ge_u32 s27, s2
	s_cselect_b32 s2, s33, s27
	s_delay_alu instid0(SALU_CYCLE_1) | instskip(NEXT) | instid1(SALU_CYCLE_1)
	s_xor_b32 s2, s2, s31
	s_sub_co_i32 s40, s2, s31
	s_delay_alu instid0(SALU_CYCLE_1) | instskip(SKIP_2) | instid1(SALU_CYCLE_1)
	s_ashr_i32 s41, s40, 31
	s_wait_kmcnt 0x0
	s_mul_u64 s[34:35], s[34:35], s[40:41]
	s_add_nc_u64 s[34:35], s[10:11], s[34:35]
.LBB30_2:
	s_bfe_u32 s2, ttmp6, 0x4000c
	v_and_b32_e32 v18, 0x3ff, v0
	v_bfe_u32 v4, v0, 10, 10
	s_add_co_i32 s2, s2, 1
	s_and_b32 s10, ttmp6, 15
	s_mul_i32 s2, ttmp9, s2
	s_movk_i32 s11, 0x90
	s_sub_co_i32 s33, s25, s26
	s_add_co_i32 s10, s10, s2
	v_cmp_gt_u32_e64 s2, 18, v18
	v_mad_u32_u24 v17, v4, s11, 0x14e0
	v_dual_lshlrev_b32 v21, 3, v18 :: v_dual_bitop2_b32 v0, 3, v4 bitop3:0x40
	v_lshrrev_b32_e32 v19, 2, v4
	s_cmp_eq_u32 s24, 0
	s_cselect_b32 s31, ttmp9, s10
	s_and_saveexec_b32 s10, s2
	s_cbranch_execz .LBB30_4
; %bb.3:
	v_add_nc_u32_e32 v2, s31, v19
	s_load_b96 s[40:42], s[0:1], 0x70
	v_lshlrev_b32_e32 v8, 4, v18
	s_delay_alu instid0(VALU_DEP_2) | instskip(NEXT) | instid1(VALU_DEP_1)
	v_mul_hi_u32 v1, s20, v2
	v_add_nc_u32_e32 v1, v2, v1
	s_wait_kmcnt 0x0
	s_ashr_i32 s27, s41, 31
	s_delay_alu instid0(VALU_DEP_1)
	v_lshrrev_b32_e32 v1, s21, v1
	s_mov_b32 s26, s41
	s_mul_i32 s44, s33, s41
	s_lshr_b64 s[26:27], s[26:27], 2
	s_ashr_i32 s41, s40, 31
	v_mul_lo_u32 v5, v1, s22
	v_mov_b32_e32 v1, 0
	s_ashr_i32 s45, s44, 31
	s_delay_alu instid0(VALU_DEP_1)
	v_dual_mov_b32 v3, v1 :: v_dual_sub_nc_u32 v2, v2, v5
	v_mov_b32_e32 v9, v1
	v_mul_u64_e32 v[6:7], s[26:27], v[0:1]
	s_lshr_b64 s[26:27], s[40:41], 2
	s_delay_alu instid0(VALU_DEP_3) | instid1(SALU_CYCLE_1)
	v_mul_u64_e32 v[2:3], s[26:27], v[2:3]
	s_mul_i32 s26, s28, s42
	s_delay_alu instid0(SALU_CYCLE_1) | instskip(NEXT) | instid1(SALU_CYCLE_1)
	s_ashr_i32 s27, s26, 31
	s_add_nc_u64 s[4:5], s[4:5], s[26:27]
	s_delay_alu instid0(SALU_CYCLE_1)
	s_add_nc_u64 s[4:5], s[4:5], s[44:45]
	s_delay_alu instid0(VALU_DEP_2) | instid1(SALU_CYCLE_1)
	v_lshl_add_u64 v[6:7], v[6:7], 2, s[4:5]
	s_load_b32 s4, s[0:1], 0x40
	s_delay_alu instid0(VALU_DEP_1) | instskip(NEXT) | instid1(VALU_DEP_1)
	v_lshl_add_u64 v[2:3], v[2:3], 2, v[6:7]
	v_add_nc_u64_e32 v[2:3], v[2:3], v[8:9]
	global_load_b128 v[6:9], v[2:3], off
	s_wait_loadcnt 0x0
	s_wait_kmcnt 0x0
	v_fma_mixlo_f16 v1, s4, v6, 0
	v_mov_b32_e32 v6, v9
	s_delay_alu instid0(VALU_DEP_2) | instskip(NEXT) | instid1(VALU_DEP_2)
	v_and_b32_e32 v1, 0xffff, v1
	v_pk_mul_f32 v[2:3], s[4:5], v[6:7] op_sel_hi:[0,1]
	s_delay_alu instid0(VALU_DEP_1) | instskip(SKIP_1) | instid1(VALU_DEP_2)
	v_cvt_pk_f16_f32 v2, v2, v3
	v_fma_mixlo_f16 v3, s4, v8, 0
	v_and_b32_e32 v5, 0xffff0000, v2
	s_delay_alu instid0(VALU_DEP_2) | instskip(NEXT) | instid1(VALU_DEP_2)
	v_and_b32_e32 v3, 0xffff, v3
	v_dual_lshlrev_b32 v2, 16, v2 :: v_dual_bitop2_b32 v1, v5, v1 bitop3:0x54
	v_add_nc_u32_e32 v5, v17, v21
	s_delay_alu instid0(VALU_DEP_2) | instskip(NEXT) | instid1(VALU_DEP_3)
	v_or3_b32 v3, v2, v3, 0
	v_or3_b32 v2, 0, 0, v1
	ds_store_b64 v5, v[2:3]
.LBB30_4:
	s_or_b32 exec_lo, exec_lo, s10
	s_cmp_eq_u64 s[14:15], 0
	s_wait_dscnt 0x0
	s_barrier_signal -1
	s_barrier_wait -1
	s_cbranch_scc1 .LBB30_6
; %bb.5:
	s_load_b32 s4, s[0:1], 0xd0
	s_wait_kmcnt 0x0
	s_mul_i32 s4, s4, s28
	s_delay_alu instid0(SALU_CYCLE_1)
	s_add_co_i32 s4, s4, s31
	s_load_b32 s30, s[14:15], s4 offset:0x0 scale_offset
.LBB30_6:
	s_wait_xcnt 0x0
	s_bfe_u32 s4, ttmp6, 0x40010
	s_and_b32 s5, ttmp7, 0xffff
	s_add_co_i32 s4, s4, 1
	s_bfe_u32 s10, ttmp6, 0x40004
	s_mul_i32 s4, s5, s4
	v_mbcnt_lo_u32_b32 v1, -1, 0
	s_add_co_i32 s10, s10, s4
	s_cmp_eq_u32 s24, 0
	s_cselect_b32 s38, s5, s10
	s_mov_b32 s5, 0
	s_lshl_b32 s4, s38, 5
	s_wait_kmcnt 0x0
	s_cmp_lt_i32 s4, s30
	s_cbranch_scc1 .LBB30_9
; %bb.7:
	v_mbcnt_lo_u32_b32 v2, -1, 0
	s_delay_alu instid0(VALU_DEP_1)
	v_dual_mov_b32 v22, 32 :: v_dual_bitop2_b32 v27, 16, v2 bitop3:0x14
	v_xor_b32_e32 v26, 8, v2
	v_xor_b32_e32 v25, 4, v2
	;; [unrolled: 1-line block ×4, first 2 shown]
	v_lshlrev_b32_e32 v20, 2, v18
	s_and_not1_b32 vcc_lo, exec_lo, s5
	s_cbranch_vccz .LBB30_10
; %bb.8:
	v_dual_mov_b32 v39, 0 :: v_dual_mov_b32 v41, 0
	v_mov_b32_e32 v16, 0xfeffffff
	v_mov_b32_e32 v40, 0
	s_branch .LBB30_18
.LBB30_9:
                                        ; implicit-def: $vgpr2
                                        ; implicit-def: $vgpr22
                                        ; implicit-def: $vgpr27
                                        ; implicit-def: $vgpr26
                                        ; implicit-def: $vgpr25
                                        ; implicit-def: $vgpr24
                                        ; implicit-def: $vgpr23
	v_lshlrev_b32_e32 v20, 2, v18
.LBB30_10:
	v_dual_add_nc_u32 v9, s31, v19 :: v_dual_lshrrev_b32 v3, 3, v18
	s_clause 0x1
	s_load_b64 s[14:15], s[0:1], 0x8c
	s_load_b128 s[24:27], s[0:1], 0x98
	s_mul_f32 s5, s36, 0x4f7ffffe
	s_sub_co_i32 s10, 0, s39
	v_mul_hi_u32 v2, s20, v9
	v_lshl_add_u32 v22, v4, 2, v3
	s_cvt_u32_f32 s5, s5
	s_abs_i32 s36, s33
	s_mov_b32 s11, s37
	s_load_b64 s[40:41], s[0:1], 0xa8
	s_mul_i32 s10, s10, s5
	s_ashr_i32 s42, s33, 31
	s_mul_hi_u32 s10, s5, s10
	s_ashr_i32 s43, s29, 31
	s_add_co_i32 s10, s5, s10
	v_dual_add_nc_u32 v3, v9, v2 :: v_dual_bitop2_b32 v16, 28, v20 bitop3:0x40
	s_mul_u64 s[10:11], s[36:37], s[10:11]
	s_ashr_i32 s3, s3, 1
	s_mul_i32 s5, s11, s39
	s_delay_alu instid0(VALU_DEP_1)
	v_dual_lshrrev_b32 v3, s21, v3 :: v_dual_lshlrev_b32 v23, 2, v16
	s_sub_co_i32 s5, s36, s5
	s_wait_kmcnt 0x0
	s_ashr_i32 s14, s14, 2
	s_ashr_i32 s29, s28, 31
	v_mul_lo_u32 v11, v3, s22
	s_xor_b32 s37, s42, s43
	s_ashr_i32 s10, s26, 2
	s_add_co_i32 s26, s11, 1
	s_sub_co_i32 s36, s5, s39
	v_mul_lo_u32 v2, s14, v22
	v_lshl_add_u32 v13, v4, 5, v18
	v_add_nc_u32_e32 v15, 16, v22
	s_cmp_ge_u32 s5, s39
	v_mul_lo_u32 v14, s10, v22
	s_cselect_b32 s11, s26, s11
	s_cselect_b32 s5, s36, s5
	s_add_co_i32 s26, s11, 1
	v_mul_lo_u32 v8, s14, v13
	v_mul_lo_u32 v10, s10, v13
	v_sub_nc_u32_e32 v11, v9, v11
	v_mul_lo_u32 v12, s10, v15
	s_cmp_ge_u32 s5, s39
	v_dual_mov_b32 v5, 0 :: v_dual_ashrrev_i32 v3, 31, v2
	s_cselect_b32 s5, s26, s11
	v_mad_u32 v33, v11, s3, v18
	s_xor_b32 s5, s5, s37
	v_mad_u32_u24 v28, 0xa0, v22, v23
	v_lshl_add_u32 v6, s14, 4, v2
	v_lshl_add_u32 v31, v4, 6, 0x1720
	s_sub_co_i32 s5, s5, s37
	s_mul_u64 s[24:25], s[24:25], s[28:29]
	s_mul_i32 s36, s5, s15
	s_mul_i32 s20, s5, s27
	s_movk_i32 s5, 0x80
	s_movk_i32 s3, 0x90
	s_add_nc_u64 s[6:7], s[6:7], s[24:25]
	s_mul_u64 s[24:25], s[40:41], s[28:29]
	v_cmp_gt_u32_e32 vcc_lo, 32, v13
	v_add_nc_u32_e32 v29, 0xa00, v28
	v_dual_ashrrev_i32 v7, 31, v6 :: v_dual_ashrrev_i32 v9, 31, v8
	v_mul_u32_u24_e32 v30, 0xa0, v18
	v_mad_u32_u24 v32, 0xa0, v13, s5
	v_lshl_add_u32 v34, v18, 1, v31
	v_ashrrev_i32_e32 v11, 31, v10
	v_mad_u32_u24 v35, v13, s3, 0x80
	v_ashrrev_i32_e32 v13, 31, v12
	v_mad_u32_u24 v36, 0x90, v15, v23
	v_dual_mov_b32 v42, 0xfeffffff :: v_dual_ashrrev_i32 v15, 31, v14
	v_mad_u32_u24 v37, 0x90, v22, v23
	v_dual_lshlrev_b32 v4, 2, v16 :: v_dual_bitop2_b32 v27, 16, v1 bitop3:0x14
	v_dual_mov_b32 v22, 32 :: v_dual_bitop2_b32 v26, 8, v1 bitop3:0x14
	v_dual_mov_b32 v40, v5 :: v_dual_bitop2_b32 v25, 4, v1 bitop3:0x14
	;; [unrolled: 1-line block ×4, first 2 shown]
	s_ashr_i32 s37, s36, 31
	s_add_nc_u64 s[8:9], s[8:9], s[24:25]
	s_ashr_i32 s21, s20, 31
	s_add_nc_u64 s[6:7], s[6:7], s[36:37]
	s_add_nc_u64 s[8:9], s[8:9], s[20:21]
	s_ashr_i32 s15, s14, 31
	s_ashr_i32 s11, s10, 31
	s_add_nc_u64 s[20:21], s[0:1], 0xd0
.LBB30_11:                              ; =>This Inner Loop Header: Depth=1
	s_ashr_i32 s5, s4, 31
	s_delay_alu instid0(SALU_CYCLE_1) | instskip(NEXT) | instid1(SALU_CYCLE_1)
	s_mul_u64 s[24:25], s[4:5], s[14:15]
	s_lshl_b64 s[24:25], s[24:25], 2
	s_delay_alu instid0(SALU_CYCLE_1)
	s_add_nc_u64 s[24:25], s[6:7], s[24:25]
	s_and_saveexec_b32 s3, vcc_lo
	s_cbranch_execz .LBB30_13
; %bb.12:                               ;   in Loop: Header=BB30_11 Depth=1
	v_lshl_add_u64 v[44:45], v[8:9], 2, s[24:25]
	global_load_b128 v[44:47], v[44:45], off offset:128
	s_wait_loadcnt 0x0
	ds_store_b128 v32, v[44:47]
.LBB30_13:                              ;   in Loop: Header=BB30_11 Depth=1
	s_or_b32 exec_lo, exec_lo, s3
	v_lshl_add_u64 v[44:45], v[2:3], 2, s[24:25]
	v_lshl_add_u64 v[46:47], v[6:7], 2, s[24:25]
	v_dual_mov_b32 v41, 0 :: v_dual_add_nc_u32 v16, s4, v33
	v_cmp_gt_i32_e64 s3, 32, v27
	s_delay_alu instid0(VALU_DEP_4) | instskip(NEXT) | instid1(VALU_DEP_4)
	v_add_nc_u64_e32 v[52:53], v[44:45], v[4:5]
	v_add_nc_u64_e32 v[54:55], v[46:47], v[4:5]
	s_mul_u64 s[24:25], s[4:5], s[10:11]
	s_clause 0x1
	global_load_b128 v[44:47], v[52:53], off
	global_load_b128 v[48:51], v[54:55], off
	s_lshl_b64 s[24:25], s[24:25], 2
	s_wait_loadcnt 0x1
	ds_store_b128 v28, v[44:47]
	s_wait_loadcnt 0x0
	ds_store_b128 v29, v[48:51]
	s_wait_dscnt 0x0
	s_barrier_signal -1
	s_barrier_wait -1
	ds_load_b128 v[44:47], v30
	ds_load_b128 v[48:51], v17
	s_add_nc_u64 s[24:25], s[8:9], s[24:25]
	s_wait_dscnt 0x0
	;;#ASMSTART
	v_dot2_f32_f16 v41, v44, v48, v41
	;;#ASMEND
	;;#ASMSTART
	v_dot2_f32_f16 v41, v45, v49, v41
	;;#ASMEND
	;;#ASMSTART
	v_dot2_f32_f16 v41, v46, v50, v41
	;;#ASMEND
	;;#ASMSTART
	v_dot2_f32_f16 v41, v47, v51, v41
	;;#ASMEND
	ds_load_b128 v[44:47], v30 offset:16
	ds_load_b128 v[48:51], v17 offset:16
	s_wait_dscnt 0x0
	;;#ASMSTART
	v_dot2_f32_f16 v41, v44, v48, v41
	;;#ASMEND
	;;#ASMSTART
	v_dot2_f32_f16 v41, v45, v49, v41
	;;#ASMEND
	;;#ASMSTART
	v_dot2_f32_f16 v41, v46, v50, v41
	;;#ASMEND
	;;#ASMSTART
	v_dot2_f32_f16 v41, v47, v51, v41
	;;#ASMEND
	ds_load_b128 v[44:47], v30 offset:32
	ds_load_b128 v[48:51], v17 offset:32
	;; [unrolled: 15-line block ×8, first 2 shown]
	s_wait_dscnt 0x0
	;;#ASMSTART
	v_dot2_f32_f16 v41, v44, v48, v41
	;;#ASMEND
	;;#ASMSTART
	v_dot2_f32_f16 v41, v45, v49, v41
	;;#ASMEND
	;; [unrolled: 3-line block ×4, first 2 shown]
	global_load_u16 v16, v16, s[34:35] scale_offset
	s_wait_loadcnt 0x0
	s_barrier_signal -1
	s_barrier_wait -1
	v_max_num_f32_e32 v43, v42, v42
	s_wait_xcnt 0x0
	v_cvt_f32_f16_e32 v16, v16
	s_delay_alu instid0(VALU_DEP_1) | instskip(NEXT) | instid1(VALU_DEP_1)
	v_add_f32_e32 v41, v41, v16
	v_add_f32_e32 v44, 0x40051340, v41
	v_cndmask_b32_e64 v16, v1, v27, s3
	v_cmp_gt_i32_e64 s3, 32, v26
	s_delay_alu instid0(VALU_DEP_3) | instskip(NEXT) | instid1(VALU_DEP_2)
	v_max_num_f32_e32 v43, v43, v44
	v_dual_lshlrev_b32 v16, 2, v16 :: v_dual_cndmask_b32 v44, v1, v26, s3
	v_cmp_gt_i32_e64 s3, 32, v25
	ds_bpermute_b32 v16, v16, v43
	s_wait_dscnt 0x0
	v_max_num_f32_e32 v16, v16, v16
	s_delay_alu instid0(VALU_DEP_1)
	v_max_num_f32_e32 v16, v43, v16
	v_lshlrev_b32_e32 v44, 2, v44
	ds_bpermute_b32 v43, v44, v16
	v_cndmask_b32_e64 v44, v1, v25, s3
	v_cmp_gt_i32_e64 s3, 32, v24
	s_wait_dscnt 0x0
	v_max_num_f32_e32 v43, v43, v43
	s_delay_alu instid0(VALU_DEP_1)
	v_dual_max_num_f32 v16, v16, v43 :: v_dual_lshlrev_b32 v44, 2, v44
	ds_bpermute_b32 v43, v44, v16
	v_cndmask_b32_e64 v44, v1, v24, s3
	v_cmp_gt_i32_e64 s3, 32, v23
	s_wait_dscnt 0x0
	v_max_num_f32_e32 v43, v43, v43
	s_delay_alu instid0(VALU_DEP_1) | instskip(SKIP_3) | instid1(VALU_DEP_1)
	v_dual_max_num_f32 v16, v16, v43 :: v_dual_lshlrev_b32 v44, 2, v44
	ds_bpermute_b32 v43, v44, v16
	v_cndmask_b32_e64 v44, v1, v23, s3
	s_wait_dscnt 0x0
	v_dual_max_num_f32 v43, v43, v43 :: v_dual_lshlrev_b32 v44, 2, v44
	s_delay_alu instid0(VALU_DEP_1) | instskip(SKIP_3) | instid1(VALU_DEP_1)
	v_max_num_f32_e32 v16, v16, v43
	ds_bpermute_b32 v43, v44, v16
	s_wait_dscnt 0x0
	v_max_num_f32_e32 v43, v43, v43
	v_max_num_f32_e32 v16, v16, v43
	s_delay_alu instid0(VALU_DEP_1) | instskip(NEXT) | instid1(VALU_DEP_1)
	v_sub_f32_e32 v41, v41, v16
	v_mul_f32_e32 v43, 0x3fb8aa3b, v41
	v_cmp_ngt_f32_e64 s3, 0xc2ce8ed0, v41
	s_delay_alu instid0(VALU_DEP_2) | instskip(SKIP_1) | instid1(VALU_DEP_2)
	v_fma_f32 v44, 0x3fb8aa3b, v41, -v43
	v_rndne_f32_e32 v45, v43
	v_fmac_f32_e32 v44, 0x32a5705f, v41
	s_delay_alu instid0(VALU_DEP_2) | instskip(NEXT) | instid1(VALU_DEP_1)
	v_sub_f32_e32 v43, v43, v45
	v_add_f32_e32 v43, v43, v44
	v_cvt_i32_f32_e32 v44, v45
	s_delay_alu instid0(VALU_DEP_2) | instskip(SKIP_1) | instid1(TRANS32_DEP_1)
	v_exp_f32_e32 v43, v43
	v_nop
	v_ldexp_f32 v43, v43, v44
	s_delay_alu instid0(VALU_DEP_1) | instskip(SKIP_1) | instid1(VALU_DEP_1)
	v_cndmask_b32_e64 v43, 0, v43, s3
	v_cmp_nlt_f32_e64 s3, 0x42b17218, v41
	v_cndmask_b32_e64 v41, 0x7f800000, v43, s3
	s_delay_alu instid0(VALU_DEP_1)
	v_cvt_f16_f32_e32 v43, v41
	ds_store_b16 v34, v43
	s_and_saveexec_b32 s3, vcc_lo
	s_cbranch_execz .LBB30_15
; %bb.14:                               ;   in Loop: Header=BB30_11 Depth=1
	v_lshl_add_u64 v[44:45], v[10:11], 2, s[24:25]
	global_load_b128 v[44:47], v[44:45], off offset:128
	s_wait_loadcnt 0x0
	ds_store_b128 v35, v[44:47]
.LBB30_15:                              ;   in Loop: Header=BB30_11 Depth=1
	s_or_b32 exec_lo, exec_lo, s3
	v_lshl_add_u64 v[44:45], v[14:15], 2, s[24:25]
	v_lshl_add_u64 v[46:47], v[12:13], 2, s[24:25]
	v_add_nc_u32_e32 v66, 0x800, v21
	v_add_nc_u32_e32 v67, 0xc00, v21
	s_delay_alu instid0(VALU_DEP_4) | instskip(NEXT) | instid1(VALU_DEP_4)
	v_add_nc_u64_e32 v[52:53], v[44:45], v[4:5]
	v_add_nc_u64_e32 v[54:55], v[46:47], v[4:5]
	s_clause 0x1
	global_load_b128 v[44:47], v[52:53], off
	global_load_b128 v[48:51], v[54:55], off
	s_wait_xcnt 0x1
	v_sub_f32_e32 v52, v42, v16
	s_wait_loadcnt 0x1
	ds_store_b128 v37, v[44:47]
	s_wait_loadcnt 0x0
	ds_store_b128 v36, v[48:51]
	v_mul_f32_e32 v42, 0x3fb8aa3b, v52
	s_wait_dscnt 0x0
	s_barrier_signal -1
	s_barrier_wait -1
	s_delay_alu instid0(VALU_DEP_1) | instskip(SKIP_1) | instid1(VALU_DEP_1)
	v_fma_f32 v43, 0x3fb8aa3b, v52, -v42
	v_rndne_f32_e32 v53, v42
	v_dual_sub_f32 v42, v42, v53 :: v_dual_fmac_f32 v43, 0x32a5705f, v52
	v_cmp_ngt_f32_e64 s3, 0xc2ce8ed0, v52
	v_cvt_i32_f32_e32 v53, v53
	s_delay_alu instid0(VALU_DEP_3) | instskip(NEXT) | instid1(VALU_DEP_1)
	v_add_f32_e32 v42, v42, v43
	v_exp_f32_e32 v54, v42
	ds_load_b128 v[42:45], v31
	v_nop
	v_ldexp_f32 v46, v54, v53
	s_delay_alu instid0(VALU_DEP_1) | instskip(SKIP_2) | instid1(VALU_DEP_1)
	v_cndmask_b32_e64 v50, 0, v46, s3
	ds_load_2addr_b64 v[46:49], v21 offset1:18
	v_cmp_nlt_f32_e64 s3, 0x42b17218, v52
	v_cndmask_b32_e64 v70, 0x7f800000, v50, s3
	ds_load_b128 v[50:53], v31 offset:16
	s_wait_dscnt 0x2
	v_and_b32_e32 v58, 0xffff, v42
	v_lshrrev_b32_e32 v42, 16, v42
	v_and_b32_e32 v63, 0xffff, v43
	v_cvt_f16_f32_e32 v54, v70
	v_lshrrev_b32_e32 v43, 16, v43
	v_mul_u32_u24_e32 v58, 0x10001, v58
	v_mul_u32_u24_e32 v42, 0x10001, v42
	v_fmac_f32_e32 v41, v38, v70
	v_and_b32_e32 v59, 0xffff, v54
	ds_load_2addr_b64 v[54:57], v21 offset0:36 offset1:54
	v_mul_u32_u24_e32 v43, 0x10001, v43
	s_wait_dscnt 0x2
	v_pk_mul_f16 v46, v46, v58
	v_mul_u32_u24_e32 v62, 0x10001, v59
	v_pk_mul_f16 v47, v47, v58
	ds_load_2addr_b64 v[58:61], v21 offset0:72 offset1:90
	v_pk_fma_f16 v40, v40, v62, v46
	v_pk_fma_f16 v39, v39, v62, v47
	v_mul_u32_u24_e32 v62, 0x10001, v63
	s_wait_dscnt 0x2
	v_and_b32_e32 v63, 0xffff, v51
	v_lshrrev_b32_e32 v51, 16, v51
	v_pk_fma_f16 v40, v48, v42, v40
	v_pk_fma_f16 v39, v49, v42, v39
	ds_load_2addr_b64 v[46:49], v21 offset0:108 offset1:126
	v_and_b32_e32 v42, 0xffff, v44
	v_lshrrev_b32_e32 v44, 16, v44
	v_mul_u32_u24_e32 v63, 0x10001, v63
	s_wait_dscnt 0x2
	v_pk_fma_f16 v40, v54, v62, v40
	v_pk_fma_f16 v39, v55, v62, v39
	v_mul_u32_u24_e32 v42, 0x10001, v42
	v_add_nc_u32_e32 v62, 0x400, v21
	v_mul_u32_u24_e32 v51, 0x10001, v51
	v_pk_fma_f16 v40, v56, v43, v40
	v_pk_fma_f16 v39, v57, v43, v39
	ds_load_2addr_b64 v[54:57], v21 offset0:144 offset1:162
	v_and_b32_e32 v43, 0xffff, v45
	s_wait_dscnt 0x2
	v_pk_fma_f16 v40, v58, v42, v40
	v_pk_fma_f16 v39, v59, v42, v39
	v_lshrrev_b32_e32 v58, 16, v45
	v_mul_u32_u24_e32 v44, 0x10001, v44
	v_mul_u32_u24_e32 v59, 0x10001, v43
	s_delay_alu instid0(VALU_DEP_3) | instskip(NEXT) | instid1(VALU_DEP_3)
	v_mul_u32_u24_e32 v58, 0x10001, v58
	v_pk_fma_f16 v40, v60, v44, v40
	v_pk_fma_f16 v39, v61, v44, v39
	ds_load_2addr_b64 v[42:45], v21 offset0:180 offset1:198
	v_and_b32_e32 v60, 0xffff, v50
	v_lshrrev_b32_e32 v50, 16, v50
	s_wait_dscnt 0x2
	v_pk_fma_f16 v40, v46, v59, v40
	v_pk_fma_f16 v39, v47, v59, v39
	v_mul_u32_u24_e32 v59, 0x10001, v60
	v_mul_u32_u24_e32 v50, 0x10001, v50
	s_delay_alu instid0(VALU_DEP_4) | instskip(NEXT) | instid1(VALU_DEP_4)
	v_pk_fma_f16 v40, v48, v58, v40
	v_pk_fma_f16 v39, v49, v58, v39
	ds_load_2addr_b64 v[46:49], v21 offset0:216 offset1:234
	s_wait_dscnt 0x2
	v_pk_fma_f16 v40, v54, v59, v40
	v_pk_fma_f16 v39, v55, v59, v39
	ds_load_b128 v[58:61], v31 offset:32
	v_pk_fma_f16 v40, v56, v50, v40
	v_pk_fma_f16 v39, v57, v50, v39
	ds_load_2addr_b64 v[54:57], v62 offset0:124 offset1:142
	v_and_b32_e32 v50, 0xffff, v52
	v_lshrrev_b32_e32 v52, 16, v52
	s_wait_dscnt 0x3
	v_pk_fma_f16 v40, v42, v63, v40
	v_pk_fma_f16 v39, v43, v63, v39
	ds_load_b128 v[62:65], v31 offset:48
	v_mul_u32_u24_e32 v50, 0x10001, v50
	v_pk_fma_f16 v40, v44, v51, v40
	v_pk_fma_f16 v39, v45, v51, v39
	ds_load_2addr_b64 v[42:45], v66 offset0:32 offset1:50
	v_and_b32_e32 v51, 0xffff, v53
	s_wait_dscnt 0x4
	v_pk_fma_f16 v40, v46, v50, v40
	v_pk_fma_f16 v39, v47, v50, v39
	v_lshrrev_b32_e32 v50, 16, v53
	v_mul_u32_u24_e32 v52, 0x10001, v52
	v_mul_u32_u24_e32 v51, 0x10001, v51
	s_wait_dscnt 0x3
	v_and_b32_e32 v71, 0xffff, v61
	v_mul_u32_u24_e32 v50, 0x10001, v50
	v_pk_fma_f16 v40, v48, v52, v40
	v_pk_fma_f16 v39, v49, v52, v39
	ds_load_2addr_b64 v[46:49], v66 offset0:68 offset1:86
	v_and_b32_e32 v52, 0xffff, v58
	s_wait_dscnt 0x3
	v_pk_fma_f16 v40, v54, v51, v40
	v_pk_fma_f16 v39, v55, v51, v39
	v_lshrrev_b32_e32 v54, 16, v58
	v_mul_u32_u24_e32 v55, 0x10001, v52
	v_add_nc_u32_e32 v58, 0x1000, v21
	v_pk_fma_f16 v40, v56, v50, v40
	v_pk_fma_f16 v39, v57, v50, v39
	ds_load_2addr_b64 v[50:53], v66 offset0:104 offset1:122
	v_and_b32_e32 v56, 0xffff, v59
	s_wait_dscnt 0x2
	v_pk_fma_f16 v40, v42, v55, v40
	v_pk_fma_f16 v39, v43, v55, v39
	v_lshrrev_b32_e32 v55, 16, v59
	v_mul_u32_u24_e32 v54, 0x10001, v54
	v_mul_u32_u24_e32 v56, 0x10001, v56
	v_and_b32_e32 v59, 0xffff, v60
	v_lshrrev_b32_e32 v60, 16, v60
	v_mul_u32_u24_e32 v68, 0x10001, v55
	v_pk_fma_f16 v40, v44, v54, v40
	v_pk_fma_f16 v39, v45, v54, v39
	ds_load_2addr_b64 v[42:45], v66 offset0:140 offset1:158
	v_mul_u32_u24_e32 v59, 0x10001, v59
	s_wait_dscnt 0x2
	v_pk_fma_f16 v40, v46, v56, v40
	v_pk_fma_f16 v39, v47, v56, v39
	ds_load_2addr_b64 v[54:57], v66 offset0:176 offset1:194
	v_pk_fma_f16 v40, v48, v68, v40
	v_pk_fma_f16 v39, v49, v68, v39
	ds_load_2addr_b64 v[46:49], v66 offset0:212 offset1:230
	ds_load_2addr_b64 v[66:69], v67 offset0:120 offset1:138
	s_wait_dscnt 0x4
	v_pk_fma_f16 v40, v50, v59, v40
	v_pk_fma_f16 v39, v51, v59, v39
	v_lshrrev_b32_e32 v59, 16, v61
	v_mul_u32_u24_e32 v60, 0x10001, v60
	v_mul_u32_u24_e32 v61, 0x10001, v71
	s_delay_alu instid0(VALU_DEP_3) | instskip(NEXT) | instid1(VALU_DEP_3)
	v_mul_u32_u24_e32 v59, 0x10001, v59
	v_pk_fma_f16 v40, v52, v60, v40
	v_pk_fma_f16 v39, v53, v60, v39
	ds_load_2addr_b64 v[50:53], v58 offset0:28 offset1:46
	v_and_b32_e32 v58, 0xffff, v62
	s_wait_dscnt 0x0
	v_pk_fma_f16 v40, v42, v61, v40
	v_pk_fma_f16 v39, v43, v61, v39
	v_lshrrev_b32_e32 v42, 16, v62
	v_mul_u32_u24_e32 v43, 0x10001, v58
	s_barrier_signal -1
	v_pk_fma_f16 v40, v44, v59, v40
	v_pk_fma_f16 v39, v45, v59, v39
	v_and_b32_e32 v44, 0xffff, v63
	s_barrier_wait -1
	s_delay_alu instid0(VALU_DEP_3) | instskip(NEXT) | instid1(VALU_DEP_3)
	v_pk_fma_f16 v40, v54, v43, v40
	v_pk_fma_f16 v39, v55, v43, v39
	v_lshrrev_b32_e32 v43, 16, v63
	v_mul_u32_u24_e32 v42, 0x10001, v42
	v_mul_u32_u24_e32 v44, 0x10001, v44
	s_load_b32 s3, s[20:21], 0x4
	s_delay_alu instid0(VALU_DEP_3) | instskip(NEXT) | instid1(VALU_DEP_3)
	v_mul_u32_u24_e32 v43, 0x10001, v43
	v_pk_fma_f16 v40, v56, v42, v40
	v_pk_fma_f16 v39, v57, v42, v39
	v_and_b32_e32 v42, 0xffff, v64
	s_delay_alu instid0(VALU_DEP_3) | instskip(NEXT) | instid1(VALU_DEP_3)
	v_pk_fma_f16 v40, v46, v44, v40
	v_pk_fma_f16 v39, v47, v44, v39
	v_lshrrev_b32_e32 v44, 16, v64
	s_delay_alu instid0(VALU_DEP_4) | instskip(NEXT) | instid1(VALU_DEP_4)
	v_mul_u32_u24_e32 v42, 0x10001, v42
	v_pk_fma_f16 v40, v48, v43, v40
	s_delay_alu instid0(VALU_DEP_4) | instskip(SKIP_1) | instid1(VALU_DEP_3)
	v_pk_fma_f16 v39, v49, v43, v39
	v_and_b32_e32 v43, 0xffff, v65
	v_pk_fma_f16 v40, v66, v42, v40
	s_delay_alu instid0(VALU_DEP_3)
	v_pk_fma_f16 v39, v67, v42, v39
	v_lshrrev_b32_e32 v42, 16, v65
	v_mul_u32_u24_e32 v44, 0x10001, v44
	v_mul_u32_u24_e32 v43, 0x10001, v43
	s_wait_kmcnt 0x0
	s_lshl_b32 s3, s3, 5
	v_mul_u32_u24_e32 v42, 0x10001, v42
	v_pk_fma_f16 v40, v68, v44, v40
	v_pk_fma_f16 v39, v69, v44, v39
	s_add_co_i32 s4, s3, s4
	s_delay_alu instid0(SALU_CYCLE_1) | instskip(NEXT) | instid1(VALU_DEP_2)
	s_cmp_ge_i32 s4, s30
	v_pk_fma_f16 v40, v50, v43, v40
	s_delay_alu instid0(VALU_DEP_2) | instskip(NEXT) | instid1(VALU_DEP_2)
	v_pk_fma_f16 v39, v51, v43, v39
	v_pk_fma_f16 v40, v52, v42, v40
	s_delay_alu instid0(VALU_DEP_2)
	v_pk_fma_f16 v39, v53, v42, v39
	s_cbranch_scc1 .LBB30_17
; %bb.16:                               ;   in Loop: Header=BB30_11 Depth=1
	v_dual_mov_b32 v42, v16 :: v_dual_mov_b32 v38, v41
	s_branch .LBB30_11
.LBB30_17:
	v_mov_b32_e32 v2, v1
.LBB30_18:
	v_cmp_lt_i32_e32 vcc_lo, v27, v22
	s_cmp_lg_u64 s[12:13], 0
	s_cselect_b32 s3, -1, 0
	s_cmp_eq_u32 s38, 0
	v_cndmask_b32_e32 v1, v2, v27, vcc_lo
	v_cmp_lt_i32_e32 vcc_lo, v26, v22
	s_cselect_b32 s4, -1, 0
	s_delay_alu instid0(SALU_CYCLE_1) | instskip(NEXT) | instid1(VALU_DEP_2)
	s_and_b32 s3, s4, s3
	v_dual_cndmask_b32 v3, v2, v26, vcc_lo :: v_dual_lshlrev_b32 v1, 2, v1
	v_cmp_lt_i32_e32 vcc_lo, v25, v22
	s_delay_alu instid0(VALU_DEP_2) | instskip(SKIP_4) | instid1(VALU_DEP_2)
	v_lshlrev_b32_e32 v3, 2, v3
	ds_bpermute_b32 v1, v1, v41
	v_cndmask_b32_e32 v4, v2, v25, vcc_lo
	v_cmp_lt_i32_e32 vcc_lo, v24, v22
	s_wait_dscnt 0x0
	v_dual_add_f32 v1, v41, v1 :: v_dual_lshlrev_b32 v4, 2, v4
	ds_bpermute_b32 v3, v3, v1
	s_wait_dscnt 0x0
	v_add_f32_e32 v1, v1, v3
	ds_bpermute_b32 v3, v4, v1
	v_cndmask_b32_e32 v4, v2, v24, vcc_lo
	v_cmp_lt_i32_e32 vcc_lo, v23, v22
	v_cndmask_b32_e32 v2, v2, v23, vcc_lo
	s_and_b32 vcc_lo, exec_lo, s3
	s_wait_dscnt 0x0
	v_dual_add_f32 v1, v1, v3 :: v_dual_lshlrev_b32 v4, 2, v4
	ds_bpermute_b32 v3, v4, v1
	s_wait_dscnt 0x0
	v_dual_add_f32 v1, v1, v3 :: v_dual_lshlrev_b32 v2, 2, v2
	ds_bpermute_b32 v3, v2, v1
	s_wait_dscnt 0x0
	v_dual_add_f32 v17, v1, v3 :: v_dual_add_nc_u32 v2, s33, v0
	s_cbranch_vccz .LBB30_20
; %bb.19:
	global_load_b32 v1, v2, s[12:13] scale_offset
	s_wait_loadcnt 0x0
	v_dual_max_num_f32 v0, v16, v16 :: v_dual_max_num_f32 v3, v1, v1
	s_delay_alu instid0(VALU_DEP_1) | instskip(NEXT) | instid1(VALU_DEP_1)
	v_max_num_f32_e32 v0, v0, v3
	v_sub_f32_e32 v1, v1, v0
	s_delay_alu instid0(VALU_DEP_1) | instskip(NEXT) | instid1(VALU_DEP_1)
	v_mul_f32_e32 v7, 0x3fb8aa3b, v1
	v_fma_f32 v8, 0x3fb8aa3b, v1, -v7
	v_sub_f32_e32 v3, v16, v0
	v_rndne_f32_e32 v9, v7
	s_delay_alu instid0(VALU_DEP_3) | instskip(NEXT) | instid1(VALU_DEP_3)
	v_fmac_f32_e32 v8, 0x32a5705f, v1
	v_mul_f32_e32 v4, 0x3fb8aa3b, v3
	v_cmp_ngt_f32_e32 vcc_lo, 0xc2ce8ed0, v3
	s_delay_alu instid0(VALU_DEP_2) | instskip(SKIP_1) | instid1(VALU_DEP_1)
	v_fma_f32 v5, 0x3fb8aa3b, v3, -v4
	v_rndne_f32_e32 v6, v4
	v_dual_fmac_f32 v5, 0x32a5705f, v3 :: v_dual_sub_f32 v4, v4, v6
	v_cvt_i32_f32_e32 v6, v6
	s_delay_alu instid0(VALU_DEP_2) | instskip(SKIP_1) | instid1(VALU_DEP_1)
	v_add_f32_e32 v4, v4, v5
	v_sub_f32_e32 v5, v7, v9
	v_add_f32_e32 v5, v5, v8
	s_delay_alu instid0(VALU_DEP_3) | instskip(NEXT) | instid1(VALU_DEP_1)
	v_exp_f32_e32 v4, v4
	v_exp_f32_e32 v5, v5
	s_delay_alu instid0(TRANS32_DEP_2) | instskip(SKIP_1) | instid1(VALU_DEP_2)
	v_ldexp_f32 v4, v4, v6
	v_cvt_i32_f32_e32 v6, v9
	v_cndmask_b32_e32 v4, 0, v4, vcc_lo
	v_cmp_nlt_f32_e32 vcc_lo, 0x42b17218, v3
	s_delay_alu instid0(VALU_DEP_2)
	v_cndmask_b32_e32 v3, 0x7f800000, v4, vcc_lo
	s_delay_alu instid0(TRANS32_DEP_1) | instid1(VALU_DEP_4)
	v_ldexp_f32 v4, v5, v6
	v_cmp_ngt_f32_e32 vcc_lo, 0xc2ce8ed0, v1
	s_delay_alu instid0(VALU_DEP_3) | instskip(NEXT) | instid1(VALU_DEP_3)
	v_cvt_f16_f32_e32 v5, v3
	v_cndmask_b32_e32 v4, 0, v4, vcc_lo
	v_cmp_nlt_f32_e32 vcc_lo, 0x42b17218, v1
	s_delay_alu instid0(VALU_DEP_3) | instskip(NEXT) | instid1(VALU_DEP_3)
	v_and_b32_e32 v5, 0xffff, v5
	v_cndmask_b32_e32 v1, 0x7f800000, v4, vcc_lo
	s_delay_alu instid0(VALU_DEP_2) | instskip(NEXT) | instid1(VALU_DEP_2)
	v_mul_u32_u24_e32 v4, 0x10001, v5
	v_fmac_f32_e32 v1, v17, v3
	s_delay_alu instid0(VALU_DEP_2) | instskip(SKIP_1) | instid1(VALU_DEP_3)
	v_pk_mul_f16 v40, v40, v4
	v_pk_mul_f16 v39, v39, v4
	v_mov_b64_e32 v[16:17], v[0:1]
	s_branch .LBB30_21
.LBB30_20:
	s_delay_alu instid0(VALU_DEP_1)
	v_mov_b32_e32 v1, v17
.LBB30_21:
	s_load_b32 s0, s[0:1], 0xd4
	s_wait_xcnt 0x0
	s_mul_i32 s1, s28, s22
	s_delay_alu instid0(SALU_CYCLE_1) | instskip(NEXT) | instid1(VALU_DEP_1)
	v_add3_u32 v0, s1, s31, v19
	v_mad_u32 v0, v0, s23, v2
	s_wait_kmcnt 0x0
	s_delay_alu instid0(VALU_DEP_1)
	v_mad_u32 v0, s0, v0, s38
	s_cmp_lg_u32 s0, 1
	s_cselect_b32 s0, -1, 0
	s_and_saveexec_b32 s1, s2
	s_cbranch_execz .LBB30_23
; %bb.22:
	v_div_scale_f32 v2, null, v1, v1, 1.0
	v_div_scale_f32 v5, vcc_lo, 1.0, v1, 1.0
	v_lshrrev_b32_e32 v7, 16, v39
	s_delay_alu instid0(VALU_DEP_3) | instskip(NEXT) | instid1(VALU_DEP_1)
	v_rcp_f32_e32 v3, v2
	v_cvt_f32_f16_e32 v7, v7
	s_delay_alu instid0(TRANS32_DEP_1) | instskip(NEXT) | instid1(VALU_DEP_1)
	v_fma_f32 v4, -v2, v3, 1.0
	v_fmac_f32_e32 v3, v4, v3
	s_delay_alu instid0(VALU_DEP_1) | instskip(NEXT) | instid1(VALU_DEP_1)
	v_mul_f32_e32 v4, v5, v3
	v_fma_f32 v6, -v2, v4, v5
	s_delay_alu instid0(VALU_DEP_1) | instskip(SKIP_1) | instid1(VALU_DEP_2)
	v_fmac_f32_e32 v4, v6, v3
	v_cvt_f32_f16_e32 v6, v39
	v_fma_f32 v2, -v2, v4, v5
	v_lshrrev_b32_e32 v5, 16, v40
	s_delay_alu instid0(VALU_DEP_2) | instskip(SKIP_2) | instid1(VALU_DEP_4)
	v_div_fmas_f32 v4, v2, v3, v4
	v_mad_u32 v2, 0x48, v0, v20
	v_mov_b32_e32 v3, 0
	v_cvt_f32_f16_e32 v5, v5
	s_delay_alu instid0(VALU_DEP_4) | instskip(SKIP_1) | instid1(VALU_DEP_2)
	v_div_fixup_f32 v1, v4, v1, 1.0
	v_cvt_f32_f16_e32 v4, v40
	v_cndmask_b32_e64 v8, v1, 1.0, s0
	v_lshl_add_u64 v[10:11], v[2:3], 2, s[16:17]
	s_delay_alu instid0(VALU_DEP_2)
	v_pk_mul_f32 v[2:3], v[8:9], v[4:5] op_sel_hi:[0,1]
	v_pk_mul_f32 v[4:5], v[8:9], v[6:7] op_sel_hi:[0,1]
	global_store_b128 v[10:11], v[2:5], off
.LBB30_23:
	s_wait_xcnt 0x0
	s_or_b32 exec_lo, exec_lo, s1
	v_cmp_eq_u32_e32 vcc_lo, 0, v18
	s_and_b32 s0, vcc_lo, s0
	s_delay_alu instid0(SALU_CYCLE_1)
	s_and_saveexec_b32 s1, s0
	s_cbranch_execz .LBB30_25
; %bb.24:
	global_store_b64 v0, v[16:17], s[18:19] scale_offset
.LBB30_25:
	s_sendmsg sendmsg(MSG_DEALLOC_VGPRS)
	s_endpgm
	.section	.rodata,"a",@progbits
	.p2align	6, 0x0
	.amdhsa_kernel _ZL15flash_attn_tileILi72ELi72ELi1ELi4ELb0EEvPKcS1_S1_S1_S1_PKiPfP15HIP_vector_typeIfLj2EEffffjfiS5_IjLj3EEiiiiiiiiiiiliiliiiiil
		.amdhsa_group_segment_fixed_size 6176
		.amdhsa_private_segment_fixed_size 0
		.amdhsa_kernarg_size 464
		.amdhsa_user_sgpr_count 2
		.amdhsa_user_sgpr_dispatch_ptr 0
		.amdhsa_user_sgpr_queue_ptr 0
		.amdhsa_user_sgpr_kernarg_segment_ptr 1
		.amdhsa_user_sgpr_dispatch_id 0
		.amdhsa_user_sgpr_kernarg_preload_length 0
		.amdhsa_user_sgpr_kernarg_preload_offset 0
		.amdhsa_user_sgpr_private_segment_size 0
		.amdhsa_wavefront_size32 1
		.amdhsa_uses_dynamic_stack 0
		.amdhsa_enable_private_segment 0
		.amdhsa_system_sgpr_workgroup_id_x 1
		.amdhsa_system_sgpr_workgroup_id_y 1
		.amdhsa_system_sgpr_workgroup_id_z 1
		.amdhsa_system_sgpr_workgroup_info 0
		.amdhsa_system_vgpr_workitem_id 1
		.amdhsa_next_free_vgpr 72
		.amdhsa_next_free_sgpr 46
		.amdhsa_named_barrier_count 0
		.amdhsa_reserve_vcc 1
		.amdhsa_float_round_mode_32 0
		.amdhsa_float_round_mode_16_64 0
		.amdhsa_float_denorm_mode_32 3
		.amdhsa_float_denorm_mode_16_64 3
		.amdhsa_fp16_overflow 0
		.amdhsa_memory_ordered 1
		.amdhsa_forward_progress 1
		.amdhsa_inst_pref_size 39
		.amdhsa_round_robin_scheduling 0
		.amdhsa_exception_fp_ieee_invalid_op 0
		.amdhsa_exception_fp_denorm_src 0
		.amdhsa_exception_fp_ieee_div_zero 0
		.amdhsa_exception_fp_ieee_overflow 0
		.amdhsa_exception_fp_ieee_underflow 0
		.amdhsa_exception_fp_ieee_inexact 0
		.amdhsa_exception_int_div_zero 0
	.end_amdhsa_kernel
	.section	.text._ZL15flash_attn_tileILi72ELi72ELi1ELi4ELb0EEvPKcS1_S1_S1_S1_PKiPfP15HIP_vector_typeIfLj2EEffffjfiS5_IjLj3EEiiiiiiiiiiiliiliiiiil,"axG",@progbits,_ZL15flash_attn_tileILi72ELi72ELi1ELi4ELb0EEvPKcS1_S1_S1_S1_PKiPfP15HIP_vector_typeIfLj2EEffffjfiS5_IjLj3EEiiiiiiiiiiiliiliiiiil,comdat
.Lfunc_end30:
	.size	_ZL15flash_attn_tileILi72ELi72ELi1ELi4ELb0EEvPKcS1_S1_S1_S1_PKiPfP15HIP_vector_typeIfLj2EEffffjfiS5_IjLj3EEiiiiiiiiiiiliiliiiiil, .Lfunc_end30-_ZL15flash_attn_tileILi72ELi72ELi1ELi4ELb0EEvPKcS1_S1_S1_S1_PKiPfP15HIP_vector_typeIfLj2EEffffjfiS5_IjLj3EEiiiiiiiiiiiliiliiiiil
                                        ; -- End function
	.set _ZL15flash_attn_tileILi72ELi72ELi1ELi4ELb0EEvPKcS1_S1_S1_S1_PKiPfP15HIP_vector_typeIfLj2EEffffjfiS5_IjLj3EEiiiiiiiiiiiliiliiiiil.num_vgpr, 72
	.set _ZL15flash_attn_tileILi72ELi72ELi1ELi4ELb0EEvPKcS1_S1_S1_S1_PKiPfP15HIP_vector_typeIfLj2EEffffjfiS5_IjLj3EEiiiiiiiiiiiliiliiiiil.num_agpr, 0
	.set _ZL15flash_attn_tileILi72ELi72ELi1ELi4ELb0EEvPKcS1_S1_S1_S1_PKiPfP15HIP_vector_typeIfLj2EEffffjfiS5_IjLj3EEiiiiiiiiiiiliiliiiiil.numbered_sgpr, 46
	.set _ZL15flash_attn_tileILi72ELi72ELi1ELi4ELb0EEvPKcS1_S1_S1_S1_PKiPfP15HIP_vector_typeIfLj2EEffffjfiS5_IjLj3EEiiiiiiiiiiiliiliiiiil.num_named_barrier, 0
	.set _ZL15flash_attn_tileILi72ELi72ELi1ELi4ELb0EEvPKcS1_S1_S1_S1_PKiPfP15HIP_vector_typeIfLj2EEffffjfiS5_IjLj3EEiiiiiiiiiiiliiliiiiil.private_seg_size, 0
	.set _ZL15flash_attn_tileILi72ELi72ELi1ELi4ELb0EEvPKcS1_S1_S1_S1_PKiPfP15HIP_vector_typeIfLj2EEffffjfiS5_IjLj3EEiiiiiiiiiiiliiliiiiil.uses_vcc, 1
	.set _ZL15flash_attn_tileILi72ELi72ELi1ELi4ELb0EEvPKcS1_S1_S1_S1_PKiPfP15HIP_vector_typeIfLj2EEffffjfiS5_IjLj3EEiiiiiiiiiiiliiliiiiil.uses_flat_scratch, 0
	.set _ZL15flash_attn_tileILi72ELi72ELi1ELi4ELb0EEvPKcS1_S1_S1_S1_PKiPfP15HIP_vector_typeIfLj2EEffffjfiS5_IjLj3EEiiiiiiiiiiiliiliiiiil.has_dyn_sized_stack, 0
	.set _ZL15flash_attn_tileILi72ELi72ELi1ELi4ELb0EEvPKcS1_S1_S1_S1_PKiPfP15HIP_vector_typeIfLj2EEffffjfiS5_IjLj3EEiiiiiiiiiiiliiliiiiil.has_recursion, 0
	.set _ZL15flash_attn_tileILi72ELi72ELi1ELi4ELb0EEvPKcS1_S1_S1_S1_PKiPfP15HIP_vector_typeIfLj2EEffffjfiS5_IjLj3EEiiiiiiiiiiiliiliiiiil.has_indirect_call, 0
	.section	.AMDGPU.csdata,"",@progbits
; Kernel info:
; codeLenInByte = 4928
; TotalNumSgprs: 48
; NumVgprs: 72
; ScratchSize: 0
; MemoryBound: 0
; FloatMode: 240
; IeeeMode: 1
; LDSByteSize: 6176 bytes/workgroup (compile time only)
; SGPRBlocks: 0
; VGPRBlocks: 4
; NumSGPRsForWavesPerEU: 48
; NumVGPRsForWavesPerEU: 72
; NamedBarCnt: 0
; Occupancy: 12
; WaveLimiterHint : 1
; COMPUTE_PGM_RSRC2:SCRATCH_EN: 0
; COMPUTE_PGM_RSRC2:USER_SGPR: 2
; COMPUTE_PGM_RSRC2:TRAP_HANDLER: 0
; COMPUTE_PGM_RSRC2:TGID_X_EN: 1
; COMPUTE_PGM_RSRC2:TGID_Y_EN: 1
; COMPUTE_PGM_RSRC2:TGID_Z_EN: 1
; COMPUTE_PGM_RSRC2:TIDIG_COMP_CNT: 1
	.section	.text._ZL33flash_attn_stream_k_fixup_uniformILi72ELi1ELi4EEvPfPK15HIP_vector_typeIfLj2EEiiiiiiS1_IjLj3EES5_S5_,"axG",@progbits,_ZL33flash_attn_stream_k_fixup_uniformILi72ELi1ELi4EEvPfPK15HIP_vector_typeIfLj2EEiiiiiiS1_IjLj3EES5_S5_,comdat
	.globl	_ZL33flash_attn_stream_k_fixup_uniformILi72ELi1ELi4EEvPfPK15HIP_vector_typeIfLj2EEiiiiiiS1_IjLj3EES5_S5_ ; -- Begin function _ZL33flash_attn_stream_k_fixup_uniformILi72ELi1ELi4EEvPfPK15HIP_vector_typeIfLj2EEiiiiiiS1_IjLj3EES5_S5_
	.p2align	8
	.type	_ZL33flash_attn_stream_k_fixup_uniformILi72ELi1ELi4EEvPfPK15HIP_vector_typeIfLj2EEiiiiiiS1_IjLj3EES5_S5_,@function
_ZL33flash_attn_stream_k_fixup_uniformILi72ELi1ELi4EEvPfPK15HIP_vector_typeIfLj2EEiiiiiiS1_IjLj3EES5_S5_: ; @_ZL33flash_attn_stream_k_fixup_uniformILi72ELi1ELi4EEvPfPK15HIP_vector_typeIfLj2EEiiiiiiS1_IjLj3EES5_S5_
; %bb.0:
	s_load_b256 s[4:11], s[0:1], 0x1c
	s_bfe_u32 s2, ttmp6, 0x40014
	s_lshr_b32 s3, ttmp7, 16
	s_add_co_i32 s2, s2, 1
	s_bfe_u32 s13, ttmp6, 0x40010
	s_mul_i32 s2, s3, s2
	s_bfe_u32 s12, ttmp6, 0x40008
	s_and_b32 s15, ttmp7, 0xffff
	s_add_co_i32 s13, s13, 1
	s_bfe_u32 s14, ttmp6, 0x4000c
	s_add_co_i32 s12, s12, s2
	s_mul_i32 s2, s15, s13
	s_bfe_u32 s13, ttmp6, 0x40004
	s_add_co_i32 s14, s14, 1
	s_add_co_i32 s13, s13, s2
	s_and_b32 s2, ttmp6, 15
	s_mul_i32 s14, ttmp9, s14
	s_getreg_b32 s20, hwreg(HW_REG_IB_STS2, 6, 4)
	s_add_co_i32 s2, s2, s14
	s_load_b128 s[16:19], s[0:1], 0x3c
	s_cmp_eq_u32 s20, 0
	s_cselect_b32 s14, ttmp9, s2
	s_cselect_b32 s13, s15, s13
	s_wait_kmcnt 0x0
	s_mul_hi_u32 s2, s7, s14
	s_cselect_b32 s12, s3, s12
	s_add_co_i32 s2, s14, s2
	s_delay_alu instid0(SALU_CYCLE_1) | instskip(NEXT) | instid1(SALU_CYCLE_1)
	s_lshr_b32 s7, s2, s8
	s_mul_i32 s2, s7, s9
	s_delay_alu instid0(SALU_CYCLE_1) | instskip(SKIP_2) | instid1(SALU_CYCLE_1)
	s_sub_co_i32 s8, s14, s2
	s_load_b64 s[2:3], s[0:1], 0x10
	s_mul_hi_u32 s9, s8, s10
	s_add_co_i32 s9, s8, s9
	s_delay_alu instid0(SALU_CYCLE_1) | instskip(NEXT) | instid1(SALU_CYCLE_1)
	s_lshr_b32 s15, s9, s11
	s_mul_i32 s9, s15, s16
	s_delay_alu instid0(SALU_CYCLE_1) | instskip(NEXT) | instid1(SALU_CYCLE_1)
	s_sub_co_i32 s8, s8, s9
	s_mul_hi_u32 s9, s8, s17
	s_delay_alu instid0(SALU_CYCLE_1) | instskip(NEXT) | instid1(SALU_CYCLE_1)
	s_add_co_i32 s9, s8, s9
	s_lshr_b32 s9, s9, s18
	s_delay_alu instid0(SALU_CYCLE_1) | instskip(SKIP_2) | instid1(SALU_CYCLE_1)
	s_mul_i32 s10, s9, s19
	s_lshl_b32 s17, s9, 2
	s_sub_co_i32 s16, s8, s10
	s_add_co_i32 s16, s16, s13
	s_wait_kmcnt 0x0
	s_cmp_lt_i32 s16, s2
	s_cselect_b32 s8, -1, 0
	s_add_co_i32 s17, s17, s12
	s_delay_alu instid0(SALU_CYCLE_1) | instskip(SKIP_1) | instid1(SALU_CYCLE_1)
	s_cmp_lt_i32 s17, s5
	s_cselect_b32 s9, -1, 0
	s_and_b32 s8, s8, s9
	s_delay_alu instid0(SALU_CYCLE_1)
	s_and_not1_b32 vcc_lo, exec_lo, s8
	s_cbranch_vccnz .LBB31_6
; %bb.1:
	s_load_b128 s[8:11], s[0:1], 0x0
	s_mul_i32 s7, s7, s2
	s_mul_i32 s15, s15, s5
	s_wait_xcnt 0x0
	s_add_co_i32 s0, s16, s7
	s_add_co_i32 s1, s17, s15
	s_mul_i32 s0, s0, s3
	s_mul_i32 s7, s6, s14
	s_add_co_i32 s1, s1, s0
	s_add_co_i32 s5, s7, s6
	v_mad_u32 v4, 0x48, s1, v0
	s_add_co_i32 s0, s13, s5
	s_add_co_i32 s2, s5, -2
	s_lshl_b32 s0, s0, 2
	s_delay_alu instid0(SALU_CYCLE_1) | instskip(NEXT) | instid1(SALU_CYCLE_1)
	s_add_co_i32 s0, s0, s12
	s_add_co_i32 s0, s0, -4
	s_delay_alu instid0(SALU_CYCLE_1) | instskip(NEXT) | instid1(SALU_CYCLE_1)
	s_ashr_i32 s1, s0, 31
	s_lshl_b64 s[0:1], s[0:1], 3
	s_wait_kmcnt 0x0
	global_load_b32 v3, v4, s[8:9] scale_offset
	s_add_nc_u64 s[0:1], s[10:11], s[0:1]
	v_ashrrev_i32_e32 v5, 31, v4
	s_load_b32 s15, s[0:1], 0x4
	s_cmp_lt_i32 s2, s7
	s_cbranch_scc1 .LBB31_4
; %bb.2:
	s_wait_xcnt 0x0
	s_load_b32 s0, s[0:1], 0x0
	s_add_co_i32 s14, s14, 1
	s_lshl_b32 s2, s4, 4
	s_wait_xcnt 0x0
	s_mul_i32 s1, s6, s14
	s_mul_i32 s6, s13, 0x120
	s_mul_i32 s14, s12, 0x48
	s_add_co_i32 s4, s13, s4
	s_mulk_i32 s1, 0x120
	s_add_co_i32 s6, s14, s6
	s_add_co_i32 s4, s4, s5
	;; [unrolled: 1-line block ×3, first 2 shown]
	s_ashr_i32 s3, s2, 31
	s_lshl_b32 s1, s4, 2
	v_add3_u32 v0, s6, v0, 0xfffffdc0
	s_wait_kmcnt 0x0
	v_mov_b32_e32 v2, s15
	s_lshl_b64 s[2:3], s[2:3], 2
	s_add_co_i32 s4, s12, s1
	s_add_nc_u64 s[2:3], s[10:11], s[2:3]
	s_add_co_i32 s1, s5, -1
	s_add_co_i32 s4, s4, -8
.LBB31_3:                               ; =>This Inner Loop Header: Depth=1
	global_load_b32 v7, v0, s[2:3] scale_offset
	s_ashr_i32 s5, s4, 31
	v_max_num_f32_e64 v1, s0, s0
	s_lshl_b64 s[12:13], s[4:5], 3
	s_delay_alu instid0(SALU_CYCLE_1) | instskip(SKIP_1) | instid1(VALU_DEP_1)
	s_add_nc_u64 s[12:13], s[10:11], s[12:13]
	s_load_b64 s[12:13], s[12:13], 0x0
	v_readfirstlane_b32 s5, v1
	v_add_nc_u32_e32 v0, 0xfffffee0, v0
	s_wait_kmcnt 0x0
	v_max_num_f32_e64 v1, s12, s12
	s_delay_alu instid0(VALU_DEP_1) | instskip(SKIP_1) | instid1(SALU_CYCLE_3)
	v_readfirstlane_b32 s6, v1
	s_max_num_f32 s5, s5, s6
	s_sub_f32 s0, s0, s5
	s_sub_f32 s6, s12, s5
	s_delay_alu instid0(SALU_CYCLE_2) | instskip(NEXT) | instid1(SALU_CYCLE_2)
	s_mul_f32 s12, s0, 0x3fb8aa3b
	s_mul_f32 s14, s6, 0x3fb8aa3b
	s_delay_alu instid0(SALU_CYCLE_2)
	s_xor_b32 s15, s12, 0x80000000
	s_rndne_f32 s16, s12
	s_fmamk_f32 s15, s0, 0x3fb8aa3b, s15
	s_cmp_nlt_f32 s0, 0xc2ce8ed0
	s_rndne_f32 s17, s14
	s_sub_f32 s12, s12, s16
	s_fmamk_f32 s15, s0, 0x32a5705f, s15
	s_cselect_b32 vcc_lo, -1, 0
	s_cmp_ngt_f32 s0, 0x42b17218
	s_delay_alu instid0(SALU_CYCLE_1) | instskip(SKIP_2) | instid1(SALU_CYCLE_1)
	s_add_f32 s12, s12, s15
	s_cvt_i32_f32 s15, s16
	s_sub_f32 s16, s14, s17
	v_s_exp_f32 s12, s12
	v_nop
	s_delay_alu instid0(TRANS32_DEP_1) | instskip(SKIP_1) | instid1(VALU_DEP_1)
	v_ldexp_f32 v1, s12, s15
	s_cvt_i32_f32 s12, s17
	v_cndmask_b32_e32 v1, 0, v1, vcc_lo
	s_cselect_b32 vcc_lo, -1, 0
	s_cmp_ge_f32 s0, 0xc1a00000
	s_delay_alu instid0(VALU_DEP_1)
	v_cndmask_b32_e32 v1, 0x7f800000, v1, vcc_lo
	s_cselect_b32 vcc_lo, -1, 0
	s_xor_b32 s0, s14, 0x80000000
	s_cmp_nlt_f32 s6, 0xc2ce8ed0
	s_fmamk_f32 s0, s6, 0x3fb8aa3b, s0
	v_cndmask_b32_e32 v10, 0, v1, vcc_lo
	s_delay_alu instid0(SALU_CYCLE_2) | instskip(NEXT) | instid1(SALU_CYCLE_3)
	s_fmamk_f32 s0, s6, 0x32a5705f, s0
	s_add_f32 s0, s16, s0
	s_delay_alu instid0(SALU_CYCLE_3) | instskip(SKIP_1) | instid1(TRANS32_DEP_1)
	v_s_exp_f32 s0, s0
	v_nop
	v_ldexp_f32 v6, s0, s12
	s_cselect_b32 s0, -1, 0
	s_cmp_ngt_f32 s6, 0x42b17218
	s_delay_alu instid0(VALU_DEP_1) | instskip(SKIP_2) | instid1(VALU_DEP_1)
	v_cndmask_b32_e64 v6, 0, v6, s0
	s_cselect_b32 s0, -1, 0
	s_cmp_ge_f32 s6, 0xc1a00000
	v_cndmask_b32_e64 v8, 0x7f800000, v6, s0
	s_cselect_b32 s0, -1, 0
	v_mov_b32_e32 v6, s13
	s_add_co_i32 s1, s1, -1
	s_add_co_i32 s4, s4, -4
	v_cndmask_b32_e64 v8, 0, v8, s0
	s_cmp_le_i32 s1, s7
	s_mov_b32 s0, s5
	s_wait_loadcnt 0x0
	s_delay_alu instid0(VALU_DEP_1) | instskip(NEXT) | instid1(VALU_DEP_1)
	v_pk_mul_f32 v[6:7], v[6:7], v[8:9] op_sel_hi:[1,0]
	v_pk_fma_f32 v[2:3], v[2:3], v[10:11], v[6:7] op_sel_hi:[1,0,1]
	s_cbranch_scc0 .LBB31_3
	s_branch .LBB31_5
.LBB31_4:
	s_wait_kmcnt 0x0
	v_mov_b32_e32 v2, s15
.LBB31_5:
	v_lshl_add_u64 v[0:1], v[4:5], 2, s[8:9]
	s_wait_loadcnt 0x0
	s_delay_alu instid0(VALU_DEP_2) | instskip(NEXT) | instid1(VALU_DEP_1)
	v_div_scale_f32 v4, null, v2, v2, v3
	v_rcp_f32_e32 v5, v4
	v_nop
	s_delay_alu instid0(TRANS32_DEP_1) | instskip(NEXT) | instid1(VALU_DEP_1)
	v_fma_f32 v6, -v4, v5, 1.0
	v_fmac_f32_e32 v5, v6, v5
	v_div_scale_f32 v6, vcc_lo, v3, v2, v3
	s_delay_alu instid0(VALU_DEP_1) | instskip(NEXT) | instid1(VALU_DEP_1)
	v_mul_f32_e32 v7, v6, v5
	v_fma_f32 v8, -v4, v7, v6
	s_delay_alu instid0(VALU_DEP_1) | instskip(NEXT) | instid1(VALU_DEP_1)
	v_fmac_f32_e32 v7, v8, v5
	v_fma_f32 v4, -v4, v7, v6
	s_delay_alu instid0(VALU_DEP_1) | instskip(NEXT) | instid1(VALU_DEP_1)
	v_div_fmas_f32 v4, v4, v5, v7
	v_div_fixup_f32 v2, v4, v2, v3
	global_store_b32 v[0:1], v2, off
.LBB31_6:
	s_endpgm
	.section	.rodata,"a",@progbits
	.p2align	6, 0x0
	.amdhsa_kernel _ZL33flash_attn_stream_k_fixup_uniformILi72ELi1ELi4EEvPfPK15HIP_vector_typeIfLj2EEiiiiiiS1_IjLj3EES5_S5_
		.amdhsa_group_segment_fixed_size 0
		.amdhsa_private_segment_fixed_size 0
		.amdhsa_kernarg_size 76
		.amdhsa_user_sgpr_count 2
		.amdhsa_user_sgpr_dispatch_ptr 0
		.amdhsa_user_sgpr_queue_ptr 0
		.amdhsa_user_sgpr_kernarg_segment_ptr 1
		.amdhsa_user_sgpr_dispatch_id 0
		.amdhsa_user_sgpr_kernarg_preload_length 0
		.amdhsa_user_sgpr_kernarg_preload_offset 0
		.amdhsa_user_sgpr_private_segment_size 0
		.amdhsa_wavefront_size32 1
		.amdhsa_uses_dynamic_stack 0
		.amdhsa_enable_private_segment 0
		.amdhsa_system_sgpr_workgroup_id_x 1
		.amdhsa_system_sgpr_workgroup_id_y 1
		.amdhsa_system_sgpr_workgroup_id_z 1
		.amdhsa_system_sgpr_workgroup_info 0
		.amdhsa_system_vgpr_workitem_id 0
		.amdhsa_next_free_vgpr 12
		.amdhsa_next_free_sgpr 21
		.amdhsa_named_barrier_count 0
		.amdhsa_reserve_vcc 1
		.amdhsa_float_round_mode_32 0
		.amdhsa_float_round_mode_16_64 0
		.amdhsa_float_denorm_mode_32 3
		.amdhsa_float_denorm_mode_16_64 3
		.amdhsa_fp16_overflow 0
		.amdhsa_memory_ordered 1
		.amdhsa_forward_progress 1
		.amdhsa_inst_pref_size 9
		.amdhsa_round_robin_scheduling 0
		.amdhsa_exception_fp_ieee_invalid_op 0
		.amdhsa_exception_fp_denorm_src 0
		.amdhsa_exception_fp_ieee_div_zero 0
		.amdhsa_exception_fp_ieee_overflow 0
		.amdhsa_exception_fp_ieee_underflow 0
		.amdhsa_exception_fp_ieee_inexact 0
		.amdhsa_exception_int_div_zero 0
	.end_amdhsa_kernel
	.section	.text._ZL33flash_attn_stream_k_fixup_uniformILi72ELi1ELi4EEvPfPK15HIP_vector_typeIfLj2EEiiiiiiS1_IjLj3EES5_S5_,"axG",@progbits,_ZL33flash_attn_stream_k_fixup_uniformILi72ELi1ELi4EEvPfPK15HIP_vector_typeIfLj2EEiiiiiiS1_IjLj3EES5_S5_,comdat
.Lfunc_end31:
	.size	_ZL33flash_attn_stream_k_fixup_uniformILi72ELi1ELi4EEvPfPK15HIP_vector_typeIfLj2EEiiiiiiS1_IjLj3EES5_S5_, .Lfunc_end31-_ZL33flash_attn_stream_k_fixup_uniformILi72ELi1ELi4EEvPfPK15HIP_vector_typeIfLj2EEiiiiiiS1_IjLj3EES5_S5_
                                        ; -- End function
	.set _ZL33flash_attn_stream_k_fixup_uniformILi72ELi1ELi4EEvPfPK15HIP_vector_typeIfLj2EEiiiiiiS1_IjLj3EES5_S5_.num_vgpr, 12
	.set _ZL33flash_attn_stream_k_fixup_uniformILi72ELi1ELi4EEvPfPK15HIP_vector_typeIfLj2EEiiiiiiS1_IjLj3EES5_S5_.num_agpr, 0
	.set _ZL33flash_attn_stream_k_fixup_uniformILi72ELi1ELi4EEvPfPK15HIP_vector_typeIfLj2EEiiiiiiS1_IjLj3EES5_S5_.numbered_sgpr, 21
	.set _ZL33flash_attn_stream_k_fixup_uniformILi72ELi1ELi4EEvPfPK15HIP_vector_typeIfLj2EEiiiiiiS1_IjLj3EES5_S5_.num_named_barrier, 0
	.set _ZL33flash_attn_stream_k_fixup_uniformILi72ELi1ELi4EEvPfPK15HIP_vector_typeIfLj2EEiiiiiiS1_IjLj3EES5_S5_.private_seg_size, 0
	.set _ZL33flash_attn_stream_k_fixup_uniformILi72ELi1ELi4EEvPfPK15HIP_vector_typeIfLj2EEiiiiiiS1_IjLj3EES5_S5_.uses_vcc, 1
	.set _ZL33flash_attn_stream_k_fixup_uniformILi72ELi1ELi4EEvPfPK15HIP_vector_typeIfLj2EEiiiiiiS1_IjLj3EES5_S5_.uses_flat_scratch, 0
	.set _ZL33flash_attn_stream_k_fixup_uniformILi72ELi1ELi4EEvPfPK15HIP_vector_typeIfLj2EEiiiiiiS1_IjLj3EES5_S5_.has_dyn_sized_stack, 0
	.set _ZL33flash_attn_stream_k_fixup_uniformILi72ELi1ELi4EEvPfPK15HIP_vector_typeIfLj2EEiiiiiiS1_IjLj3EES5_S5_.has_recursion, 0
	.set _ZL33flash_attn_stream_k_fixup_uniformILi72ELi1ELi4EEvPfPK15HIP_vector_typeIfLj2EEiiiiiiS1_IjLj3EES5_S5_.has_indirect_call, 0
	.section	.AMDGPU.csdata,"",@progbits
; Kernel info:
; codeLenInByte = 1076
; TotalNumSgprs: 23
; NumVgprs: 12
; ScratchSize: 0
; MemoryBound: 0
; FloatMode: 240
; IeeeMode: 1
; LDSByteSize: 0 bytes/workgroup (compile time only)
; SGPRBlocks: 0
; VGPRBlocks: 0
; NumSGPRsForWavesPerEU: 23
; NumVGPRsForWavesPerEU: 12
; NamedBarCnt: 0
; Occupancy: 16
; WaveLimiterHint : 0
; COMPUTE_PGM_RSRC2:SCRATCH_EN: 0
; COMPUTE_PGM_RSRC2:USER_SGPR: 2
; COMPUTE_PGM_RSRC2:TRAP_HANDLER: 0
; COMPUTE_PGM_RSRC2:TGID_X_EN: 1
; COMPUTE_PGM_RSRC2:TGID_Y_EN: 1
; COMPUTE_PGM_RSRC2:TGID_Z_EN: 1
; COMPUTE_PGM_RSRC2:TIDIG_COMP_CNT: 0
	.section	.text._ZL33flash_attn_stream_k_fixup_generalILi72ELi1ELi4EEvPfPK15HIP_vector_typeIfLj2EEiiiiS1_IjLj3EES5_S5_S5_,"axG",@progbits,_ZL33flash_attn_stream_k_fixup_generalILi72ELi1ELi4EEvPfPK15HIP_vector_typeIfLj2EEiiiiS1_IjLj3EES5_S5_S5_,comdat
	.globl	_ZL33flash_attn_stream_k_fixup_generalILi72ELi1ELi4EEvPfPK15HIP_vector_typeIfLj2EEiiiiS1_IjLj3EES5_S5_S5_ ; -- Begin function _ZL33flash_attn_stream_k_fixup_generalILi72ELi1ELi4EEvPfPK15HIP_vector_typeIfLj2EEiiiiS1_IjLj3EES5_S5_S5_
	.p2align	8
	.type	_ZL33flash_attn_stream_k_fixup_generalILi72ELi1ELi4EEvPfPK15HIP_vector_typeIfLj2EEiiiiS1_IjLj3EES5_S5_S5_,@function
_ZL33flash_attn_stream_k_fixup_generalILi72ELi1ELi4EEvPfPK15HIP_vector_typeIfLj2EEiiiiS1_IjLj3EES5_S5_S5_: ; @_ZL33flash_attn_stream_k_fixup_generalILi72ELi1ELi4EEvPfPK15HIP_vector_typeIfLj2EEiiiiS1_IjLj3EES5_S5_S5_
; %bb.0:
	s_clause 0x1
	s_load_b128 s[4:7], s[0:1], 0x10
	s_load_b32 s16, s[0:1], 0x50
	s_bfe_u32 s2, ttmp6, 0x4000c
	s_and_b32 s3, ttmp6, 15
	s_add_co_i32 s2, s2, 1
	s_getreg_b32 s15, hwreg(HW_REG_IB_STS2, 6, 4)
	s_mul_i32 s2, ttmp9, s2
	s_mov_b32 s17, 0
	s_add_co_i32 s3, s3, s2
	s_cmp_eq_u32 s15, 0
	s_cselect_b32 s2, ttmp9, s3
	s_delay_alu instid0(SALU_CYCLE_1) | instskip(SKIP_3) | instid1(SALU_CYCLE_1)
	s_ashr_i32 s3, s2, 31
	s_wait_kmcnt 0x0
	s_ashr_i32 s19, s7, 31
	s_mov_b32 s18, s7
	s_mul_u64 s[8:9], s[18:19], s[2:3]
	s_delay_alu instid0(SALU_CYCLE_1) | instskip(NEXT) | instid1(SALU_CYCLE_1)
	s_and_b64 s[10:11], s[8:9], 0xffffffff00000000
	s_cmp_lg_u64 s[10:11], 0
	s_cbranch_scc0 .LBB32_21
; %bb.1:
	s_add_nc_u64 s[10:11], s[16:17], 0
	s_mov_b32 s23, s17
	s_xor_b64 s[10:11], s[10:11], 0
	s_mov_b32 s27, s17
	s_cvt_f32_u32 s3, s10
	s_cvt_f32_u32 s7, s11
	s_sub_nc_u64 s[20:21], 0, s[10:11]
	s_delay_alu instid0(SALU_CYCLE_2) | instskip(NEXT) | instid1(SALU_CYCLE_3)
	s_fmamk_f32 s3, s7, 0x4f800000, s3
	v_s_rcp_f32 s3, s3
	s_delay_alu instid0(TRANS32_DEP_1) | instskip(NEXT) | instid1(SALU_CYCLE_3)
	s_mul_f32 s3, s3, 0x5f7ffffc
	s_mul_f32 s7, s3, 0x2f800000
	s_delay_alu instid0(SALU_CYCLE_3) | instskip(NEXT) | instid1(SALU_CYCLE_3)
	s_trunc_f32 s7, s7
	s_fmamk_f32 s3, s7, 0xcf800000, s3
	s_cvt_u32_f32 s13, s7
	s_delay_alu instid0(SALU_CYCLE_2) | instskip(NEXT) | instid1(SALU_CYCLE_3)
	s_cvt_u32_f32 s12, s3
	s_mul_u64 s[24:25], s[20:21], s[12:13]
	s_delay_alu instid0(SALU_CYCLE_1)
	s_mul_hi_u32 s29, s12, s25
	s_mul_i32 s28, s12, s25
	s_mul_hi_u32 s22, s12, s24
	s_mul_i32 s7, s13, s24
	s_add_nc_u64 s[22:23], s[22:23], s[28:29]
	s_mul_hi_u32 s3, s13, s24
	s_mul_hi_u32 s14, s13, s25
	s_add_co_u32 s7, s22, s7
	s_add_co_ci_u32 s26, s23, s3
	s_mul_i32 s24, s13, s25
	s_add_co_ci_u32 s25, s14, 0
	s_delay_alu instid0(SALU_CYCLE_1) | instskip(SKIP_3) | instid1(SALU_CYCLE_1)
	s_add_nc_u64 s[22:23], s[26:27], s[24:25]
	s_mov_b32 s25, s17
	s_add_co_u32 s12, s12, s22
	s_cselect_b32 s3, -1, 0
	s_cmp_lg_u32 s3, 0
	s_add_co_ci_u32 s13, s13, s23
	s_mov_b32 s23, s17
	s_mul_u64 s[20:21], s[20:21], s[12:13]
	s_delay_alu instid0(SALU_CYCLE_1)
	s_mul_hi_u32 s27, s12, s21
	s_mul_i32 s26, s12, s21
	s_mul_hi_u32 s22, s12, s20
	s_mul_i32 s7, s13, s20
	s_add_nc_u64 s[22:23], s[22:23], s[26:27]
	s_mul_hi_u32 s3, s13, s20
	s_mul_hi_u32 s14, s13, s21
	s_add_co_u32 s7, s22, s7
	s_add_co_ci_u32 s24, s23, s3
	s_mul_i32 s20, s13, s21
	s_add_co_ci_u32 s21, s14, 0
	s_mov_b32 s23, s17
	s_add_nc_u64 s[20:21], s[24:25], s[20:21]
	s_delay_alu instid0(SALU_CYCLE_1) | instskip(SKIP_1) | instid1(SALU_CYCLE_1)
	s_add_co_u32 s3, s12, s20
	s_cselect_b32 s7, -1, 0
	s_cmp_lg_u32 s7, 0
	s_add_co_ci_u32 s7, s13, s21
	s_ashr_i32 s12, s9, 31
	s_delay_alu instid0(SALU_CYCLE_1) | instskip(NEXT) | instid1(SALU_CYCLE_1)
	s_mov_b32 s13, s12
	s_add_nc_u64 s[20:21], s[8:9], s[12:13]
	s_delay_alu instid0(SALU_CYCLE_1) | instskip(NEXT) | instid1(SALU_CYCLE_1)
	s_xor_b64 s[20:21], s[20:21], s[12:13]
	s_mul_hi_u32 s27, s20, s7
	s_mul_i32 s26, s20, s7
	s_mul_hi_u32 s22, s20, s3
	s_mul_hi_u32 s14, s21, s3
	s_mul_i32 s3, s21, s3
	s_add_nc_u64 s[22:23], s[22:23], s[26:27]
	s_mul_hi_u32 s9, s21, s7
	s_add_co_u32 s3, s22, s3
	s_add_co_ci_u32 s24, s23, s14
	s_mul_i32 s26, s21, s7
	s_add_co_ci_u32 s27, s9, 0
	s_delay_alu instid0(SALU_CYCLE_1) | instskip(NEXT) | instid1(SALU_CYCLE_1)
	s_add_nc_u64 s[22:23], s[24:25], s[26:27]
	s_and_b64 s[24:25], s[22:23], 0xffffffff00000000
	s_delay_alu instid0(SALU_CYCLE_1) | instskip(NEXT) | instid1(SALU_CYCLE_1)
	s_or_b32 s24, s24, s22
	s_mul_u64 s[22:23], s[10:11], s[24:25]
	s_add_nc_u64 s[26:27], s[24:25], 1
	s_sub_co_u32 s3, s20, s22
	s_cselect_b32 s7, -1, 0
	s_sub_co_i32 s9, s21, s23
	s_cmp_lg_u32 s7, 0
	s_add_nc_u64 s[28:29], s[24:25], 2
	s_sub_co_ci_u32 s9, s9, s11
	s_sub_co_u32 s14, s3, s10
	s_cselect_b32 s20, -1, 0
	s_delay_alu instid0(SALU_CYCLE_1) | instskip(SKIP_1) | instid1(SALU_CYCLE_1)
	s_cmp_lg_u32 s20, 0
	s_sub_co_ci_u32 s9, s9, 0
	s_cmp_ge_u32 s9, s11
	s_cselect_b32 s20, -1, 0
	s_cmp_ge_u32 s14, s10
	s_cselect_b32 s14, -1, 0
	s_cmp_eq_u32 s9, s11
	s_cselect_b32 s9, s14, s20
	s_delay_alu instid0(SALU_CYCLE_1) | instskip(SKIP_4) | instid1(SALU_CYCLE_1)
	s_cmp_lg_u32 s9, 0
	s_cselect_b32 s9, s28, s26
	s_cselect_b32 s14, s29, s27
	s_cmp_lg_u32 s7, 0
	s_sub_co_ci_u32 s7, s21, s23
	s_cmp_ge_u32 s7, s11
	s_cselect_b32 s20, -1, 0
	s_cmp_ge_u32 s3, s10
	s_cselect_b32 s3, -1, 0
	s_cmp_eq_u32 s7, s11
	s_cselect_b32 s3, s3, s20
	s_delay_alu instid0(SALU_CYCLE_1) | instskip(SKIP_4) | instid1(SALU_CYCLE_1)
	s_cmp_lg_u32 s3, 0
	s_mov_b32 s3, s17
	s_cselect_b32 s11, s14, s25
	s_cselect_b32 s10, s9, s24
	s_xor_b64 s[12:13], s[12:13], 0
	s_xor_b64 s[10:11], s[10:11], s[12:13]
	s_delay_alu instid0(SALU_CYCLE_1)
	s_sub_nc_u64 s[20:21], s[10:11], s[12:13]
	s_and_not1_b32 vcc_lo, exec_lo, s3
	s_cbranch_vccnz .LBB32_3
.LBB32_2:
	v_cvt_f32_u32_e32 v1, s16
	s_sub_co_i32 s7, 0, s16
	s_mov_b32 s21, 0
	s_delay_alu instid0(VALU_DEP_1) | instskip(SKIP_1) | instid1(TRANS32_DEP_1)
	v_rcp_iflag_f32_e32 v1, v1
	v_nop
	v_mul_f32_e32 v1, 0x4f7ffffe, v1
	s_delay_alu instid0(VALU_DEP_1) | instskip(NEXT) | instid1(VALU_DEP_1)
	v_cvt_u32_f32_e32 v1, v1
	v_readfirstlane_b32 s3, v1
	s_mul_i32 s7, s7, s3
	s_delay_alu instid0(SALU_CYCLE_1) | instskip(NEXT) | instid1(SALU_CYCLE_1)
	s_mul_hi_u32 s7, s3, s7
	s_add_co_i32 s3, s3, s7
	s_delay_alu instid0(SALU_CYCLE_1) | instskip(NEXT) | instid1(SALU_CYCLE_1)
	s_mul_hi_u32 s3, s8, s3
	s_mul_i32 s7, s3, s16
	s_delay_alu instid0(SALU_CYCLE_1)
	s_sub_co_i32 s7, s8, s7
	s_add_co_i32 s8, s3, 1
	s_sub_co_i32 s9, s7, s16
	s_cmp_ge_u32 s7, s16
	s_cselect_b32 s3, s8, s3
	s_cselect_b32 s7, s9, s7
	s_add_co_i32 s8, s3, 1
	s_cmp_ge_u32 s7, s16
	s_cselect_b32 s20, s8, s3
.LBB32_3:
	s_add_co_i32 s8, s2, 1
	s_delay_alu instid0(SALU_CYCLE_1) | instskip(NEXT) | instid1(SALU_CYCLE_1)
	s_ashr_i32 s9, s8, 31
	s_mul_u64 s[8:9], s[18:19], s[8:9]
	s_delay_alu instid0(SALU_CYCLE_1) | instskip(NEXT) | instid1(SALU_CYCLE_1)
	s_and_b64 s[10:11], s[8:9], 0xffffffff00000000
	s_cmp_lg_u64 s[10:11], 0
	s_cbranch_scc0 .LBB32_22
; %bb.4:
	s_add_nc_u64 s[10:11], s[16:17], 0
	s_delay_alu instid0(SALU_CYCLE_1) | instskip(SKIP_4) | instid1(SALU_CYCLE_2)
	s_xor_b64 s[12:13], s[10:11], 0
	s_mov_b32 s11, 0
	s_cvt_f32_u32 s3, s12
	s_cvt_f32_u32 s7, s13
	s_sub_nc_u64 s[24:25], 0, s[12:13]
	s_fmamk_f32 s3, s7, 0x4f800000, s3
	s_delay_alu instid0(SALU_CYCLE_3) | instskip(NEXT) | instid1(TRANS32_DEP_1)
	v_s_rcp_f32 s3, s3
	s_mul_f32 s3, s3, 0x5f7ffffc
	s_delay_alu instid0(SALU_CYCLE_3) | instskip(NEXT) | instid1(SALU_CYCLE_3)
	s_mul_f32 s7, s3, 0x2f800000
	s_trunc_f32 s7, s7
	s_delay_alu instid0(SALU_CYCLE_3) | instskip(SKIP_1) | instid1(SALU_CYCLE_2)
	s_fmamk_f32 s3, s7, 0xcf800000, s3
	s_cvt_u32_f32 s23, s7
	s_cvt_u32_f32 s22, s3
	s_delay_alu instid0(SALU_CYCLE_3) | instskip(NEXT) | instid1(SALU_CYCLE_1)
	s_mul_u64 s[26:27], s[24:25], s[22:23]
	s_mul_hi_u32 s29, s22, s27
	s_mul_i32 s28, s22, s27
	s_mul_hi_u32 s10, s22, s26
	s_mul_i32 s7, s23, s26
	s_add_nc_u64 s[28:29], s[10:11], s[28:29]
	s_mul_hi_u32 s3, s23, s26
	s_mul_hi_u32 s14, s23, s27
	s_add_co_u32 s7, s28, s7
	s_add_co_ci_u32 s10, s29, s3
	s_mul_i32 s26, s23, s27
	s_add_co_ci_u32 s27, s14, 0
	s_delay_alu instid0(SALU_CYCLE_1) | instskip(NEXT) | instid1(SALU_CYCLE_1)
	s_add_nc_u64 s[26:27], s[10:11], s[26:27]
	s_add_co_u32 s22, s22, s26
	s_cselect_b32 s3, -1, 0
	s_delay_alu instid0(SALU_CYCLE_1) | instskip(SKIP_1) | instid1(SALU_CYCLE_1)
	s_cmp_lg_u32 s3, 0
	s_add_co_ci_u32 s23, s23, s27
	s_mul_u64 s[24:25], s[24:25], s[22:23]
	s_delay_alu instid0(SALU_CYCLE_1)
	s_mul_hi_u32 s27, s22, s25
	s_mul_i32 s26, s22, s25
	s_mul_hi_u32 s10, s22, s24
	s_mul_i32 s7, s23, s24
	s_add_nc_u64 s[26:27], s[10:11], s[26:27]
	s_mul_hi_u32 s3, s23, s24
	s_mul_hi_u32 s14, s23, s25
	s_add_co_u32 s7, s26, s7
	s_add_co_ci_u32 s10, s27, s3
	s_mul_i32 s24, s23, s25
	s_add_co_ci_u32 s25, s14, 0
	s_delay_alu instid0(SALU_CYCLE_1) | instskip(NEXT) | instid1(SALU_CYCLE_1)
	s_add_nc_u64 s[24:25], s[10:11], s[24:25]
	s_add_co_u32 s3, s22, s24
	s_cselect_b32 s7, -1, 0
	s_delay_alu instid0(SALU_CYCLE_1) | instskip(SKIP_2) | instid1(SALU_CYCLE_1)
	s_cmp_lg_u32 s7, 0
	s_add_co_ci_u32 s7, s23, s25
	s_ashr_i32 s22, s9, 31
	s_mov_b32 s23, s22
	s_delay_alu instid0(SALU_CYCLE_1) | instskip(NEXT) | instid1(SALU_CYCLE_1)
	s_add_nc_u64 s[24:25], s[8:9], s[22:23]
	s_xor_b64 s[24:25], s[24:25], s[22:23]
	s_delay_alu instid0(SALU_CYCLE_1)
	s_mul_hi_u32 s27, s24, s7
	s_mul_i32 s26, s24, s7
	s_mul_hi_u32 s10, s24, s3
	s_mul_hi_u32 s14, s25, s3
	s_mul_i32 s3, s25, s3
	s_add_nc_u64 s[26:27], s[10:11], s[26:27]
	s_mul_hi_u32 s9, s25, s7
	s_add_co_u32 s3, s26, s3
	s_add_co_ci_u32 s10, s27, s14
	s_mul_i32 s28, s25, s7
	s_add_co_ci_u32 s29, s9, 0
	s_delay_alu instid0(SALU_CYCLE_1) | instskip(NEXT) | instid1(SALU_CYCLE_1)
	s_add_nc_u64 s[26:27], s[10:11], s[28:29]
	s_and_b64 s[28:29], s[26:27], 0xffffffff00000000
	s_delay_alu instid0(SALU_CYCLE_1) | instskip(NEXT) | instid1(SALU_CYCLE_1)
	s_or_b32 s28, s28, s26
	s_mul_u64 s[26:27], s[12:13], s[28:29]
	s_add_nc_u64 s[30:31], s[28:29], 1
	s_sub_co_u32 s3, s24, s26
	s_cselect_b32 s7, -1, 0
	s_sub_co_i32 s9, s25, s27
	s_cmp_lg_u32 s7, 0
	s_add_nc_u64 s[34:35], s[28:29], 2
	s_sub_co_ci_u32 s9, s9, s13
	s_sub_co_u32 s10, s3, s12
	s_cselect_b32 s14, -1, 0
	s_delay_alu instid0(SALU_CYCLE_1) | instskip(SKIP_1) | instid1(SALU_CYCLE_1)
	s_cmp_lg_u32 s14, 0
	s_sub_co_ci_u32 s9, s9, 0
	s_cmp_ge_u32 s9, s13
	s_cselect_b32 s14, -1, 0
	s_cmp_ge_u32 s10, s12
	s_cselect_b32 s10, -1, 0
	s_cmp_eq_u32 s9, s13
	s_cselect_b32 s9, s10, s14
	s_delay_alu instid0(SALU_CYCLE_1) | instskip(SKIP_4) | instid1(SALU_CYCLE_1)
	s_cmp_lg_u32 s9, 0
	s_cselect_b32 s9, s34, s30
	s_cselect_b32 s10, s35, s31
	s_cmp_lg_u32 s7, 0
	s_sub_co_ci_u32 s7, s25, s27
	s_cmp_ge_u32 s7, s13
	s_cselect_b32 s14, -1, 0
	s_cmp_ge_u32 s3, s12
	s_cselect_b32 s3, -1, 0
	s_cmp_eq_u32 s7, s13
	s_cselect_b32 s3, s3, s14
	s_delay_alu instid0(SALU_CYCLE_1) | instskip(SKIP_3) | instid1(SALU_CYCLE_1)
	s_cmp_lg_u32 s3, 0
	s_cselect_b32 s13, s10, s29
	s_cselect_b32 s12, s9, s28
	s_xor_b64 s[22:23], s[22:23], 0
	s_xor_b64 s[12:13], s[12:13], s[22:23]
	s_delay_alu instid0(SALU_CYCLE_1)
	s_sub_nc_u64 s[24:25], s[12:13], s[22:23]
	s_load_b96 s[12:14], s[0:1], 0x44
	s_cbranch_execnz .LBB32_6
.LBB32_5:
	v_cvt_f32_u32_e32 v1, s16
	s_sub_co_i32 s7, 0, s16
	s_delay_alu instid0(VALU_DEP_1) | instskip(SKIP_1) | instid1(TRANS32_DEP_1)
	v_rcp_iflag_f32_e32 v1, v1
	v_nop
	v_mul_f32_e32 v1, 0x4f7ffffe, v1
	s_delay_alu instid0(VALU_DEP_1) | instskip(NEXT) | instid1(VALU_DEP_1)
	v_cvt_u32_f32_e32 v1, v1
	v_readfirstlane_b32 s3, v1
	s_mul_i32 s7, s7, s3
	s_delay_alu instid0(SALU_CYCLE_1) | instskip(NEXT) | instid1(SALU_CYCLE_1)
	s_mul_hi_u32 s7, s3, s7
	s_add_co_i32 s3, s3, s7
	s_delay_alu instid0(SALU_CYCLE_1) | instskip(NEXT) | instid1(SALU_CYCLE_1)
	s_mul_hi_u32 s3, s8, s3
	s_mul_i32 s7, s3, s16
	s_delay_alu instid0(SALU_CYCLE_1)
	s_sub_co_i32 s7, s8, s7
	s_add_co_i32 s8, s3, 1
	s_sub_co_i32 s9, s7, s16
	s_cmp_ge_u32 s7, s16
	s_cselect_b32 s3, s8, s3
	s_cselect_b32 s7, s9, s7
	s_add_co_i32 s8, s3, 1
	s_cmp_ge_u32 s7, s16
	s_cselect_b32 s24, s8, s3
.LBB32_6:
	s_delay_alu instid0(SALU_CYCLE_1)
	s_cmp_eq_u32 s20, s24
	s_mov_b64 s[8:9], 0xffffffff
	s_cselect_b32 s3, -1, 0
	s_and_b64 s[8:9], s[20:21], s[8:9]
	s_mov_b32 s23, 0
	s_wait_kmcnt 0x0
	s_mov_b32 s22, s12
	s_mov_b32 s25, s23
	s_mul_u64 s[10:11], s[8:9], s[22:23]
	s_delay_alu instid0(SALU_CYCLE_1) | instskip(SKIP_2) | instid1(SALU_CYCLE_1)
	s_add_co_i32 s7, s11, s20
	s_mul_u64 s[10:11], s[24:25], s[22:23]
	s_lshr_b32 s12, s7, s13
	s_mul_i32 s7, s12, s14
	s_delay_alu instid0(SALU_CYCLE_1) | instskip(SKIP_2) | instid1(SALU_CYCLE_1)
	s_cmp_eq_u32 s7, s20
	s_cselect_b32 s7, -1, 0
	s_add_co_i32 s10, s11, s24
	s_lshr_b32 s10, s10, s13
	s_delay_alu instid0(SALU_CYCLE_1)
	s_cmp_eq_u32 s12, s10
	s_mul_i32 s10, s10, s14
	s_cselect_b32 s11, -1, 0
	s_cmp_lg_u32 s10, s24
	s_cselect_b32 s10, -1, 0
	s_or_b32 s3, s3, s7
	s_and_b32 s10, s11, s10
	s_delay_alu instid0(SALU_CYCLE_1) | instskip(NEXT) | instid1(SALU_CYCLE_1)
	s_or_b32 s3, s3, s10
	s_and_b32 vcc_lo, exec_lo, s3
	s_cbranch_vccnz .LBB32_24
; %bb.7:
	s_load_b256 s[24:31], s[0:1], 0x20
	s_bfe_u32 s3, ttmp6, 0x40014
	s_bfe_u32 s33, ttmp6, 0x40010
	s_lshr_b32 s7, ttmp7, 16
	s_add_co_i32 s3, s3, 1
	s_and_b32 s21, ttmp7, 0xffff
	s_add_co_i32 s33, s33, 1
	s_bfe_u32 s10, ttmp6, 0x40008
	s_mul_i32 s3, s7, s3
	s_bfe_u32 s34, ttmp6, 0x40004
	s_mul_i32 s33, s21, s33
	s_mov_b32 s11, s23
	s_add_co_i32 s35, s10, s3
	s_add_co_i32 s34, s34, s33
	s_cmp_eq_u32 s15, 0
	s_cselect_b32 s3, s21, s34
	s_cselect_b32 s15, s7, s35
	s_wait_kmcnt 0x0
	s_mov_b32 s10, s24
	s_delay_alu instid0(SALU_CYCLE_1) | instskip(SKIP_2) | instid1(SALU_CYCLE_1)
	s_mul_u64 s[8:9], s[8:9], s[10:11]
	s_load_b32 s8, s[0:1], 0x40
	s_add_co_i32 s7, s9, s20
	s_lshr_b32 s7, s7, s25
	s_delay_alu instid0(SALU_CYCLE_1) | instskip(NEXT) | instid1(SALU_CYCLE_1)
	s_mul_i32 s9, s7, s26
	s_sub_co_i32 s9, s20, s9
	s_delay_alu instid0(SALU_CYCLE_1) | instskip(NEXT) | instid1(SALU_CYCLE_1)
	s_mul_hi_u32 s10, s9, s27
	s_add_co_i32 s10, s9, s10
	s_delay_alu instid0(SALU_CYCLE_1) | instskip(NEXT) | instid1(SALU_CYCLE_1)
	s_lshr_b32 s21, s10, s28
	s_mul_i32 s10, s21, s29
	s_delay_alu instid0(SALU_CYCLE_1) | instskip(NEXT) | instid1(SALU_CYCLE_1)
	s_sub_co_i32 s10, s9, s10
	s_mul_hi_u32 s9, s10, s30
	s_delay_alu instid0(SALU_CYCLE_1) | instskip(NEXT) | instid1(SALU_CYCLE_1)
	s_add_co_i32 s9, s10, s9
	s_lshr_b32 s25, s9, s31
	s_mov_b32 s9, s23
	s_wait_kmcnt 0x0
	s_mul_i32 s8, s25, s8
	s_lshl_b32 s25, s25, 2
	s_sub_co_i32 s8, s10, s8
	s_delay_alu instid0(SALU_CYCLE_1) | instskip(NEXT) | instid1(SALU_CYCLE_1)
	s_mul_u64 s[10:11], s[8:9], s[22:23]
	s_add_co_i32 s8, s8, s11
	s_delay_alu instid0(SALU_CYCLE_1) | instskip(NEXT) | instid1(SALU_CYCLE_1)
	s_lshr_b32 s24, s8, s13
	s_add_co_i32 s24, s24, s3
	s_delay_alu instid0(SALU_CYCLE_1) | instskip(SKIP_2) | instid1(SALU_CYCLE_1)
	s_cmp_lt_i32 s24, s4
	s_cselect_b32 s8, -1, 0
	s_add_co_i32 s25, s25, s15
	s_cmp_lt_i32 s25, s6
	s_cselect_b32 s9, -1, 0
	s_delay_alu instid0(SALU_CYCLE_1) | instskip(NEXT) | instid1(SALU_CYCLE_1)
	s_and_b32 s8, s8, s9
	s_and_not1_b32 vcc_lo, exec_lo, s8
	s_cbranch_vccnz .LBB32_24
; %bb.8:
	s_load_b128 s[8:11], s[0:1], 0x0
	s_mul_i32 s7, s7, s4
	s_mul_i32 s21, s21, s6
	s_wait_xcnt 0x0
	s_add_co_i32 s0, s24, s7
	s_add_co_i32 s1, s25, s21
	s_mul_i32 s0, s0, s5
	s_add_co_i32 s4, s3, s2
	s_add_co_i32 s1, s1, s0
	s_lshl_b32 s4, s4, 2
	v_mad_u32 v2, 0x48, s1, v0
	s_add_nc_u64 s[0:1], s[16:17], 0
	v_cvt_f32_u32_e32 v4, s16
	s_xor_b64 s[6:7], s[0:1], 0
	s_add_co_i32 s0, s4, s15
	s_cvt_f32_u32 s4, s6
	s_cvt_f32_u32 s5, s7
	s_ashr_i32 s1, s0, 31
	v_rcp_iflag_f32_e32 v4, v4
	s_lshl_b64 s[0:1], s[0:1], 3
	s_fmamk_f32 s4, s5, 0x4f800000, s4
	s_wait_kmcnt 0x0
	global_load_b32 v1, v2, s[8:9] scale_offset
	s_add_nc_u64 s[0:1], s[10:11], s[0:1]
	s_lshl_b32 s24, s16, 4
	s_load_b64 s[28:29], s[0:1], 0x0
	s_wait_xcnt 0x0
	v_s_rcp_f32 s0, s4
	s_lshl_b32 s1, s3, 2
	s_mov_b32 s25, 0
	s_add_co_i32 s4, s1, s15
	v_dual_mul_f32 v4, 0x4f7ffffe, v4 :: v_dual_ashrrev_i32 v3, 31, v2
	v_mad_u32 v6, 0x48, s4, v0
	s_add_co_i32 s36, s2, -1
	s_delay_alu instid0(TRANS32_DEP_1)
	s_mul_f32 s5, s0, 0x5f7ffffc
	s_lshl_b64 s[0:1], s[24:25], 2
	v_lshl_add_u64 v[2:3], v[2:3], 2, s[8:9]
	s_add_nc_u64 s[26:27], s[10:11], s[0:1]
	s_mul_f32 s17, s5, 0x2f800000
	v_cvt_u32_f32_e32 v7, v4
	s_mov_b64 s[8:9], 0xffffffff
	s_sub_nc_u64 s[34:35], 0, s[6:7]
	s_trunc_f32 s0, s17
	s_add_co_i32 s17, s16, s3
	s_wait_kmcnt 0x0
	v_mov_b32_e32 v0, s29
	s_fmamk_f32 s1, s0, 0xcf800000, s5
	s_cvt_u32_f32 s31, s0
	s_delay_alu instid0(SALU_CYCLE_2)
	s_cvt_u32_f32 s30, s1
.LBB32_9:                               ; =>This Inner Loop Header: Depth=1
	s_ashr_i32 s37, s36, 31
                                        ; implicit-def: $sgpr40_sgpr41
	s_delay_alu instid0(SALU_CYCLE_1) | instskip(NEXT) | instid1(SALU_CYCLE_1)
	s_mul_u64 s[0:1], s[36:37], s[18:19]
	s_and_b64 s[2:3], s[0:1], 0xffffffff00000000
	s_delay_alu instid0(SALU_CYCLE_1)
	s_cmp_lg_u64 s[2:3], 0
	s_mov_b32 s2, -1
	s_cbranch_scc0 .LBB32_11
; %bb.10:                               ;   in Loop: Header=BB32_9 Depth=1
	s_mul_u64 s[2:3], s[34:35], s[30:31]
	s_delay_alu instid0(SALU_CYCLE_1)
	s_mul_hi_u32 s5, s30, s3
	s_mul_i32 s4, s30, s3
	s_mul_hi_u32 s24, s30, s2
	s_mul_hi_u32 s21, s31, s2
	s_add_nc_u64 s[4:5], s[24:25], s[4:5]
	s_mul_i32 s2, s31, s2
	s_mul_hi_u32 s29, s31, s3
	s_add_co_u32 s2, s4, s2
	s_add_co_ci_u32 s24, s5, s21
	s_add_co_ci_u32 s5, s29, 0
	s_mul_i32 s4, s31, s3
	s_delay_alu instid0(SALU_CYCLE_1) | instskip(NEXT) | instid1(SALU_CYCLE_1)
	s_add_nc_u64 s[2:3], s[24:25], s[4:5]
	s_add_co_u32 s2, s30, s2
	s_cselect_b32 s4, -1, 0
	s_delay_alu instid0(SALU_CYCLE_1) | instskip(SKIP_1) | instid1(SALU_CYCLE_1)
	s_cmp_lg_u32 s4, 0
	s_add_co_ci_u32 s3, s31, s3
	s_mul_u64 s[4:5], s[34:35], s[2:3]
	s_delay_alu instid0(SALU_CYCLE_1)
	s_mul_hi_u32 s39, s2, s5
	s_mul_i32 s38, s2, s5
	s_mul_hi_u32 s24, s2, s4
	s_mul_hi_u32 s21, s3, s4
	s_mul_i32 s4, s3, s4
	s_add_nc_u64 s[38:39], s[24:25], s[38:39]
	s_mul_hi_u32 s29, s3, s5
	s_add_co_u32 s4, s38, s4
	s_add_co_ci_u32 s24, s39, s21
	s_mul_i32 s4, s3, s5
	s_add_co_ci_u32 s5, s29, 0
	s_delay_alu instid0(SALU_CYCLE_1) | instskip(NEXT) | instid1(SALU_CYCLE_1)
	s_add_nc_u64 s[4:5], s[24:25], s[4:5]
	s_add_co_u32 s21, s2, s4
	s_cselect_b32 s2, -1, 0
	s_delay_alu instid0(SALU_CYCLE_1) | instskip(SKIP_2) | instid1(SALU_CYCLE_1)
	s_cmp_lg_u32 s2, 0
	s_add_co_ci_u32 s29, s3, s5
	s_ashr_i32 s2, s1, 31
	s_mov_b32 s3, s2
	s_delay_alu instid0(SALU_CYCLE_1) | instskip(NEXT) | instid1(SALU_CYCLE_1)
	s_add_nc_u64 s[4:5], s[0:1], s[2:3]
	s_xor_b64 s[4:5], s[4:5], s[2:3]
	s_delay_alu instid0(SALU_CYCLE_1)
	s_mul_hi_u32 s39, s4, s29
	s_mul_i32 s38, s4, s29
	s_mul_hi_u32 s24, s4, s21
	s_mul_hi_u32 s33, s5, s21
	s_mul_i32 s21, s5, s21
	s_add_nc_u64 s[38:39], s[24:25], s[38:39]
	s_mul_hi_u32 s1, s5, s29
	s_add_co_u32 s21, s38, s21
	s_add_co_ci_u32 s24, s39, s33
	s_mul_i32 s40, s5, s29
	s_add_co_ci_u32 s41, s1, 0
	s_delay_alu instid0(SALU_CYCLE_1) | instskip(NEXT) | instid1(SALU_CYCLE_1)
	s_add_nc_u64 s[38:39], s[24:25], s[40:41]
	s_and_b64 s[40:41], s[38:39], 0xffffffff00000000
	s_delay_alu instid0(SALU_CYCLE_1) | instskip(NEXT) | instid1(SALU_CYCLE_1)
	s_or_b32 s40, s40, s38
	s_mul_u64 s[38:39], s[6:7], s[40:41]
	s_add_nc_u64 s[42:43], s[40:41], 1
	s_sub_co_u32 s1, s4, s38
	s_cselect_b32 s4, -1, 0
	s_sub_co_i32 s21, s5, s39
	s_cmp_lg_u32 s4, 0
	s_add_nc_u64 s[44:45], s[40:41], 2
	s_sub_co_ci_u32 s21, s21, s7
	s_sub_co_u32 s24, s1, s6
	s_cselect_b32 s29, -1, 0
	s_delay_alu instid0(SALU_CYCLE_1) | instskip(SKIP_1) | instid1(SALU_CYCLE_1)
	s_cmp_lg_u32 s29, 0
	s_sub_co_ci_u32 s21, s21, 0
	s_cmp_ge_u32 s21, s7
	s_cselect_b32 s29, -1, 0
	s_cmp_ge_u32 s24, s6
	s_cselect_b32 s24, -1, 0
	s_cmp_eq_u32 s21, s7
	s_cselect_b32 s21, s24, s29
	s_delay_alu instid0(SALU_CYCLE_1) | instskip(SKIP_4) | instid1(SALU_CYCLE_1)
	s_cmp_lg_u32 s21, 0
	s_cselect_b32 s21, s44, s42
	s_cselect_b32 s24, s45, s43
	s_cmp_lg_u32 s4, 0
	s_sub_co_ci_u32 s4, s5, s39
	s_cmp_ge_u32 s4, s7
	s_cselect_b32 s5, -1, 0
	s_cmp_ge_u32 s1, s6
	s_cselect_b32 s1, -1, 0
	s_cmp_eq_u32 s4, s7
	s_cselect_b32 s1, s1, s5
	s_delay_alu instid0(SALU_CYCLE_1) | instskip(SKIP_3) | instid1(SALU_CYCLE_1)
	s_cmp_lg_u32 s1, 0
	s_cselect_b32 s5, s24, s41
	s_cselect_b32 s4, s21, s40
	s_xor_b64 s[2:3], s[2:3], 0
	s_xor_b64 s[4:5], s[4:5], s[2:3]
	s_delay_alu instid0(SALU_CYCLE_1)
	s_sub_nc_u64 s[40:41], s[4:5], s[2:3]
	s_mov_b32 s2, 0
.LBB32_11:                              ;   in Loop: Header=BB32_9 Depth=1
	s_delay_alu instid0(SALU_CYCLE_1)
	s_and_not1_b32 vcc_lo, exec_lo, s2
	s_cbranch_vccnz .LBB32_13
; %bb.12:                               ;   in Loop: Header=BB32_9 Depth=1
	v_readfirstlane_b32 s1, v7
	s_sub_co_i32 s2, 0, s16
	s_delay_alu instid0(SALU_CYCLE_1) | instskip(NEXT) | instid1(SALU_CYCLE_1)
	s_mul_i32 s2, s2, s1
	s_mul_hi_u32 s2, s1, s2
	s_delay_alu instid0(SALU_CYCLE_1) | instskip(NEXT) | instid1(SALU_CYCLE_1)
	s_add_co_i32 s1, s1, s2
	s_mul_hi_u32 s1, s0, s1
	s_delay_alu instid0(SALU_CYCLE_1) | instskip(NEXT) | instid1(SALU_CYCLE_1)
	s_mul_i32 s2, s1, s16
	s_sub_co_i32 s0, s0, s2
	s_add_co_i32 s2, s1, 1
	s_sub_co_i32 s3, s0, s16
	s_cmp_ge_u32 s0, s16
	s_cselect_b32 s1, s2, s1
	s_cselect_b32 s0, s3, s0
	s_add_co_i32 s2, s1, 1
	s_cmp_ge_u32 s0, s16
	s_cselect_b32 s24, s2, s1
	s_delay_alu instid0(SALU_CYCLE_1)
	s_mov_b64 s[40:41], s[24:25]
.LBB32_13:                              ;   in Loop: Header=BB32_9 Depth=1
	s_delay_alu instid0(SALU_CYCLE_1)
	s_cmp_lg_u32 s20, s40
	s_mov_b32 s0, -1
                                        ; implicit-def: $vgpr4_vgpr5
                                        ; implicit-def: $sgpr29
                                        ; implicit-def: $sgpr21
                                        ; implicit-def: $sgpr24
                                        ; implicit-def: $sgpr33
	s_cbranch_scc0 .LBB32_18
; %bb.14:                               ;   in Loop: Header=BB32_9 Depth=1
	s_add_co_i32 s0, s17, s36
	v_max_num_f32_e64 v4, s28, s28
	s_lshl_b32 s0, s0, 2
	s_mov_b32 s33, s20
	s_add_co_i32 s0, s0, s15
	s_load_b64 s[38:39], s[10:11], s0 offset:0x0 scale_offset
	s_wait_xcnt 0x0
	v_readfirstlane_b32 s0, v4
	s_wait_kmcnt 0x0
	v_max_num_f32_e64 v5, s38, s38
	s_delay_alu instid0(VALU_DEP_1) | instskip(SKIP_1) | instid1(SALU_CYCLE_3)
	v_readfirstlane_b32 s1, v5
	s_max_num_f32 s21, s0, s1
	s_sub_f32 s37, s28, s21
	s_sub_f32 s38, s38, s21
	s_delay_alu instid0(SALU_CYCLE_2)
	s_cmp_nlt_f32 s37, 0xc2ce8ed0
	s_cselect_b32 s1, -1, 0
	s_cmp_ngt_f32 s37, 0x42b17218
	s_cselect_b32 s2, -1, 0
	s_cmp_ge_f32 s37, 0xc1a00000
	s_cselect_b32 s0, -1, 0
	s_cmp_nlt_f32 s38, 0xc2ce8ed0
	s_cselect_b32 s3, -1, 0
	s_cmp_ngt_f32 s38, 0x42b17218
	s_cselect_b32 s4, -1, 0
	s_cmp_ge_f32 s38, 0xc1a00000
	s_cselect_b32 s5, -1, 0
	s_and_b64 s[42:43], s[40:41], s[8:9]
	s_delay_alu instid0(SALU_CYCLE_1) | instskip(NEXT) | instid1(SALU_CYCLE_1)
	s_mul_u64 s[42:43], s[42:43], s[22:23]
	s_add_co_i32 s24, s43, s40
	s_delay_alu instid0(SALU_CYCLE_1) | instskip(NEXT) | instid1(SALU_CYCLE_1)
	s_lshr_b32 s24, s24, s13
	s_mul_i32 s29, s24, s14
	s_delay_alu instid0(SALU_CYCLE_1) | instskip(SKIP_3) | instid1(SALU_CYCLE_1)
	s_cmp_eq_u32 s29, s40
	s_cselect_b32 s29, -1, 0
	s_cmp_lt_u32 s24, s12
	s_cselect_b32 s24, -1, 0
	s_or_b32 s24, s24, s29
	s_mov_b32 s29, -1
	s_and_b32 vcc_lo, exec_lo, s24
	s_mov_b32 s24, s36
	s_cbranch_vccnz .LBB32_16
; %bb.15:                               ;   in Loop: Header=BB32_9 Depth=1
	s_add_co_i32 s24, s36, -1
	s_mov_b32 s29, 0
	s_mov_b32 s33, s40
.LBB32_16:                              ;   in Loop: Header=BB32_9 Depth=1
	v_mad_u32 v4, 0x120, s36, v6
	s_mul_f32 s41, s37, 0x3fb8aa3b
	s_mul_f32 s40, s38, 0x3fb8aa3b
	s_delay_alu instid0(SALU_CYCLE_2)
	s_xor_b32 s43, s41, 0x80000000
	s_rndne_f32 s45, s41
	s_fmamk_f32 s43, s37, 0x3fb8aa3b, s43
	s_xor_b32 s42, s40, 0x80000000
	s_rndne_f32 s44, s40
	s_sub_f32 s41, s41, s45
	global_load_b32 v5, v4, s[26:27] scale_offset
	s_fmamk_f32 s37, s37, 0x32a5705f, s43
	s_fmamk_f32 s42, s38, 0x3fb8aa3b, s42
	s_sub_f32 s40, s40, s44
	s_delay_alu instid0(SALU_CYCLE_1) | instskip(NEXT) | instid1(SALU_CYCLE_1)
	s_add_f32 s37, s41, s37
	s_fmamk_f32 s38, s38, 0x32a5705f, s42
	s_cvt_i32_f32 s41, s45
	s_delay_alu instid0(SALU_CYCLE_1) | instskip(NEXT) | instid1(SALU_CYCLE_1)
	v_s_exp_f32 s37, s37
	s_add_f32 s38, s40, s38
	s_cvt_i32_f32 s40, s44
	s_delay_alu instid0(SALU_CYCLE_2) | instskip(NEXT) | instid1(TRANS32_DEP_2)
	v_s_exp_f32 s38, s38
	v_ldexp_f32 v8, s37, s41
	s_wait_xcnt 0x0
	s_delay_alu instid0(TRANS32_DEP_1) | instskip(NEXT) | instid1(VALU_DEP_2)
	v_ldexp_f32 v4, s38, s40
	v_cndmask_b32_e64 v8, 0, v8, s1
	s_delay_alu instid0(VALU_DEP_1) | instskip(NEXT) | instid1(VALU_DEP_1)
	v_cndmask_b32_e64 v9, 0x7f800000, v8, s2
	v_dual_cndmask_b32 v4, 0, v4, s3 :: v_dual_cndmask_b32 v10, 0, v9, s0
	s_delay_alu instid0(VALU_DEP_1) | instskip(NEXT) | instid1(VALU_DEP_1)
	v_cndmask_b32_e64 v4, 0x7f800000, v4, s4
	v_dual_cndmask_b32 v8, 0, v4, s5 :: v_dual_mov_b32 v4, s39
	s_wait_loadcnt 0x0
	s_delay_alu instid0(VALU_DEP_1) | instskip(NEXT) | instid1(VALU_DEP_1)
	v_pk_mul_f32 v[4:5], v[4:5], v[8:9] op_sel_hi:[1,0]
	v_pk_fma_f32 v[4:5], v[0:1], v[10:11], v[4:5] op_sel_hi:[1,0,1]
	s_cbranch_execz .LBB32_19
.LBB32_17:                              ;   in Loop: Header=BB32_9 Depth=1
	s_and_not1_b32 vcc_lo, exec_lo, s29
	s_cbranch_vccnz .LBB32_20
	s_branch .LBB32_23
.LBB32_18:                              ;   in Loop: Header=BB32_9 Depth=1
	s_and_not1_b32 vcc_lo, exec_lo, s0
	s_cbranch_vccnz .LBB32_17
.LBB32_19:                              ;   in Loop: Header=BB32_9 Depth=1
	s_wait_loadcnt 0x0
	v_mov_b64_e32 v[4:5], v[0:1]
	s_add_co_i32 s24, s36, -1
	s_mov_b32 s33, s20
	s_mov_b32 s21, s28
	s_cbranch_execz .LBB32_23
.LBB32_20:                              ;   in Loop: Header=BB32_9 Depth=1
	s_wait_loadcnt 0x0
	s_delay_alu instid0(VALU_DEP_1)
	v_mov_b64_e32 v[0:1], v[4:5]
	s_mov_b32 s20, s33
	s_mov_b32 s36, s24
	;; [unrolled: 1-line block ×3, first 2 shown]
	s_branch .LBB32_9
.LBB32_21:
                                        ; implicit-def: $sgpr20_sgpr21
	s_branch .LBB32_2
.LBB32_22:
                                        ; implicit-def: $sgpr24_sgpr25
	s_load_b96 s[12:14], s[0:1], 0x44
	s_branch .LBB32_5
.LBB32_23:
	s_delay_alu instid0(VALU_DEP_1) | instskip(SKIP_1) | instid1(VALU_DEP_1)
	v_div_scale_f32 v0, null, v4, v4, v5
	s_wait_loadcnt 0x0
	v_rcp_f32_e32 v1, v0
	v_nop
	s_delay_alu instid0(TRANS32_DEP_1) | instskip(NEXT) | instid1(VALU_DEP_1)
	v_fma_f32 v6, -v0, v1, 1.0
	v_fmac_f32_e32 v1, v6, v1
	v_div_scale_f32 v6, vcc_lo, v5, v4, v5
	s_delay_alu instid0(VALU_DEP_1) | instskip(NEXT) | instid1(VALU_DEP_1)
	v_mul_f32_e32 v7, v6, v1
	v_fma_f32 v8, -v0, v7, v6
	s_delay_alu instid0(VALU_DEP_1) | instskip(NEXT) | instid1(VALU_DEP_1)
	v_fmac_f32_e32 v7, v8, v1
	v_fma_f32 v0, -v0, v7, v6
	s_delay_alu instid0(VALU_DEP_1) | instskip(NEXT) | instid1(VALU_DEP_1)
	v_div_fmas_f32 v0, v0, v1, v7
	v_div_fixup_f32 v0, v0, v4, v5
	global_store_b32 v[2:3], v0, off
.LBB32_24:
	s_endpgm
	.section	.rodata,"a",@progbits
	.p2align	6, 0x0
	.amdhsa_kernel _ZL33flash_attn_stream_k_fixup_generalILi72ELi1ELi4EEvPfPK15HIP_vector_typeIfLj2EEiiiiS1_IjLj3EES5_S5_S5_
		.amdhsa_group_segment_fixed_size 0
		.amdhsa_private_segment_fixed_size 0
		.amdhsa_kernarg_size 336
		.amdhsa_user_sgpr_count 2
		.amdhsa_user_sgpr_dispatch_ptr 0
		.amdhsa_user_sgpr_queue_ptr 0
		.amdhsa_user_sgpr_kernarg_segment_ptr 1
		.amdhsa_user_sgpr_dispatch_id 0
		.amdhsa_user_sgpr_kernarg_preload_length 0
		.amdhsa_user_sgpr_kernarg_preload_offset 0
		.amdhsa_user_sgpr_private_segment_size 0
		.amdhsa_wavefront_size32 1
		.amdhsa_uses_dynamic_stack 0
		.amdhsa_enable_private_segment 0
		.amdhsa_system_sgpr_workgroup_id_x 1
		.amdhsa_system_sgpr_workgroup_id_y 1
		.amdhsa_system_sgpr_workgroup_id_z 1
		.amdhsa_system_sgpr_workgroup_info 0
		.amdhsa_system_vgpr_workitem_id 0
		.amdhsa_next_free_vgpr 12
		.amdhsa_next_free_sgpr 46
		.amdhsa_named_barrier_count 0
		.amdhsa_reserve_vcc 1
		.amdhsa_float_round_mode_32 0
		.amdhsa_float_round_mode_16_64 0
		.amdhsa_float_denorm_mode_32 3
		.amdhsa_float_denorm_mode_16_64 3
		.amdhsa_fp16_overflow 0
		.amdhsa_memory_ordered 1
		.amdhsa_forward_progress 1
		.amdhsa_inst_pref_size 27
		.amdhsa_round_robin_scheduling 0
		.amdhsa_exception_fp_ieee_invalid_op 0
		.amdhsa_exception_fp_denorm_src 0
		.amdhsa_exception_fp_ieee_div_zero 0
		.amdhsa_exception_fp_ieee_overflow 0
		.amdhsa_exception_fp_ieee_underflow 0
		.amdhsa_exception_fp_ieee_inexact 0
		.amdhsa_exception_int_div_zero 0
	.end_amdhsa_kernel
	.section	.text._ZL33flash_attn_stream_k_fixup_generalILi72ELi1ELi4EEvPfPK15HIP_vector_typeIfLj2EEiiiiS1_IjLj3EES5_S5_S5_,"axG",@progbits,_ZL33flash_attn_stream_k_fixup_generalILi72ELi1ELi4EEvPfPK15HIP_vector_typeIfLj2EEiiiiS1_IjLj3EES5_S5_S5_,comdat
.Lfunc_end32:
	.size	_ZL33flash_attn_stream_k_fixup_generalILi72ELi1ELi4EEvPfPK15HIP_vector_typeIfLj2EEiiiiS1_IjLj3EES5_S5_S5_, .Lfunc_end32-_ZL33flash_attn_stream_k_fixup_generalILi72ELi1ELi4EEvPfPK15HIP_vector_typeIfLj2EEiiiiS1_IjLj3EES5_S5_S5_
                                        ; -- End function
	.set _ZL33flash_attn_stream_k_fixup_generalILi72ELi1ELi4EEvPfPK15HIP_vector_typeIfLj2EEiiiiS1_IjLj3EES5_S5_S5_.num_vgpr, 12
	.set _ZL33flash_attn_stream_k_fixup_generalILi72ELi1ELi4EEvPfPK15HIP_vector_typeIfLj2EEiiiiS1_IjLj3EES5_S5_S5_.num_agpr, 0
	.set _ZL33flash_attn_stream_k_fixup_generalILi72ELi1ELi4EEvPfPK15HIP_vector_typeIfLj2EEiiiiS1_IjLj3EES5_S5_S5_.numbered_sgpr, 46
	.set _ZL33flash_attn_stream_k_fixup_generalILi72ELi1ELi4EEvPfPK15HIP_vector_typeIfLj2EEiiiiS1_IjLj3EES5_S5_S5_.num_named_barrier, 0
	.set _ZL33flash_attn_stream_k_fixup_generalILi72ELi1ELi4EEvPfPK15HIP_vector_typeIfLj2EEiiiiS1_IjLj3EES5_S5_S5_.private_seg_size, 0
	.set _ZL33flash_attn_stream_k_fixup_generalILi72ELi1ELi4EEvPfPK15HIP_vector_typeIfLj2EEiiiiS1_IjLj3EES5_S5_S5_.uses_vcc, 1
	.set _ZL33flash_attn_stream_k_fixup_generalILi72ELi1ELi4EEvPfPK15HIP_vector_typeIfLj2EEiiiiS1_IjLj3EES5_S5_S5_.uses_flat_scratch, 0
	.set _ZL33flash_attn_stream_k_fixup_generalILi72ELi1ELi4EEvPfPK15HIP_vector_typeIfLj2EEiiiiS1_IjLj3EES5_S5_S5_.has_dyn_sized_stack, 0
	.set _ZL33flash_attn_stream_k_fixup_generalILi72ELi1ELi4EEvPfPK15HIP_vector_typeIfLj2EEiiiiS1_IjLj3EES5_S5_S5_.has_recursion, 0
	.set _ZL33flash_attn_stream_k_fixup_generalILi72ELi1ELi4EEvPfPK15HIP_vector_typeIfLj2EEiiiiS1_IjLj3EES5_S5_S5_.has_indirect_call, 0
	.section	.AMDGPU.csdata,"",@progbits
; Kernel info:
; codeLenInByte = 3348
; TotalNumSgprs: 48
; NumVgprs: 12
; ScratchSize: 0
; MemoryBound: 0
; FloatMode: 240
; IeeeMode: 1
; LDSByteSize: 0 bytes/workgroup (compile time only)
; SGPRBlocks: 0
; VGPRBlocks: 0
; NumSGPRsForWavesPerEU: 48
; NumVGPRsForWavesPerEU: 12
; NamedBarCnt: 0
; Occupancy: 16
; WaveLimiterHint : 0
; COMPUTE_PGM_RSRC2:SCRATCH_EN: 0
; COMPUTE_PGM_RSRC2:USER_SGPR: 2
; COMPUTE_PGM_RSRC2:TRAP_HANDLER: 0
; COMPUTE_PGM_RSRC2:TGID_X_EN: 1
; COMPUTE_PGM_RSRC2:TGID_Y_EN: 1
; COMPUTE_PGM_RSRC2:TGID_Z_EN: 1
; COMPUTE_PGM_RSRC2:TIDIG_COMP_CNT: 0
	.section	.text._ZL15flash_attn_tileILi72ELi72ELi32ELi2ELb0EEvPKcS1_S1_S1_S1_PKiPfP15HIP_vector_typeIfLj2EEffffjfiS5_IjLj3EEiiiiiiiiiiiliiliiiiil,"axG",@progbits,_ZL15flash_attn_tileILi72ELi72ELi32ELi2ELb0EEvPKcS1_S1_S1_S1_PKiPfP15HIP_vector_typeIfLj2EEffffjfiS5_IjLj3EEiiiiiiiiiiiliiliiiiil,comdat
	.globl	_ZL15flash_attn_tileILi72ELi72ELi32ELi2ELb0EEvPKcS1_S1_S1_S1_PKiPfP15HIP_vector_typeIfLj2EEffffjfiS5_IjLj3EEiiiiiiiiiiiliiliiiiil ; -- Begin function _ZL15flash_attn_tileILi72ELi72ELi32ELi2ELb0EEvPKcS1_S1_S1_S1_PKiPfP15HIP_vector_typeIfLj2EEffffjfiS5_IjLj3EEiiiiiiiiiiiliiliiiiil
	.p2align	8
	.type	_ZL15flash_attn_tileILi72ELi72ELi32ELi2ELb0EEvPKcS1_S1_S1_S1_PKiPfP15HIP_vector_typeIfLj2EEffffjfiS5_IjLj3EEiiiiiiiiiiiliiliiiiil,@function
_ZL15flash_attn_tileILi72ELi72ELi32ELi2ELb0EEvPKcS1_S1_S1_S1_PKiPfP15HIP_vector_typeIfLj2EEffffjfiS5_IjLj3EEiiiiiiiiiiiliiliiiiil: ; @_ZL15flash_attn_tileILi72ELi72ELi32ELi2ELb0EEvPKcS1_S1_S1_S1_PKiPfP15HIP_vector_typeIfLj2EEffffjfiS5_IjLj3EEiiiiiiiiiiiliiliiiiil
; %bb.0:
	s_clause 0x1
	s_load_b128 s[28:31], s[0:1], 0x5c
	s_load_b64 s[38:39], s[0:1], 0x80
	s_bfe_u32 s5, ttmp6, 0x40014
	s_lshr_b32 s4, ttmp7, 16
	s_add_co_i32 s5, s5, 1
	s_bfe_u32 s6, ttmp6, 0x40008
	s_mul_i32 s5, s4, s5
	s_getreg_b32 s42, hwreg(HW_REG_IB_STS2, 6, 4)
	s_add_co_i32 s6, s6, s5
	s_load_b512 s[12:27], s[0:1], 0x0
	s_mov_b32 s9, 0
	s_mov_b64 s[40:41], 0
	s_wait_kmcnt 0x0
	s_lshr_b32 s2, s31, 31
	s_delay_alu instid0(SALU_CYCLE_1) | instskip(NEXT) | instid1(SALU_CYCLE_1)
	s_add_co_i32 s2, s31, s2
	s_ashr_i32 s2, s2, 1
	s_delay_alu instid0(SALU_CYCLE_1) | instskip(SKIP_1) | instid1(SALU_CYCLE_2)
	s_cvt_f32_u32 s3, s2
	s_sub_co_i32 s7, 0, s2
	v_rcp_iflag_f32_e32 v1, s3
	v_nop
	s_delay_alu instid0(TRANS32_DEP_1) | instskip(SKIP_1) | instid1(SALU_CYCLE_3)
	v_readfirstlane_b32 s3, v1
	s_mul_f32 s3, s3, 0x4f7ffffe
	s_cvt_u32_f32 s3, s3
	s_delay_alu instid0(SALU_CYCLE_3) | instskip(NEXT) | instid1(SALU_CYCLE_1)
	s_mul_i32 s7, s7, s3
	s_mul_hi_u32 s7, s3, s7
	s_delay_alu instid0(SALU_CYCLE_1) | instskip(SKIP_2) | instid1(SALU_CYCLE_1)
	s_add_co_i32 s3, s3, s7
	s_cmp_eq_u32 s42, 0
	s_cselect_b32 s4, s4, s6
	s_mul_hi_u32 s3, s4, s3
	s_delay_alu instid0(SALU_CYCLE_1) | instskip(SKIP_2) | instid1(SALU_CYCLE_1)
	s_mul_i32 s5, s3, s2
	s_add_co_i32 s6, s3, 1
	s_sub_co_i32 s5, s4, s5
	s_sub_co_i32 s7, s5, s2
	s_cmp_ge_u32 s5, s2
	s_cselect_b32 s3, s6, s3
	s_cselect_b32 s5, s7, s5
	s_add_co_i32 s6, s3, 1
	s_cmp_ge_u32 s5, s2
	s_cselect_b32 s36, s6, s3
	s_abs_i32 s2, s39
	s_abs_i32 s7, s31
	s_cvt_f32_u32 s3, s2
	s_sub_co_i32 s5, 0, s2
	s_lshl_b32 s4, s4, 1
	s_mul_i32 s6, s36, s31
	v_rcp_iflag_f32_e32 v1, s3
	s_sub_co_i32 s34, s4, s6
	s_xor_b32 s4, s31, s39
	s_delay_alu instid0(SALU_CYCLE_1) | instskip(SKIP_1) | instid1(TRANS32_DEP_1)
	s_ashr_i32 s4, s4, 31
	v_nop
	v_readfirstlane_b32 s3, v1
	s_mul_f32 s3, s3, 0x4f7ffffe
	s_delay_alu instid0(SALU_CYCLE_3) | instskip(NEXT) | instid1(SALU_CYCLE_3)
	s_cvt_u32_f32 s3, s3
	s_mul_i32 s5, s5, s3
	s_delay_alu instid0(SALU_CYCLE_1) | instskip(NEXT) | instid1(SALU_CYCLE_1)
	s_mul_hi_u32 s5, s3, s5
	s_add_co_i32 s3, s3, s5
	s_delay_alu instid0(SALU_CYCLE_1) | instskip(NEXT) | instid1(SALU_CYCLE_1)
	s_mul_hi_u32 s3, s7, s3
	s_mul_i32 s5, s3, s2
	s_add_co_i32 s6, s3, 1
	s_sub_co_i32 s5, s7, s5
	s_delay_alu instid0(SALU_CYCLE_1)
	s_sub_co_i32 s7, s5, s2
	s_cmp_ge_u32 s5, s2
	s_cselect_b32 s3, s6, s3
	s_cselect_b32 s5, s7, s5
	s_add_co_i32 s6, s3, 1
	s_cmp_ge_u32 s5, s2
	s_cselect_b32 s2, s6, s3
	s_delay_alu instid0(SALU_CYCLE_1) | instskip(SKIP_2) | instid1(SALU_CYCLE_1)
	s_xor_b32 s5, s2, s4
	s_load_b64 s[2:3], s[0:1], 0xb8
	s_sub_co_i32 s11, s5, s4
	s_abs_i32 s35, s11
	s_cmp_eq_u64 s[18:19], 0
	s_cvt_f32_u32 s4, s35
	s_delay_alu instid0(SALU_CYCLE_3) | instskip(SKIP_1) | instid1(TRANS32_DEP_1)
	v_rcp_iflag_f32_e32 v1, s4
	v_nop
	v_readfirstlane_b32 s37, v1
	s_cbranch_scc1 .LBB33_2
; %bb.1:
	s_wait_kmcnt 0x0
	s_abs_i32 s2, s2
	s_abs_i32 s6, s36
	s_cvt_f32_u32 s4, s2
	s_sub_co_i32 s5, 0, s2
	s_delay_alu instid0(SALU_CYCLE_2) | instskip(SKIP_1) | instid1(TRANS32_DEP_1)
	v_rcp_iflag_f32_e32 v1, s4
	v_nop
	v_readfirstlane_b32 s4, v1
	s_mul_f32 s4, s4, 0x4f7ffffe
	s_delay_alu instid0(SALU_CYCLE_3) | instskip(NEXT) | instid1(SALU_CYCLE_3)
	s_cvt_u32_f32 s4, s4
	s_mul_i32 s5, s5, s4
	s_delay_alu instid0(SALU_CYCLE_1) | instskip(NEXT) | instid1(SALU_CYCLE_1)
	s_mul_hi_u32 s5, s4, s5
	s_add_co_i32 s4, s4, s5
	s_delay_alu instid0(SALU_CYCLE_1) | instskip(SKIP_2) | instid1(SALU_CYCLE_1)
	s_mul_hi_u32 s7, s6, s4
	s_load_b64 s[4:5], s[0:1], 0xc8
	s_mul_i32 s7, s7, s2
	s_sub_co_i32 s6, s6, s7
	s_ashr_i32 s7, s36, 31
	s_sub_co_i32 s8, s6, s2
	s_cmp_ge_u32 s6, s2
	s_cselect_b32 s6, s8, s6
	s_delay_alu instid0(SALU_CYCLE_1) | instskip(SKIP_2) | instid1(SALU_CYCLE_1)
	s_sub_co_i32 s8, s6, s2
	s_cmp_ge_u32 s6, s2
	s_cselect_b32 s2, s8, s6
	s_xor_b32 s2, s2, s7
	s_delay_alu instid0(SALU_CYCLE_1) | instskip(NEXT) | instid1(SALU_CYCLE_1)
	s_sub_co_i32 s6, s2, s7
	s_ashr_i32 s7, s6, 31
	s_wait_kmcnt 0x0
	s_mul_u64 s[4:5], s[4:5], s[6:7]
	s_delay_alu instid0(SALU_CYCLE_1)
	s_add_nc_u64 s[40:41], s[18:19], s[4:5]
.LBB33_2:
	s_clause 0x1
	s_load_b96 s[4:6], s[0:1], 0x70
	s_load_b32 s10, s[0:1], 0x40
	s_wait_kmcnt 0x0
	s_bfe_u32 s2, ttmp6, 0x4000c
	v_and_b32_e32 v41, 0x3ff, v0
	s_add_co_i32 s2, s2, 1
	s_and_b32 s7, ttmp6, 15
	s_mul_i32 s8, ttmp9, s2
	s_delay_alu instid0(VALU_DEP_1)
	v_dual_mov_b32 v3, 0 :: v_dual_lshlrev_b32 v34, 2, v41
	s_add_co_i32 s7, s7, s8
	s_cmp_eq_u32 s42, 0
	v_bfe_u32 v4, v0, 10, 10
	s_cselect_b32 s18, ttmp9, s7
	v_cmp_gt_u32_e64 s2, 18, v41
	v_dual_lshlrev_b32 v5, 3, v41 :: v_dual_lshlrev_b32 v0, 2, v34
	s_lshl_b32 s33, s18, 5
	s_mov_b32 s8, s28
	s_mul_i32 s6, s36, s6
	s_mul_i32 s44, s34, s5
	s_ashr_i32 s7, s6, 31
	s_ashr_i32 s47, s5, 31
	s_mov_b32 s46, s5
	s_ashr_i32 s5, s4, 31
	s_ashr_i32 s45, s44, 31
	s_add_nc_u64 s[6:7], s[12:13], s[6:7]
	s_lshr_b64 s[12:13], s[46:47], 2
	s_add_nc_u64 s[6:7], s[6:7], s[44:45]
	s_lshr_b64 s[4:5], s[4:5], 2
	s_and_saveexec_b32 s19, s2
	s_cbranch_execz .LBB33_4
; %bb.3:
	v_lshl_add_u32 v2, v4, 2, s33
	s_lshl_b64 s[44:45], s[12:13], 2
	s_delay_alu instid0(SALU_CYCLE_1) | instskip(NEXT) | instid1(VALU_DEP_1)
	s_add_nc_u64 s[44:45], s[6:7], s[44:45]
	v_mul_u64_e32 v[6:7], s[8:9], v[2:3]
	s_delay_alu instid0(VALU_DEP_1) | instskip(NEXT) | instid1(VALU_DEP_1)
	v_add_nc_u32_e32 v1, v2, v7
	v_lshrrev_b32_e32 v1, s29, v1
	s_delay_alu instid0(VALU_DEP_1) | instskip(NEXT) | instid1(VALU_DEP_1)
	v_mul_lo_u32 v1, v1, s30
	v_dual_mov_b32 v1, v3 :: v_dual_sub_nc_u32 v2, v2, v1
	s_delay_alu instid0(VALU_DEP_1) | instskip(NEXT) | instid1(VALU_DEP_1)
	v_mul_u64_e32 v[6:7], s[4:5], v[2:3]
	v_lshlrev_b64_e32 v[6:7], 2, v[6:7]
	s_delay_alu instid0(VALU_DEP_1) | instskip(SKIP_1) | instid1(VALU_DEP_2)
	v_add_nc_u64_e32 v[8:9], s[6:7], v[6:7]
	v_add_nc_u64_e32 v[2:3], s[44:45], v[6:7]
	;; [unrolled: 1-line block ×3, first 2 shown]
	s_delay_alu instid0(VALU_DEP_2)
	v_add_nc_u64_e32 v[2:3], v[2:3], v[0:1]
	s_clause 0x1
	global_load_b128 v[6:9], v[14:15], off
	global_load_b128 v[10:13], v[2:3], off
	s_wait_loadcnt 0x1
	v_fma_mixlo_f16 v1, s10, v6, 0
	s_wait_xcnt 0x0
	v_fma_mixlo_f16 v2, s10, v7, 0
	v_fma_mixlo_f16 v3, s10, v8, 0
	s_wait_loadcnt 0x0
	v_fma_mixlo_f16 v7, s10, v10, 0
	v_fma_mixlo_f16 v8, s10, v11, 0
	;; [unrolled: 1-line block ×5, first 2 shown]
	v_lshlrev_b32_e32 v2, 16, v2
	v_and_b32_e32 v1, 0xffff, v1
	v_lshlrev_b32_e32 v8, 16, v8
	v_and_b32_e32 v7, 0xffff, v7
	;; [unrolled: 2-line block ×4, first 2 shown]
	v_or_b32_e32 v1, v2, v1
	v_or_b32_e32 v8, v8, v7
	v_mad_u32_u24 v11, 0x480, v4, v5
	v_or3_b32 v3, v6, v3, 0
	v_or3_b32 v7, v10, v9, 0
	;; [unrolled: 1-line block ×4, first 2 shown]
	ds_store_2addr_b64 v11, v[2:3], v[6:7] offset1:18
.LBB33_4:
	s_or_b32 exec_lo, exec_lo, s19
	v_lshlrev_b32_e32 v2, 3, v4
	s_delay_alu instid0(VALU_DEP_1) | instskip(NEXT) | instid1(VALU_DEP_1)
	v_or_b32_e32 v3, 2, v2
	v_lshrrev_b32_e32 v40, 1, v3
	s_and_saveexec_b32 s19, s2
	s_cbranch_execnz .LBB33_16
; %bb.5:
	s_or_b32 exec_lo, exec_lo, s19
	v_or_b32_e32 v39, 3, v2
	s_and_saveexec_b32 s19, s2
	s_cbranch_execnz .LBB33_17
.LBB33_6:
	s_or_b32 exec_lo, exec_lo, s19
	v_or_b32_e32 v38, 4, v2
	s_and_saveexec_b32 s19, s2
	s_cbranch_execnz .LBB33_18
.LBB33_7:
	s_or_b32 exec_lo, exec_lo, s19
	v_or_b32_e32 v37, 5, v2
	s_and_saveexec_b32 s19, s2
	s_cbranch_execnz .LBB33_19
.LBB33_8:
	s_or_b32 exec_lo, exec_lo, s19
	v_or_b32_e32 v36, 6, v2
	s_and_saveexec_b32 s19, s2
	s_cbranch_execnz .LBB33_20
.LBB33_9:
	s_or_b32 exec_lo, exec_lo, s19
	v_or_b32_e32 v35, 7, v2
	s_and_saveexec_b32 s19, s2
	s_cbranch_execz .LBB33_11
.LBB33_10:
	s_delay_alu instid0(VALU_DEP_1) | instskip(NEXT) | instid1(VALU_DEP_1)
	v_dual_lshrrev_b32 v1, 1, v35 :: v_dual_mov_b32 v3, 0
	v_add_nc_u32_e32 v2, s33, v1
	s_delay_alu instid0(VALU_DEP_1) | instskip(NEXT) | instid1(VALU_DEP_1)
	v_mul_u64_e32 v[6:7], s[8:9], v[2:3]
	v_add_nc_u32_e32 v1, v2, v7
	s_delay_alu instid0(VALU_DEP_1) | instskip(NEXT) | instid1(VALU_DEP_1)
	v_lshrrev_b32_e32 v1, s29, v1
	v_mul_lo_u32 v1, v1, s30
	s_delay_alu instid0(VALU_DEP_1) | instskip(NEXT) | instid1(VALU_DEP_1)
	v_dual_mov_b32 v1, v3 :: v_dual_sub_nc_u32 v2, v2, v1
	v_mul_u64_e32 v[6:7], s[4:5], v[2:3]
	s_lshl_b64 s[4:5], s[12:13], 2
	s_delay_alu instid0(SALU_CYCLE_1)
	s_add_nc_u64 s[4:5], s[6:7], s[4:5]
	s_delay_alu instid0(VALU_DEP_1) | instid1(SALU_CYCLE_1)
	v_lshl_add_u64 v[2:3], v[6:7], 2, s[4:5]
	s_delay_alu instid0(VALU_DEP_1) | instskip(SKIP_4) | instid1(VALU_DEP_1)
	v_add_nc_u64_e32 v[0:1], v[2:3], v[0:1]
	global_load_b128 v[0:3], v[0:1], off
	s_wait_loadcnt 0x0
	v_fma_mixlo_f16 v6, s10, v0, 0
	v_mov_b32_e32 v0, v3
	v_pk_mul_f32 v[0:1], s[10:11], v[0:1] op_sel_hi:[0,1]
	s_delay_alu instid0(VALU_DEP_1) | instskip(SKIP_2) | instid1(VALU_DEP_3)
	v_cvt_pk_f16_f32 v0, v0, v1
	v_fma_mixlo_f16 v1, s10, v2, 0
	v_and_b32_e32 v2, 0xffff, v6
	v_and_b32_e32 v3, 0xffff0000, v0
	s_delay_alu instid0(VALU_DEP_3) | instskip(NEXT) | instid1(VALU_DEP_2)
	v_and_b32_e32 v1, 0xffff, v1
	v_dual_lshlrev_b32 v0, 16, v0 :: v_dual_bitop2_b32 v2, v3, v2 bitop3:0x54
	v_mad_u32_u24 v3, 0x90, v35, v5
	s_delay_alu instid0(VALU_DEP_2) | instskip(NEXT) | instid1(VALU_DEP_3)
	v_or3_b32 v1, v0, v1, 0
	v_or3_b32 v0, 0, 0, v2
	ds_store_b64 v3, v[0:1]
.LBB33_11:
	s_or_b32 exec_lo, exec_lo, s19
	s_cmp_eq_u64 s[22:23], 0
	s_wait_dscnt 0x0
	s_barrier_signal -1
	s_barrier_wait -1
	s_cbranch_scc1 .LBB33_13
; %bb.12:
	s_load_b32 s4, s[0:1], 0xd0
	s_wait_kmcnt 0x0
	s_mul_i32 s4, s4, s36
	s_delay_alu instid0(SALU_CYCLE_1)
	s_add_co_i32 s4, s4, s18
	s_load_b32 s38, s[22:23], s4 offset:0x0 scale_offset
.LBB33_13:
	s_wait_xcnt 0x0
	s_bfe_u32 s4, ttmp6, 0x40010
	s_and_b32 s5, ttmp7, 0xffff
	s_add_co_i32 s4, s4, 1
	s_bfe_u32 s6, ttmp6, 0x40004
	s_mul_i32 s4, s5, s4
	v_mbcnt_lo_u32_b32 v48, -1, 0
	s_add_co_i32 s6, s6, s4
	s_cmp_eq_u32 s42, 0
	s_mov_b32 s4, 0
	s_cselect_b32 s39, s5, s6
	s_delay_alu instid0(SALU_CYCLE_1)
	s_lshl_b32 s22, s39, 5
	s_wait_kmcnt 0x0
	s_cmp_lt_i32 s22, s38
	s_cbranch_scc1 .LBB33_21
; %bb.14:
	v_mbcnt_lo_u32_b32 v8, -1, 0
	s_delay_alu instid0(VALU_DEP_1)
	v_dual_mov_b32 v43, 32 :: v_dual_bitop2_b32 v49, 16, v8 bitop3:0x14
	v_xor_b32_e32 v47, 8, v8
	v_xor_b32_e32 v46, 4, v8
	;; [unrolled: 1-line block ×4, first 2 shown]
	v_lshlrev_b32_e32 v42, 2, v4
	s_and_not1_b32 vcc_lo, exec_lo, s4
	s_cbranch_vccz .LBB33_22
; %bb.15:
	v_dual_mov_b32 v77, 0 :: v_dual_mov_b32 v15, 0
	v_dual_mov_b32 v7, 0xfeffffff :: v_dual_mov_b32 v6, 0xfeffffff
	v_dual_mov_b32 v5, 0xfeffffff :: v_dual_mov_b32 v4, 0xfeffffff
	v_dual_mov_b32 v3, 0xfeffffff :: v_dual_mov_b32 v2, 0xfeffffff
	v_dual_mov_b32 v1, 0xfeffffff :: v_dual_mov_b32 v0, 0xfeffffff
	v_dual_mov_b32 v14, v15 :: v_dual_mov_b32 v17, v15
	v_dual_mov_b32 v16, v15 :: v_dual_mov_b32 v19, v15
	v_dual_mov_b32 v18, v15 :: v_dual_mov_b32 v21, v15
	v_dual_mov_b32 v20, v15 :: v_dual_mov_b32 v78, 0
	v_dual_mov_b32 v76, 0 :: v_dual_mov_b32 v75, 0
	v_dual_mov_b32 v73, 0 :: v_dual_mov_b32 v74, 0
	v_dual_mov_b32 v72, 0 :: v_dual_mov_b32 v71, 0
	v_dual_mov_b32 v69, 0 :: v_dual_mov_b32 v70, 0
	v_dual_mov_b32 v67, 0 :: v_dual_mov_b32 v68, 0
	v_dual_mov_b32 v65, 0 :: v_dual_mov_b32 v66, 0
	v_dual_mov_b32 v63, 0 :: v_dual_mov_b32 v64, 0
	s_branch .LBB33_30
.LBB33_16:
	s_delay_alu instid0(VALU_DEP_1) | instskip(SKIP_1) | instid1(VALU_DEP_2)
	v_dual_mov_b32 v7, 0 :: v_dual_add_nc_u32 v6, s33, v40
	v_mad_u32_u24 v3, 0x90, v3, v5
	v_mul_u64_e32 v[8:9], s[8:9], v[6:7]
	s_delay_alu instid0(VALU_DEP_1) | instskip(NEXT) | instid1(VALU_DEP_1)
	v_add_nc_u32_e32 v1, v6, v9
	v_lshrrev_b32_e32 v1, s29, v1
	s_delay_alu instid0(VALU_DEP_1) | instskip(NEXT) | instid1(VALU_DEP_1)
	v_mul_lo_u32 v1, v1, s30
	v_dual_mov_b32 v1, v7 :: v_dual_sub_nc_u32 v6, v6, v1
	s_delay_alu instid0(VALU_DEP_1) | instskip(NEXT) | instid1(VALU_DEP_1)
	v_mul_u64_e32 v[8:9], s[4:5], v[6:7]
	v_lshl_add_u64 v[6:7], v[8:9], 2, s[6:7]
	s_delay_alu instid0(VALU_DEP_1) | instskip(SKIP_4) | instid1(VALU_DEP_2)
	v_add_nc_u64_e32 v[6:7], v[6:7], v[0:1]
	global_load_b128 v[6:9], v[6:7], off
	s_wait_loadcnt 0x0
	v_fma_mixlo_f16 v1, s10, v6, 0
	v_mov_b32_e32 v6, v9
	v_and_b32_e32 v1, 0xffff, v1
	s_delay_alu instid0(VALU_DEP_2) | instskip(NEXT) | instid1(VALU_DEP_1)
	v_pk_mul_f32 v[6:7], s[10:11], v[6:7] op_sel_hi:[0,1]
	v_cvt_pk_f16_f32 v6, v6, v7
	v_fma_mixlo_f16 v7, s10, v8, 0
	s_delay_alu instid0(VALU_DEP_2) | instskip(NEXT) | instid1(VALU_DEP_2)
	v_and_b32_e32 v8, 0xffff0000, v6
	v_and_b32_e32 v7, 0xffff, v7
	s_delay_alu instid0(VALU_DEP_2) | instskip(NEXT) | instid1(VALU_DEP_1)
	v_dual_lshlrev_b32 v6, 16, v6 :: v_dual_bitop2_b32 v1, v8, v1 bitop3:0x54
	v_or3_b32 v7, v6, v7, 0
	s_delay_alu instid0(VALU_DEP_2)
	v_or3_b32 v6, 0, 0, v1
	ds_store_b64 v3, v[6:7]
	s_or_b32 exec_lo, exec_lo, s19
	v_or_b32_e32 v39, 3, v2
	s_and_saveexec_b32 s19, s2
	s_cbranch_execz .LBB33_6
.LBB33_17:
	s_delay_alu instid0(VALU_DEP_1) | instskip(SKIP_1) | instid1(SALU_CYCLE_1)
	v_dual_lshrrev_b32 v1, 1, v39 :: v_dual_mov_b32 v7, 0
	s_lshl_b64 s[44:45], s[12:13], 2
	s_add_nc_u64 s[44:45], s[6:7], s[44:45]
	s_delay_alu instid0(VALU_DEP_1) | instskip(NEXT) | instid1(VALU_DEP_1)
	v_add_nc_u32_e32 v6, s33, v1
	v_mul_u64_e32 v[8:9], s[8:9], v[6:7]
	s_delay_alu instid0(VALU_DEP_1) | instskip(NEXT) | instid1(VALU_DEP_1)
	v_add_nc_u32_e32 v1, v6, v9
	v_lshrrev_b32_e32 v1, s29, v1
	s_delay_alu instid0(VALU_DEP_1) | instskip(NEXT) | instid1(VALU_DEP_1)
	v_mul_lo_u32 v1, v1, s30
	v_dual_mov_b32 v1, v7 :: v_dual_sub_nc_u32 v6, v6, v1
	s_delay_alu instid0(VALU_DEP_1) | instskip(NEXT) | instid1(VALU_DEP_1)
	v_mul_u64_e32 v[8:9], s[4:5], v[6:7]
	v_lshl_add_u64 v[6:7], v[8:9], 2, s[44:45]
	s_delay_alu instid0(VALU_DEP_1) | instskip(SKIP_4) | instid1(VALU_DEP_2)
	v_add_nc_u64_e32 v[6:7], v[6:7], v[0:1]
	global_load_b128 v[6:9], v[6:7], off
	s_wait_loadcnt 0x0
	v_fma_mixlo_f16 v1, s10, v6, 0
	v_mov_b32_e32 v6, v9
	v_and_b32_e32 v1, 0xffff, v1
	s_delay_alu instid0(VALU_DEP_2) | instskip(NEXT) | instid1(VALU_DEP_1)
	v_pk_mul_f32 v[6:7], s[10:11], v[6:7] op_sel_hi:[0,1]
	v_cvt_pk_f16_f32 v3, v6, v7
	v_fma_mixlo_f16 v6, s10, v8, 0
	v_mad_u32_u24 v8, 0x90, v39, v5
	s_delay_alu instid0(VALU_DEP_3) | instskip(NEXT) | instid1(VALU_DEP_3)
	v_and_b32_e32 v7, 0xffff0000, v3
	v_and_b32_e32 v6, 0xffff, v6
	s_delay_alu instid0(VALU_DEP_2) | instskip(NEXT) | instid1(VALU_DEP_1)
	v_dual_lshlrev_b32 v3, 16, v3 :: v_dual_bitop2_b32 v1, v7, v1 bitop3:0x54
	v_or3_b32 v7, v3, v6, 0
	s_delay_alu instid0(VALU_DEP_2)
	v_or3_b32 v6, 0, 0, v1
	ds_store_b64 v8, v[6:7]
	s_or_b32 exec_lo, exec_lo, s19
	v_or_b32_e32 v38, 4, v2
	s_and_saveexec_b32 s19, s2
	s_cbranch_execz .LBB33_7
.LBB33_18:
	s_delay_alu instid0(VALU_DEP_1) | instskip(NEXT) | instid1(VALU_DEP_1)
	v_dual_lshrrev_b32 v1, 1, v38 :: v_dual_mov_b32 v7, 0
	v_add_nc_u32_e32 v6, s33, v1
	s_delay_alu instid0(VALU_DEP_1) | instskip(NEXT) | instid1(VALU_DEP_1)
	v_mul_u64_e32 v[8:9], s[8:9], v[6:7]
	v_add_nc_u32_e32 v1, v6, v9
	s_delay_alu instid0(VALU_DEP_1) | instskip(NEXT) | instid1(VALU_DEP_1)
	v_lshrrev_b32_e32 v1, s29, v1
	v_mul_lo_u32 v1, v1, s30
	s_delay_alu instid0(VALU_DEP_1) | instskip(NEXT) | instid1(VALU_DEP_1)
	v_dual_mov_b32 v1, v7 :: v_dual_sub_nc_u32 v6, v6, v1
	v_mul_u64_e32 v[8:9], s[4:5], v[6:7]
	s_delay_alu instid0(VALU_DEP_1) | instskip(NEXT) | instid1(VALU_DEP_1)
	v_lshl_add_u64 v[6:7], v[8:9], 2, s[6:7]
	v_add_nc_u64_e32 v[6:7], v[6:7], v[0:1]
	global_load_b128 v[6:9], v[6:7], off
	s_wait_loadcnt 0x0
	v_fma_mixlo_f16 v1, s10, v6, 0
	v_mov_b32_e32 v6, v9
	s_delay_alu instid0(VALU_DEP_2) | instskip(NEXT) | instid1(VALU_DEP_2)
	v_and_b32_e32 v1, 0xffff, v1
	v_pk_mul_f32 v[6:7], s[10:11], v[6:7] op_sel_hi:[0,1]
	s_delay_alu instid0(VALU_DEP_1) | instskip(SKIP_2) | instid1(VALU_DEP_3)
	v_cvt_pk_f16_f32 v3, v6, v7
	v_fma_mixlo_f16 v6, s10, v8, 0
	v_mad_u32_u24 v8, 0x90, v38, v5
	v_and_b32_e32 v7, 0xffff0000, v3
	s_delay_alu instid0(VALU_DEP_3) | instskip(NEXT) | instid1(VALU_DEP_2)
	v_and_b32_e32 v6, 0xffff, v6
	v_dual_lshlrev_b32 v3, 16, v3 :: v_dual_bitop2_b32 v1, v7, v1 bitop3:0x54
	s_delay_alu instid0(VALU_DEP_1) | instskip(NEXT) | instid1(VALU_DEP_2)
	v_or3_b32 v7, v3, v6, 0
	v_or3_b32 v6, 0, 0, v1
	ds_store_b64 v8, v[6:7]
	s_or_b32 exec_lo, exec_lo, s19
	v_or_b32_e32 v37, 5, v2
	s_and_saveexec_b32 s19, s2
	s_cbranch_execz .LBB33_8
.LBB33_19:
	s_delay_alu instid0(VALU_DEP_1) | instskip(SKIP_1) | instid1(SALU_CYCLE_1)
	v_dual_lshrrev_b32 v1, 1, v37 :: v_dual_mov_b32 v7, 0
	s_lshl_b64 s[44:45], s[12:13], 2
	s_add_nc_u64 s[44:45], s[6:7], s[44:45]
	s_delay_alu instid0(VALU_DEP_1) | instskip(NEXT) | instid1(VALU_DEP_1)
	v_add_nc_u32_e32 v6, s33, v1
	v_mul_u64_e32 v[8:9], s[8:9], v[6:7]
	s_delay_alu instid0(VALU_DEP_1) | instskip(NEXT) | instid1(VALU_DEP_1)
	v_add_nc_u32_e32 v1, v6, v9
	v_lshrrev_b32_e32 v1, s29, v1
	s_delay_alu instid0(VALU_DEP_1) | instskip(NEXT) | instid1(VALU_DEP_1)
	v_mul_lo_u32 v1, v1, s30
	v_dual_mov_b32 v1, v7 :: v_dual_sub_nc_u32 v6, v6, v1
	s_delay_alu instid0(VALU_DEP_1) | instskip(NEXT) | instid1(VALU_DEP_1)
	v_mul_u64_e32 v[8:9], s[4:5], v[6:7]
	v_lshl_add_u64 v[6:7], v[8:9], 2, s[44:45]
	s_delay_alu instid0(VALU_DEP_1) | instskip(SKIP_4) | instid1(VALU_DEP_2)
	v_add_nc_u64_e32 v[6:7], v[6:7], v[0:1]
	global_load_b128 v[6:9], v[6:7], off
	s_wait_loadcnt 0x0
	v_fma_mixlo_f16 v1, s10, v6, 0
	v_mov_b32_e32 v6, v9
	v_and_b32_e32 v1, 0xffff, v1
	s_delay_alu instid0(VALU_DEP_2) | instskip(NEXT) | instid1(VALU_DEP_1)
	v_pk_mul_f32 v[6:7], s[10:11], v[6:7] op_sel_hi:[0,1]
	v_cvt_pk_f16_f32 v3, v6, v7
	v_fma_mixlo_f16 v6, s10, v8, 0
	v_mad_u32_u24 v8, 0x90, v37, v5
	s_delay_alu instid0(VALU_DEP_3) | instskip(NEXT) | instid1(VALU_DEP_3)
	v_and_b32_e32 v7, 0xffff0000, v3
	v_and_b32_e32 v6, 0xffff, v6
	s_delay_alu instid0(VALU_DEP_2) | instskip(NEXT) | instid1(VALU_DEP_1)
	v_dual_lshlrev_b32 v3, 16, v3 :: v_dual_bitop2_b32 v1, v7, v1 bitop3:0x54
	v_or3_b32 v7, v3, v6, 0
	s_delay_alu instid0(VALU_DEP_2)
	v_or3_b32 v6, 0, 0, v1
	ds_store_b64 v8, v[6:7]
	s_or_b32 exec_lo, exec_lo, s19
	v_or_b32_e32 v36, 6, v2
	s_and_saveexec_b32 s19, s2
	s_cbranch_execz .LBB33_9
.LBB33_20:
	s_delay_alu instid0(VALU_DEP_1) | instskip(NEXT) | instid1(VALU_DEP_1)
	v_dual_lshrrev_b32 v1, 1, v36 :: v_dual_mov_b32 v7, 0
	v_add_nc_u32_e32 v6, s33, v1
	s_delay_alu instid0(VALU_DEP_1) | instskip(NEXT) | instid1(VALU_DEP_1)
	v_mul_u64_e32 v[8:9], s[8:9], v[6:7]
	v_add_nc_u32_e32 v1, v6, v9
	s_delay_alu instid0(VALU_DEP_1) | instskip(NEXT) | instid1(VALU_DEP_1)
	v_lshrrev_b32_e32 v1, s29, v1
	v_mul_lo_u32 v1, v1, s30
	s_delay_alu instid0(VALU_DEP_1) | instskip(NEXT) | instid1(VALU_DEP_1)
	v_dual_mov_b32 v1, v7 :: v_dual_sub_nc_u32 v6, v6, v1
	v_mul_u64_e32 v[8:9], s[4:5], v[6:7]
	s_delay_alu instid0(VALU_DEP_1) | instskip(NEXT) | instid1(VALU_DEP_1)
	v_lshl_add_u64 v[6:7], v[8:9], 2, s[6:7]
	v_add_nc_u64_e32 v[6:7], v[6:7], v[0:1]
	global_load_b128 v[6:9], v[6:7], off
	s_wait_loadcnt 0x0
	v_fma_mixlo_f16 v1, s10, v6, 0
	v_mov_b32_e32 v6, v9
	s_delay_alu instid0(VALU_DEP_2) | instskip(NEXT) | instid1(VALU_DEP_2)
	v_and_b32_e32 v1, 0xffff, v1
	v_pk_mul_f32 v[6:7], s[10:11], v[6:7] op_sel_hi:[0,1]
	s_delay_alu instid0(VALU_DEP_1) | instskip(SKIP_2) | instid1(VALU_DEP_3)
	v_cvt_pk_f16_f32 v3, v6, v7
	v_fma_mixlo_f16 v6, s10, v8, 0
	v_mad_u32_u24 v8, 0x90, v36, v5
	v_and_b32_e32 v7, 0xffff0000, v3
	s_delay_alu instid0(VALU_DEP_3) | instskip(NEXT) | instid1(VALU_DEP_2)
	v_and_b32_e32 v6, 0xffff, v6
	v_dual_lshlrev_b32 v3, 16, v3 :: v_dual_bitop2_b32 v1, v7, v1 bitop3:0x54
	s_delay_alu instid0(VALU_DEP_1) | instskip(NEXT) | instid1(VALU_DEP_2)
	v_or3_b32 v7, v3, v6, 0
	v_or3_b32 v6, 0, 0, v1
	ds_store_b64 v8, v[6:7]
	s_or_b32 exec_lo, exec_lo, s19
	v_or_b32_e32 v35, 7, v2
	s_and_saveexec_b32 s19, s2
	s_cbranch_execnz .LBB33_10
	s_branch .LBB33_11
.LBB33_21:
                                        ; implicit-def: $vgpr8
                                        ; implicit-def: $vgpr43
                                        ; implicit-def: $vgpr49
                                        ; implicit-def: $vgpr47
                                        ; implicit-def: $vgpr46
                                        ; implicit-def: $vgpr45
                                        ; implicit-def: $vgpr44
	v_lshlrev_b32_e32 v42, 2, v4
.LBB33_22:
	s_delay_alu instid0(VALU_DEP_1) | instskip(SKIP_3) | instid1(VALU_DEP_4)
	v_dual_mov_b32 v13, 0 :: v_dual_add_nc_u32 v12, s33, v42
	v_dual_lshrrev_b32 v2, 3, v41 :: v_dual_lshlrev_b32 v6, 4, v41
	v_mov_b32_e32 v79, 0xfeffffff
	v_lshl_add_u32 v52, v4, 9, 0x38e0
	v_mul_u64_e32 v[0:1], s[8:9], v[12:13]
	v_xor_b32_e32 v47, 8, v48
	v_and_b32_e32 v0, 28, v34
	v_dual_add_nc_u32 v15, v2, v42 :: v_dual_bitop2_b32 v46, 4, v48 bitop3:0x14
	v_dual_mov_b32 v3, v13 :: v_dual_bitop2_b32 v44, 1, v48 bitop3:0x14
	v_add_nc_u32_e32 v2, 1, v12
	v_lshl_add_u32 v14, v4, 5, v41
	v_mul_u32_u24_e32 v51, 0x480, v4
	v_dual_mov_b32 v64, v13 :: v_dual_add_nc_u32 v53, 0x2400, v5
	v_dual_mov_b32 v5, v13 :: v_dual_lshlrev_b32 v16, 2, v0
	v_dual_add_nc_u32 v4, 2, v12 :: v_dual_add_nc_u32 v56, v52, v6
	v_mov_b32_e32 v63, v13
	v_mul_u64_e32 v[6:7], s[8:9], v[2:3]
	s_ashr_i32 s46, s11, 31
	s_delay_alu instid0(VALU_DEP_3)
	v_mul_u64_e32 v[8:9], s[8:9], v[4:5]
	s_clause 0x2
	s_load_b64 s[10:11], s[0:1], 0x8c
	s_load_b128 s[4:7], s[0:1], 0x98
	s_load_b64 s[18:19], s[0:1], 0xa8
	s_mul_f32 s23, s37, 0x4f7ffffe
	s_sub_co_i32 s28, 0, s35
	v_mul_u32_u24_e32 v3, 0xa0, v15
	s_ashr_i32 s44, s34, 31
	s_cvt_u32_f32 s23, s23
	s_abs_i32 s12, s34
	s_mov_b32 s13, s9
	s_mov_b32 s45, s9
	s_mul_i32 s28, s28, s23
	s_xor_b32 s46, s44, s46
	v_mul_u32_u24_e32 v5, 0x90, v15
	v_dual_add_nc_u32 v1, v12, v1 :: v_dual_bitop2_b32 v45, 2, v48 bitop3:0x14
	v_mov_b32_e32 v75, v13
	v_add3_u32 v57, v3, v16, 0x2400
	s_delay_alu instid0(VALU_DEP_4) | instskip(NEXT) | instid1(VALU_DEP_4)
	v_add3_u32 v58, v5, v16, 0x2400
	v_lshrrev_b32_e32 v1, s29, v1
	s_ashr_i32 s3, s3, 1
	s_ashr_i32 s37, s36, 31
	s_movk_i32 s47, 0x2480
	s_movk_i32 s48, 0x90
	v_mul_lo_u32 v1, v1, s30
	v_mov_b32_e32 v71, v13
	s_wait_kmcnt 0x0
	s_mul_u64 s[4:5], s[4:5], s[36:37]
	v_mul_u32_u24_e32 v50, 0xa0, v41
	v_dual_mov_b32 v43, 32 :: v_dual_bitop2_b32 v49, 16, v48 bitop3:0x14
	v_cmp_gt_u32_e32 vcc_lo, 32, v14
	v_add_nc_u32_e32 v3, v2, v7
	v_mad_u32_u24 v54, 0xa0, v14, s47
	v_dual_mov_b32 v72, v13 :: v_dual_add_nc_u32 v5, v4, v9
	v_dual_sub_nc_u32 v1, v12, v1 :: v_dual_add_nc_u32 v12, 3, v12
	s_delay_alu instid0(VALU_DEP_4) | instskip(SKIP_2) | instid1(VALU_DEP_4)
	v_lshrrev_b32_e32 v3, s29, v3
	v_mad_u32_u24 v55, v14, s48, 0x2480
	v_dual_mov_b32 v66, v13 :: v_dual_mov_b32 v65, v13
	v_mul_u64_e32 v[10:11], s[8:9], v[12:13]
	s_mul_hi_u32 s8, s23, s28
	s_ashr_i32 s28, s6, 2
	s_add_co_i32 s44, s23, s8
	v_mul_lo_u32 v26, s28, v14
	s_mul_u64 s[8:9], s[12:13], s[44:45]
	s_ashr_i32 s44, s10, 2
	v_mul_lo_u32 v3, v3, s30
	v_mul_lo_u32 v24, s44, v14
	s_mul_i32 s8, s9, s35
	s_add_co_i32 s23, s9, 1
	s_sub_co_i32 s8, s12, s8
	v_mul_lo_u32 v22, s44, v15
	s_sub_co_i32 s6, s8, s35
	s_cmp_ge_u32 s8, s35
	v_mul_lo_u32 v28, s28, v15
	s_cselect_b32 s9, s23, s9
	s_cselect_b32 s6, s6, s8
	v_dual_ashrrev_i32 v27, 31, v26 :: v_dual_sub_nc_u32 v2, v2, v3
	s_add_co_i32 s8, s9, 1
	s_cmp_ge_u32 s6, s35
	v_mul_lo_u32 v59, v1, s3
	s_cselect_b32 s6, s8, s9
	v_mul_lo_u32 v60, v2, s3
	s_xor_b32 s6, s6, s46
	s_mul_u64 s[12:13], s[18:19], s[36:37]
	s_sub_co_i32 s8, s6, s46
	v_dual_mov_b32 v68, v13 :: v_dual_mov_b32 v67, v13
	v_lshrrev_b32_e32 v5, s29, v5
	s_mul_i32 s6, s8, s11
	v_add_nc_u32_e32 v6, v12, v11
	s_mul_i32 s8, s8, s7
	v_dual_mov_b32 v70, v13 :: v_dual_mov_b32 v69, v13
	v_mul_lo_u32 v5, v5, s30
	s_delay_alu instid0(VALU_DEP_3) | instskip(SKIP_2) | instid1(VALU_DEP_3)
	v_dual_lshrrev_b32 v6, s29, v6 :: v_dual_ashrrev_i32 v25, 31, v24
	v_dual_mov_b32 v74, v13 :: v_dual_mov_b32 v73, v13
	v_dual_ashrrev_i32 v23, 31, v22 :: v_dual_ashrrev_i32 v29, 31, v28
	v_mul_lo_u32 v6, v6, s30
	v_dual_mov_b32 v78, v13 :: v_dual_mov_b32 v77, v13
	v_dual_mov_b32 v80, 0xfeffffff :: v_dual_mov_b32 v81, 0xfeffffff
	v_dual_mov_b32 v20, v13 :: v_dual_sub_nc_u32 v3, v4, v5
	v_dual_mov_b32 v21, v13 :: v_dual_mov_b32 v76, v13
	v_dual_mov_b32 v18, v13 :: v_dual_mov_b32 v19, v13
	v_dual_sub_nc_u32 v4, v12, v6 :: v_dual_lshlrev_b32 v12, 2, v0
	s_delay_alu instid0(VALU_DEP_4) | instskip(SKIP_1) | instid1(VALU_DEP_3)
	v_mul_lo_u32 v61, v3, s3
	v_dual_mov_b32 v16, v13 :: v_dual_mov_b32 v17, v13
	v_mul_lo_u32 v62, v4, s3
	v_dual_mov_b32 v14, v13 :: v_dual_mov_b32 v15, v13
	v_dual_mov_b32 v82, 0xfeffffff :: v_dual_mov_b32 v83, 0xfeffffff
	;; [unrolled: 1-line block ×3, first 2 shown]
	v_mov_b32_e32 v86, 0xfeffffff
	s_add_nc_u64 s[4:5], s[14:15], s[4:5]
	s_add_nc_u64 s[12:13], s[16:17], s[12:13]
	s_ashr_i32 s7, s6, 31
	s_ashr_i32 s9, s8, 31
	s_add_nc_u64 s[42:43], s[0:1], 0xd0
	s_ashr_i32 s45, s44, 31
	s_ashr_i32 s29, s28, 31
	s_add_nc_u64 s[46:47], s[4:5], s[6:7]
	s_add_nc_u64 s[48:49], s[12:13], s[8:9]
.LBB33_23:                              ; =>This Inner Loop Header: Depth=1
	s_ashr_i32 s23, s22, 31
	s_delay_alu instid0(SALU_CYCLE_1) | instskip(NEXT) | instid1(SALU_CYCLE_1)
	s_mul_u64 s[4:5], s[22:23], s[44:45]
	s_lshl_b64 s[4:5], s[4:5], 2
	s_delay_alu instid0(SALU_CYCLE_1)
	s_add_nc_u64 s[4:5], s[46:47], s[4:5]
	s_and_saveexec_b32 s3, vcc_lo
	s_cbranch_execz .LBB33_25
; %bb.24:                               ;   in Loop: Header=BB33_23 Depth=1
	v_lshl_add_u64 v[0:1], v[24:25], 2, s[4:5]
	global_load_b128 v[0:3], v[0:1], off offset:128
	s_wait_loadcnt 0x0
	ds_store_b128 v54, v[0:3]
.LBB33_25:                              ;   in Loop: Header=BB33_23 Depth=1
	s_or_b32 exec_lo, exec_lo, s3
	v_lshl_add_u64 v[0:1], v[22:23], 2, s[4:5]
	v_dual_mov_b32 v30, 0 :: v_dual_mov_b32 v31, 0
	v_dual_mov_b32 v32, 0 :: v_dual_mov_b32 v33, 0
	s_delay_alu instid0(VALU_DEP_3)
	v_add_nc_u64_e32 v[0:1], v[0:1], v[12:13]
	v_dual_mov_b32 v87, 0 :: v_dual_mov_b32 v88, 0
	v_dual_mov_b32 v89, 0 :: v_dual_mov_b32 v90, 0
	v_add_nc_u32_e32 v91, s22, v41
	v_cmp_gt_i32_e64 s3, 32, v49
	global_load_b128 v[0:3], v[0:1], off
	s_mul_u64 s[4:5], s[22:23], s[28:29]
	s_delay_alu instid0(SALU_CYCLE_1) | instskip(NEXT) | instid1(SALU_CYCLE_1)
	s_lshl_b64 s[4:5], s[4:5], 2
	s_add_nc_u64 s[4:5], s[48:49], s[4:5]
	s_wait_loadcnt 0x0
	ds_store_b128 v57, v[0:3]
	s_wait_dscnt 0x0
	s_barrier_signal -1
	s_barrier_wait -1
	ds_load_b128 v[0:3], v50 offset:9216
	ds_load_b128 v[4:7], v51
	ds_load_b128 v[8:11], v51 offset:144
	ds_load_b128 v[92:95], v51 offset:288
	;; [unrolled: 1-line block ×7, first 2 shown]
	s_wait_dscnt 0x7
	;;#ASMSTART
	v_dot2_f32_f16 v30, v0, v4, v30
	;;#ASMEND
	;;#ASMSTART
	v_dot2_f32_f16 v30, v1, v5, v30
	;;#ASMEND
	;;#ASMSTART
	v_dot2_f32_f16 v30, v2, v6, v30
	;;#ASMEND
	;;#ASMSTART
	v_dot2_f32_f16 v30, v3, v7, v30
	;;#ASMEND
	s_wait_dscnt 0x6
	;;#ASMSTART
	v_dot2_f32_f16 v31, v0, v8, v31
	;;#ASMEND
	;;#ASMSTART
	v_dot2_f32_f16 v31, v1, v9, v31
	;;#ASMEND
	;;#ASMSTART
	v_dot2_f32_f16 v31, v2, v10, v31
	;;#ASMEND
	;;#ASMSTART
	v_dot2_f32_f16 v31, v3, v11, v31
	;;#ASMEND
	;; [unrolled: 13-line block ×8, first 2 shown]
	ds_load_b128 v[0:3], v50 offset:9232
	ds_load_b128 v[4:7], v51 offset:16
	;; [unrolled: 1-line block ×9, first 2 shown]
	s_wait_dscnt 0x7
	;;#ASMSTART
	v_dot2_f32_f16 v30, v0, v4, v30
	;;#ASMEND
	;;#ASMSTART
	v_dot2_f32_f16 v30, v1, v5, v30
	;;#ASMEND
	;;#ASMSTART
	v_dot2_f32_f16 v30, v2, v6, v30
	;;#ASMEND
	;;#ASMSTART
	v_dot2_f32_f16 v30, v3, v7, v30
	;;#ASMEND
	s_wait_dscnt 0x6
	;;#ASMSTART
	v_dot2_f32_f16 v31, v0, v8, v31
	;;#ASMEND
	;;#ASMSTART
	v_dot2_f32_f16 v31, v1, v9, v31
	;;#ASMEND
	;;#ASMSTART
	v_dot2_f32_f16 v31, v2, v10, v31
	;;#ASMEND
	;;#ASMSTART
	v_dot2_f32_f16 v31, v3, v11, v31
	;;#ASMEND
	;; [unrolled: 13-line block ×8, first 2 shown]
	ds_load_b128 v[0:3], v50 offset:9248
	ds_load_b128 v[4:7], v51 offset:32
	;; [unrolled: 1-line block ×9, first 2 shown]
	s_wait_dscnt 0x7
	;;#ASMSTART
	v_dot2_f32_f16 v30, v0, v4, v30
	;;#ASMEND
	;;#ASMSTART
	v_dot2_f32_f16 v30, v1, v5, v30
	;;#ASMEND
	;;#ASMSTART
	v_dot2_f32_f16 v30, v2, v6, v30
	;;#ASMEND
	;;#ASMSTART
	v_dot2_f32_f16 v30, v3, v7, v30
	;;#ASMEND
	s_wait_dscnt 0x6
	;;#ASMSTART
	v_dot2_f32_f16 v31, v0, v8, v31
	;;#ASMEND
	;;#ASMSTART
	v_dot2_f32_f16 v31, v1, v9, v31
	;;#ASMEND
	;;#ASMSTART
	v_dot2_f32_f16 v31, v2, v10, v31
	;;#ASMEND
	;;#ASMSTART
	v_dot2_f32_f16 v31, v3, v11, v31
	;;#ASMEND
	;; [unrolled: 13-line block ×8, first 2 shown]
	ds_load_b128 v[0:3], v50 offset:9264
	ds_load_b128 v[4:7], v51 offset:48
	;; [unrolled: 1-line block ×9, first 2 shown]
	s_wait_dscnt 0x7
	;;#ASMSTART
	v_dot2_f32_f16 v30, v0, v4, v30
	;;#ASMEND
	;;#ASMSTART
	v_dot2_f32_f16 v30, v1, v5, v30
	;;#ASMEND
	;;#ASMSTART
	v_dot2_f32_f16 v30, v2, v6, v30
	;;#ASMEND
	;;#ASMSTART
	v_dot2_f32_f16 v30, v3, v7, v30
	;;#ASMEND
	s_wait_dscnt 0x6
	;;#ASMSTART
	v_dot2_f32_f16 v31, v0, v8, v31
	;;#ASMEND
	;;#ASMSTART
	v_dot2_f32_f16 v31, v1, v9, v31
	;;#ASMEND
	;;#ASMSTART
	v_dot2_f32_f16 v31, v2, v10, v31
	;;#ASMEND
	;;#ASMSTART
	v_dot2_f32_f16 v31, v3, v11, v31
	;;#ASMEND
	s_wait_dscnt 0x5
	;;#ASMSTART
	v_dot2_f32_f16 v32, v0, v92, v32
	;;#ASMEND
	;;#ASMSTART
	v_dot2_f32_f16 v32, v1, v93, v32
	;;#ASMEND
	;;#ASMSTART
	v_dot2_f32_f16 v32, v2, v94, v32
	;;#ASMEND
	;;#ASMSTART
	v_dot2_f32_f16 v32, v3, v95, v32
	;;#ASMEND
	s_wait_dscnt 0x4
	;;#ASMSTART
	v_dot2_f32_f16 v33, v0, v96, v33
	;;#ASMEND
	;;#ASMSTART
	v_dot2_f32_f16 v33, v1, v97, v33
	;;#ASMEND
	;;#ASMSTART
	v_dot2_f32_f16 v33, v2, v98, v33
	;;#ASMEND
	;;#ASMSTART
	v_dot2_f32_f16 v33, v3, v99, v33
	;;#ASMEND
	s_wait_dscnt 0x3
	;;#ASMSTART
	v_dot2_f32_f16 v87, v0, v100, v87
	;;#ASMEND
	;;#ASMSTART
	v_dot2_f32_f16 v87, v1, v101, v87
	;;#ASMEND
	;;#ASMSTART
	v_dot2_f32_f16 v87, v2, v102, v87
	;;#ASMEND
	;;#ASMSTART
	v_dot2_f32_f16 v87, v3, v103, v87
	;;#ASMEND
	s_wait_dscnt 0x2
	;;#ASMSTART
	v_dot2_f32_f16 v88, v0, v104, v88
	;;#ASMEND
	;;#ASMSTART
	v_dot2_f32_f16 v88, v1, v105, v88
	;;#ASMEND
	;;#ASMSTART
	v_dot2_f32_f16 v88, v2, v106, v88
	;;#ASMEND
	;;#ASMSTART
	v_dot2_f32_f16 v88, v3, v107, v88
	;;#ASMEND
	s_wait_dscnt 0x1
	;;#ASMSTART
	v_dot2_f32_f16 v89, v0, v108, v89
	;;#ASMEND
	;;#ASMSTART
	v_dot2_f32_f16 v89, v1, v109, v89
	;;#ASMEND
	;;#ASMSTART
	v_dot2_f32_f16 v89, v2, v110, v89
	;;#ASMEND
	;;#ASMSTART
	v_dot2_f32_f16 v89, v3, v111, v89
	;;#ASMEND
	s_wait_dscnt 0x0
	;;#ASMSTART
	v_dot2_f32_f16 v90, v0, v112, v90
	;;#ASMEND
	;;#ASMSTART
	v_dot2_f32_f16 v90, v1, v113, v90
	;;#ASMEND
	;;#ASMSTART
	v_dot2_f32_f16 v90, v2, v114, v90
	;;#ASMEND
	;;#ASMSTART
	v_dot2_f32_f16 v90, v3, v115, v90
	;;#ASMEND
	ds_load_b128 v[0:3], v50 offset:9280
	ds_load_b128 v[4:7], v51 offset:64
	ds_load_b128 v[8:11], v51 offset:208
	ds_load_b128 v[92:95], v51 offset:352
	ds_load_b128 v[96:99], v51 offset:496
	ds_load_b128 v[100:103], v51 offset:640
	ds_load_b128 v[104:107], v51 offset:784
	ds_load_b128 v[108:111], v51 offset:928
	ds_load_b128 v[112:115], v51 offset:1072
	s_wait_dscnt 0x7
	;;#ASMSTART
	v_dot2_f32_f16 v30, v0, v4, v30
	;;#ASMEND
	;;#ASMSTART
	v_dot2_f32_f16 v30, v1, v5, v30
	;;#ASMEND
	;;#ASMSTART
	v_dot2_f32_f16 v30, v2, v6, v30
	;;#ASMEND
	;;#ASMSTART
	v_dot2_f32_f16 v30, v3, v7, v30
	;;#ASMEND
	s_wait_dscnt 0x6
	;;#ASMSTART
	v_dot2_f32_f16 v31, v0, v8, v31
	;;#ASMEND
	;;#ASMSTART
	v_dot2_f32_f16 v31, v1, v9, v31
	;;#ASMEND
	;;#ASMSTART
	v_dot2_f32_f16 v31, v2, v10, v31
	;;#ASMEND
	;;#ASMSTART
	v_dot2_f32_f16 v31, v3, v11, v31
	;;#ASMEND
	;; [unrolled: 13-line block ×8, first 2 shown]
	ds_load_b128 v[0:3], v50 offset:9296
	ds_load_b128 v[4:7], v51 offset:80
	;; [unrolled: 1-line block ×9, first 2 shown]
	s_wait_dscnt 0x7
	;;#ASMSTART
	v_dot2_f32_f16 v30, v0, v4, v30
	;;#ASMEND
	;;#ASMSTART
	v_dot2_f32_f16 v30, v1, v5, v30
	;;#ASMEND
	;;#ASMSTART
	v_dot2_f32_f16 v30, v2, v6, v30
	;;#ASMEND
	;;#ASMSTART
	v_dot2_f32_f16 v30, v3, v7, v30
	;;#ASMEND
	s_wait_dscnt 0x6
	;;#ASMSTART
	v_dot2_f32_f16 v31, v0, v8, v31
	;;#ASMEND
	;;#ASMSTART
	v_dot2_f32_f16 v31, v1, v9, v31
	;;#ASMEND
	;;#ASMSTART
	v_dot2_f32_f16 v31, v2, v10, v31
	;;#ASMEND
	;;#ASMSTART
	v_dot2_f32_f16 v31, v3, v11, v31
	;;#ASMEND
	;; [unrolled: 13-line block ×8, first 2 shown]
	ds_load_b128 v[0:3], v50 offset:9312
	ds_load_b128 v[4:7], v51 offset:96
	;; [unrolled: 1-line block ×9, first 2 shown]
	s_wait_dscnt 0x7
	;;#ASMSTART
	v_dot2_f32_f16 v30, v0, v4, v30
	;;#ASMEND
	;;#ASMSTART
	v_dot2_f32_f16 v30, v1, v5, v30
	;;#ASMEND
	;;#ASMSTART
	v_dot2_f32_f16 v30, v2, v6, v30
	;;#ASMEND
	;;#ASMSTART
	v_dot2_f32_f16 v30, v3, v7, v30
	;;#ASMEND
	s_wait_dscnt 0x6
	;;#ASMSTART
	v_dot2_f32_f16 v31, v0, v8, v31
	;;#ASMEND
	;;#ASMSTART
	v_dot2_f32_f16 v31, v1, v9, v31
	;;#ASMEND
	;;#ASMSTART
	v_dot2_f32_f16 v31, v2, v10, v31
	;;#ASMEND
	;;#ASMSTART
	v_dot2_f32_f16 v31, v3, v11, v31
	;;#ASMEND
	;; [unrolled: 13-line block ×8, first 2 shown]
	ds_load_b128 v[0:3], v50 offset:9328
	ds_load_b128 v[4:7], v51 offset:112
	;; [unrolled: 1-line block ×9, first 2 shown]
	s_wait_dscnt 0x7
	;;#ASMSTART
	v_dot2_f32_f16 v30, v0, v4, v30
	;;#ASMEND
	;;#ASMSTART
	v_dot2_f32_f16 v30, v1, v5, v30
	;;#ASMEND
	;;#ASMSTART
	v_dot2_f32_f16 v30, v2, v6, v30
	;;#ASMEND
	;;#ASMSTART
	v_dot2_f32_f16 v30, v3, v7, v30
	;;#ASMEND
	s_wait_dscnt 0x6
	;;#ASMSTART
	v_dot2_f32_f16 v31, v0, v8, v31
	;;#ASMEND
	;;#ASMSTART
	v_dot2_f32_f16 v31, v1, v9, v31
	;;#ASMEND
	;;#ASMSTART
	v_dot2_f32_f16 v31, v2, v10, v31
	;;#ASMEND
	;;#ASMSTART
	v_dot2_f32_f16 v31, v3, v11, v31
	;;#ASMEND
	;; [unrolled: 13-line block ×8, first 2 shown]
	ds_load_b128 v[0:3], v50 offset:9344
	ds_load_b128 v[4:7], v51 offset:128
	;; [unrolled: 1-line block ×9, first 2 shown]
	s_wait_dscnt 0x7
	;;#ASMSTART
	v_dot2_f32_f16 v30, v0, v4, v30
	;;#ASMEND
	;;#ASMSTART
	v_dot2_f32_f16 v30, v1, v5, v30
	;;#ASMEND
	;;#ASMSTART
	v_dot2_f32_f16 v30, v2, v6, v30
	;;#ASMEND
	;;#ASMSTART
	v_dot2_f32_f16 v30, v3, v7, v30
	;;#ASMEND
	s_wait_dscnt 0x6
	;;#ASMSTART
	v_dot2_f32_f16 v31, v0, v8, v31
	;;#ASMEND
	;;#ASMSTART
	v_dot2_f32_f16 v31, v1, v9, v31
	;;#ASMEND
	;;#ASMSTART
	v_dot2_f32_f16 v31, v2, v10, v31
	;;#ASMEND
	;;#ASMSTART
	v_dot2_f32_f16 v31, v3, v11, v31
	;;#ASMEND
	;; [unrolled: 13-line block ×6, first 2 shown]
	s_wait_dscnt 0x1
	;;#ASMSTART
	v_dot2_f32_f16 v89, v0, v108, v89
	;;#ASMEND
	;;#ASMSTART
	v_dot2_f32_f16 v89, v1, v109, v89
	;;#ASMEND
	v_max_num_f32_e32 v5, v79, v79
	v_dual_add_nc_u32 v116, v91, v59 :: v_dual_add_nc_u32 v117, v91, v60
	;;#ASMSTART
	v_dot2_f32_f16 v89, v2, v110, v89
	;;#ASMEND
	v_dual_add_nc_u32 v118, v91, v61 :: v_dual_add_nc_u32 v91, v91, v62
	;;#ASMSTART
	v_dot2_f32_f16 v89, v3, v111, v89
	;;#ASMEND
	s_wait_dscnt 0x0
	;;#ASMSTART
	v_dot2_f32_f16 v90, v0, v112, v90
	;;#ASMEND
	;;#ASMSTART
	v_dot2_f32_f16 v90, v1, v113, v90
	;;#ASMEND
	;;#ASMSTART
	v_dot2_f32_f16 v90, v2, v114, v90
	;;#ASMEND
	;;#ASMSTART
	v_dot2_f32_f16 v90, v3, v115, v90
	;;#ASMEND
	s_clause 0x3
	global_load_u16 v0, v116, s[40:41] scale_offset
	global_load_u16 v1, v117, s[40:41] scale_offset
	;; [unrolled: 1-line block ×4, first 2 shown]
	v_dual_cndmask_b32 v4, v48, v49, s3 :: v_dual_max_num_f32 v8, v82, v82
	v_dual_max_num_f32 v6, v80, v80 :: v_dual_max_num_f32 v7, v81, v81
	v_dual_max_num_f32 v9, v83, v83 :: v_dual_max_num_f32 v10, v84, v84
	s_wait_xcnt 0x0
	v_dual_max_num_f32 v11, v85, v85 :: v_dual_max_num_f32 v91, v86, v86
	v_cmp_gt_i32_e64 s3, 32, v47
	s_wait_loadcnt 0x0
	s_barrier_signal -1
	s_barrier_wait -1
	v_cvt_f32_f16_e32 v0, v0
	v_cvt_f32_f16_e32 v1, v1
	;; [unrolled: 1-line block ×3, first 2 shown]
	v_lshlrev_b32_e32 v4, 2, v4
	v_cvt_f32_f16_e32 v3, v3
	v_dual_add_f32 v30, v30, v0 :: v_dual_add_f32 v31, v31, v0
	v_dual_add_f32 v32, v32, v1 :: v_dual_add_f32 v33, v33, v1
	v_add_f32_e32 v87, v87, v2
	s_delay_alu instid0(VALU_DEP_3) | instskip(SKIP_1) | instid1(VALU_DEP_4)
	v_dual_add_f32 v0, 0x40051340, v30 :: v_dual_add_f32 v1, 0x40051340, v31
	v_dual_add_f32 v88, v88, v2 :: v_dual_add_f32 v89, v89, v3
	;; [unrolled: 1-line block ×3, first 2 shown]
	v_add_f32_e32 v2, 0x40051340, v32
	s_delay_alu instid0(VALU_DEP_3) | instskip(SKIP_1) | instid1(VALU_DEP_4)
	v_dual_add_f32 v92, 0x40051340, v87 :: v_dual_add_f32 v93, 0x40051340, v88
	v_dual_max_num_f32 v0, v5, v0 :: v_dual_max_num_f32 v1, v6, v1
	v_add_f32_e32 v95, 0x40051340, v90
	s_delay_alu instid0(VALU_DEP_3) | instskip(SKIP_3) | instid1(VALU_DEP_2)
	v_dual_max_num_f32 v2, v7, v2 :: v_dual_max_num_f32 v5, v9, v92
	ds_bpermute_b32 v9, v4, v0
	v_dual_add_f32 v94, 0x40051340, v89 :: v_dual_max_num_f32 v3, v8, v3
	v_dual_max_num_f32 v6, v10, v93 :: v_dual_max_num_f32 v8, v91, v95
	v_dual_cndmask_b32 v95, v48, v47, s3 :: v_dual_max_num_f32 v7, v11, v94
	ds_bpermute_b32 v10, v4, v1
	ds_bpermute_b32 v11, v4, v2
	;; [unrolled: 1-line block ×6, first 2 shown]
	v_cmp_gt_i32_e64 s3, 32, v46
	s_wait_dscnt 0x6
	v_dual_max_num_f32 v9, v9, v9 :: v_dual_lshlrev_b32 v95, 2, v95
	ds_bpermute_b32 v4, v4, v8
	s_wait_dscnt 0x5
	v_dual_max_num_f32 v10, v10, v10 :: v_dual_max_num_f32 v11, v11, v11
	s_wait_dscnt 0x4
	v_dual_max_num_f32 v0, v0, v9 :: v_dual_max_num_f32 v91, v91, v91
	;; [unrolled: 2-line block ×3, first 2 shown]
	s_wait_dscnt 0x1
	v_max_num_f32_e32 v94, v94, v94
	v_dual_max_num_f32 v1, v1, v10 :: v_dual_max_num_f32 v2, v2, v11
	s_delay_alu instid0(VALU_DEP_3) | instskip(NEXT) | instid1(VALU_DEP_3)
	v_dual_max_num_f32 v3, v3, v91 :: v_dual_max_num_f32 v5, v5, v92
	v_dual_max_num_f32 v6, v6, v93 :: v_dual_max_num_f32 v7, v7, v94
	ds_bpermute_b32 v9, v95, v1
	ds_bpermute_b32 v10, v95, v2
	s_wait_dscnt 0x2
	v_max_num_f32_e32 v4, v4, v4
	ds_bpermute_b32 v11, v95, v3
	ds_bpermute_b32 v91, v95, v5
	;; [unrolled: 1-line block ×4, first 2 shown]
	v_max_num_f32_e32 v4, v8, v4
	ds_bpermute_b32 v8, v95, v0
	ds_bpermute_b32 v94, v95, v4
	v_cndmask_b32_e64 v95, v48, v46, s3
	v_cmp_gt_i32_e64 s3, 32, v45
	s_wait_dscnt 0x7
	s_delay_alu instid0(VALU_DEP_2) | instskip(SKIP_3) | instid1(VALU_DEP_2)
	v_dual_max_num_f32 v9, v9, v9 :: v_dual_lshlrev_b32 v95, 2, v95
	s_wait_dscnt 0x5
	v_dual_max_num_f32 v10, v10, v10 :: v_dual_max_num_f32 v11, v11, v11
	s_wait_dscnt 0x4
	v_dual_max_num_f32 v91, v91, v91 :: v_dual_max_num_f32 v1, v1, v9
	s_wait_dscnt 0x3
	s_delay_alu instid0(VALU_DEP_2)
	v_dual_max_num_f32 v92, v92, v92 :: v_dual_max_num_f32 v2, v2, v10
	s_wait_dscnt 0x1
	v_dual_max_num_f32 v8, v8, v8 :: v_dual_max_num_f32 v93, v93, v93
	ds_bpermute_b32 v9, v95, v1
	v_dual_max_num_f32 v3, v3, v11 :: v_dual_max_num_f32 v6, v6, v92
	s_wait_dscnt 0x1
	v_dual_max_num_f32 v94, v94, v94 :: v_dual_max_num_f32 v0, v0, v8
	ds_bpermute_b32 v10, v95, v2
	v_dual_max_num_f32 v5, v5, v91 :: v_dual_max_num_f32 v7, v7, v93
	v_max_num_f32_e32 v4, v4, v94
	ds_bpermute_b32 v8, v95, v0
	ds_bpermute_b32 v11, v95, v3
	;; [unrolled: 1-line block ×6, first 2 shown]
	v_cndmask_b32_e64 v95, v48, v45, s3
	v_cmp_gt_i32_e64 s3, 32, v44
	s_wait_dscnt 0x6
	v_dual_max_num_f32 v9, v9, v9 :: v_dual_max_num_f32 v10, v10, v10
	s_delay_alu instid0(VALU_DEP_1) | instskip(SKIP_1) | instid1(VALU_DEP_2)
	v_dual_lshlrev_b32 v95, 2, v95 :: v_dual_max_num_f32 v1, v1, v9
	s_wait_dscnt 0x5
	v_dual_max_num_f32 v8, v8, v8 :: v_dual_max_num_f32 v2, v2, v10
	s_wait_dscnt 0x2
	v_dual_max_num_f32 v11, v11, v11 :: v_dual_max_num_f32 v92, v92, v92
	s_wait_dscnt 0x1
	s_delay_alu instid0(VALU_DEP_2)
	v_dual_max_num_f32 v94, v94, v94 :: v_dual_max_num_f32 v0, v0, v8
	ds_bpermute_b32 v9, v95, v1
	ds_bpermute_b32 v10, v95, v2
	s_wait_dscnt 0x2
	v_dual_max_num_f32 v91, v91, v91 :: v_dual_max_num_f32 v93, v93, v93
	v_max_num_f32_e32 v4, v4, v94
	ds_bpermute_b32 v8, v95, v0
	v_dual_max_num_f32 v3, v3, v11 :: v_dual_max_num_f32 v6, v6, v92
	v_dual_max_num_f32 v5, v5, v91 :: v_dual_max_num_f32 v7, v7, v93
	ds_bpermute_b32 v94, v95, v4
	ds_bpermute_b32 v11, v95, v3
	;; [unrolled: 1-line block ×5, first 2 shown]
	s_wait_dscnt 0x7
	v_dual_cndmask_b32 v95, v48, v44, s3 :: v_dual_max_num_f32 v9, v9, v9
	s_wait_dscnt 0x6
	s_delay_alu instid0(VALU_DEP_1) | instskip(SKIP_1) | instid1(VALU_DEP_2)
	v_dual_max_num_f32 v10, v10, v10 :: v_dual_lshlrev_b32 v95, 2, v95
	s_wait_dscnt 0x5
	v_dual_max_num_f32 v8, v8, v8 :: v_dual_max_num_f32 v1, v1, v9
	s_delay_alu instid0(VALU_DEP_2) | instskip(SKIP_1) | instid1(VALU_DEP_2)
	v_max_num_f32_e32 v2, v2, v10
	s_wait_dscnt 0x4
	v_dual_max_num_f32 v94, v94, v94 :: v_dual_max_num_f32 v0, v0, v8
	s_wait_dscnt 0x2
	v_dual_max_num_f32 v11, v11, v11 :: v_dual_max_num_f32 v92, v92, v92
	;; [unrolled: 2-line block ×3, first 2 shown]
	v_max_num_f32_e32 v8, v4, v94
	ds_bpermute_b32 v4, v95, v0
	v_dual_max_num_f32 v3, v3, v11 :: v_dual_max_num_f32 v6, v6, v92
	v_dual_max_num_f32 v5, v5, v91 :: v_dual_max_num_f32 v7, v7, v93
	ds_bpermute_b32 v9, v95, v1
	ds_bpermute_b32 v10, v95, v2
	;; [unrolled: 1-line block ×6, first 2 shown]
	s_wait_dscnt 0x6
	v_max_num_f32_e32 v4, v4, v4
	ds_bpermute_b32 v94, v95, v8
	s_wait_dscnt 0x5
	v_dual_max_num_f32 v9, v9, v9 :: v_dual_max_num_f32 v10, v10, v10
	s_wait_dscnt 0x4
	v_max_num_f32_e32 v11, v11, v11
	s_wait_dscnt 0x2
	v_dual_max_num_f32 v91, v91, v91 :: v_dual_max_num_f32 v92, v92, v92
	s_wait_dscnt 0x1
	v_dual_max_num_f32 v93, v93, v93 :: v_dual_max_num_f32 v0, v0, v4
	v_dual_max_num_f32 v1, v1, v9 :: v_dual_max_num_f32 v2, v2, v10
	v_max_num_f32_e32 v3, v3, v11
	v_dual_max_num_f32 v4, v5, v91 :: v_dual_max_num_f32 v5, v6, v92
	s_delay_alu instid0(VALU_DEP_4) | instskip(NEXT) | instid1(VALU_DEP_4)
	v_max_num_f32_e32 v6, v7, v93
	v_dual_sub_f32 v9, v31, v1 :: v_dual_sub_f32 v10, v32, v2
	s_wait_dscnt 0x0
	v_dual_sub_f32 v11, v33, v3 :: v_dual_max_num_f32 v94, v94, v94
	s_delay_alu instid0(VALU_DEP_3) | instskip(NEXT) | instid1(VALU_DEP_3)
	v_dual_sub_f32 v31, v88, v5 :: v_dual_sub_f32 v32, v89, v6
	v_dual_mul_f32 v88, 0x3fb8aa3b, v9 :: v_dual_mul_f32 v89, 0x3fb8aa3b, v10
	s_delay_alu instid0(VALU_DEP_3) | instskip(SKIP_1) | instid1(VALU_DEP_4)
	v_dual_max_num_f32 v7, v8, v94 :: v_dual_sub_f32 v8, v30, v0
	v_sub_f32_e32 v30, v87, v4
	v_mul_f32_e32 v92, 0x3fb8aa3b, v31
	s_delay_alu instid0(VALU_DEP_4) | instskip(NEXT) | instid1(VALU_DEP_4)
	v_fma_f32 v97, 0x3fb8aa3b, v9, -v88
	v_sub_f32_e32 v33, v90, v7
	v_dual_mul_f32 v87, 0x3fb8aa3b, v8 :: v_dual_mul_f32 v90, 0x3fb8aa3b, v11
	v_mul_f32_e32 v91, 0x3fb8aa3b, v30
	v_rndne_f32_e32 v98, v88
	s_delay_alu instid0(VALU_DEP_4) | instskip(NEXT) | instid1(VALU_DEP_4)
	v_mul_f32_e32 v94, 0x3fb8aa3b, v33
	v_fma_f32 v95, 0x3fb8aa3b, v8, -v87
	v_rndne_f32_e32 v96, v87
	v_fma_f32 v99, 0x3fb8aa3b, v10, -v89
	v_rndne_f32_e32 v100, v89
	v_rndne_f32_e32 v102, v90
	;; [unrolled: 1-line block ×4, first 2 shown]
	v_fmac_f32_e32 v95, 0x32a5705f, v8
	v_sub_f32_e32 v87, v87, v96
	v_dual_mul_f32 v93, 0x3fb8aa3b, v32 :: v_dual_sub_f32 v88, v88, v98
	v_fma_f32 v101, 0x3fb8aa3b, v11, -v90
	v_rndne_f32_e32 v104, v91
	v_fma_f32 v105, 0x3fb8aa3b, v31, -v92
	v_fma_f32 v109, 0x3fb8aa3b, v33, -v94
	v_dual_fmac_f32 v97, 0x32a5705f, v9 :: v_dual_sub_f32 v94, v94, v110
	v_fmac_f32_e32 v99, 0x32a5705f, v10
	v_sub_f32_e32 v90, v90, v102
	v_dual_sub_f32 v92, v92, v106 :: v_dual_sub_f32 v89, v89, v100
	v_add_f32_e32 v87, v87, v95
	v_fma_f32 v103, 0x3fb8aa3b, v30, -v91
	v_fmac_f32_e32 v109, 0x32a5705f, v33
	v_dual_add_f32 v88, v88, v97 :: v_dual_sub_f32 v91, v91, v104
	v_add_f32_e32 v89, v89, v99
	v_exp_f32_e32 v87, v87
	v_cvt_i32_f32_e32 v96, v96
	v_dual_fmac_f32 v105, 0x32a5705f, v31 :: v_dual_add_f32 v94, v94, v109
	v_fmac_f32_e32 v101, 0x32a5705f, v11
	v_exp_f32_e32 v88, v88
	v_exp_f32_e32 v89, v89
	v_fma_f32 v107, 0x3fb8aa3b, v32, -v93
	v_rndne_f32_e32 v108, v93
	v_cvt_i32_f32_e32 v98, v98
	v_cvt_i32_f32_e32 v100, v100
	v_ldexp_f32 v87, v87, v96
	v_cmp_ngt_f32_e64 s3, 0xc2ce8ed0, v8
	v_dual_add_f32 v92, v92, v105 :: v_dual_fmac_f32 v103, 0x32a5705f, v30
	v_dual_add_f32 v90, v90, v101 :: v_dual_fmac_f32 v107, 0x32a5705f, v32
	v_sub_f32_e32 v93, v93, v108
	v_ldexp_f32 v88, v88, v98
	v_ldexp_f32 v89, v89, v100
	v_cndmask_b32_e64 v87, 0, v87, s3
	v_cmp_ngt_f32_e64 s3, 0xc2ce8ed0, v9
	v_add_f32_e32 v91, v91, v103
	v_exp_f32_e32 v90, v90
	v_cvt_i32_f32_e32 v102, v102
	s_delay_alu instid0(VALU_DEP_3) | instskip(SKIP_3) | instid1(TRANS32_DEP_2)
	v_dual_add_f32 v93, v93, v107 :: v_dual_cndmask_b32 v88, 0, v88, s3
	v_cmp_ngt_f32_e64 s3, 0xc2ce8ed0, v10
	v_exp_f32_e32 v91, v91
	v_cvt_i32_f32_e32 v104, v104
	v_ldexp_f32 v90, v90, v102
	v_exp_f32_e32 v92, v92
	v_cndmask_b32_e64 v89, 0, v89, s3
	v_cmp_ngt_f32_e64 s3, 0xc2ce8ed0, v11
	v_cvt_i32_f32_e32 v106, v106
	v_ldexp_f32 v91, v91, v104
	v_exp_f32_e32 v93, v93
	v_cvt_i32_f32_e32 v108, v108
	v_cndmask_b32_e64 v90, 0, v90, s3
	v_cmp_ngt_f32_e64 s3, 0xc2ce8ed0, v30
	v_ldexp_f32 v92, v92, v106
	v_exp_f32_e32 v94, v94
	v_cvt_i32_f32_e32 v110, v110
	v_ldexp_f32 v93, v93, v108
	v_cndmask_b32_e64 v91, 0, v91, s3
	v_cmp_ngt_f32_e64 s3, 0xc2ce8ed0, v31
	s_delay_alu instid0(TRANS32_DEP_1) | instid1(VALU_DEP_4)
	v_ldexp_f32 v94, v94, v110
	s_delay_alu instid0(VALU_DEP_2) | instskip(SKIP_1) | instid1(VALU_DEP_1)
	v_cndmask_b32_e64 v92, 0, v92, s3
	v_cmp_ngt_f32_e64 s3, 0xc2ce8ed0, v32
	v_cndmask_b32_e64 v93, 0, v93, s3
	v_cmp_ngt_f32_e64 s3, 0xc2ce8ed0, v33
	s_delay_alu instid0(VALU_DEP_1) | instskip(SKIP_1) | instid1(VALU_DEP_1)
	v_cndmask_b32_e64 v94, 0, v94, s3
	v_cmp_nlt_f32_e64 s3, 0x42b17218, v8
	v_cndmask_b32_e64 v8, 0x7f800000, v87, s3
	v_cmp_nlt_f32_e64 s3, 0x42b17218, v10
	s_delay_alu instid0(VALU_DEP_1) | instskip(SKIP_1) | instid1(VALU_DEP_1)
	v_cndmask_b32_e64 v10, 0x7f800000, v89, s3
	v_cmp_nlt_f32_e64 s3, 0x42b17218, v11
	v_cndmask_b32_e64 v11, 0x7f800000, v90, s3
	v_cmp_nlt_f32_e64 s3, 0x42b17218, v30
	s_delay_alu instid0(VALU_DEP_2) | instskip(NEXT) | instid1(VALU_DEP_2)
	v_cvt_pk_f16_f32 v89, v10, v11
	v_cndmask_b32_e64 v30, 0x7f800000, v91, s3
	v_cmp_nlt_f32_e64 s3, 0x42b17218, v32
	s_delay_alu instid0(VALU_DEP_1) | instskip(SKIP_1) | instid1(VALU_DEP_1)
	v_cndmask_b32_e64 v32, 0x7f800000, v93, s3
	v_cmp_nlt_f32_e64 s3, 0x42b17218, v33
	v_cndmask_b32_e64 v33, 0x7f800000, v94, s3
	v_cmp_nlt_f32_e64 s3, 0x42b17218, v31
	s_delay_alu instid0(VALU_DEP_2) | instskip(NEXT) | instid1(VALU_DEP_2)
	v_cvt_pk_f16_f32 v91, v32, v33
	v_cndmask_b32_e64 v31, 0x7f800000, v92, s3
	v_cmp_nlt_f32_e64 s3, 0x42b17218, v9
	s_delay_alu instid0(VALU_DEP_2) | instskip(NEXT) | instid1(VALU_DEP_2)
	v_cvt_pk_f16_f32 v90, v30, v31
	v_cndmask_b32_e64 v9, 0x7f800000, v88, s3
	s_delay_alu instid0(VALU_DEP_1)
	v_cvt_pk_f16_f32 v88, v8, v9
	ds_store_b128 v56, v[88:91]
	s_and_saveexec_b32 s3, vcc_lo
	s_cbranch_execz .LBB33_27
; %bb.26:                               ;   in Loop: Header=BB33_23 Depth=1
	v_lshl_add_u64 v[88:89], v[26:27], 2, s[4:5]
	global_load_b128 v[88:91], v[88:89], off offset:128
	s_wait_loadcnt 0x0
	ds_store_b128 v55, v[88:91]
.LBB33_27:                              ;   in Loop: Header=BB33_23 Depth=1
	s_or_b32 exec_lo, exec_lo, s3
	v_lshl_add_u64 v[88:89], v[28:29], 2, s[4:5]
	v_dual_sub_f32 v79, v79, v0 :: v_dual_sub_f32 v80, v80, v1
	v_dual_sub_f32 v81, v81, v2 :: v_dual_sub_f32 v82, v82, v3
	s_delay_alu instid0(VALU_DEP_3)
	v_add_nc_u64_e32 v[88:89], v[88:89], v[12:13]
	v_dual_sub_f32 v83, v83, v4 :: v_dual_sub_f32 v84, v84, v5
	v_dual_sub_f32 v85, v85, v6 :: v_dual_sub_f32 v86, v86, v7
	v_dual_mul_f32 v87, 0x3fb8aa3b, v79 :: v_dual_mul_f32 v92, 0x3fb8aa3b, v80
	global_load_b128 v[88:91], v[88:89], off
	v_dual_mul_f32 v93, 0x3fb8aa3b, v81 :: v_dual_mul_f32 v94, 0x3fb8aa3b, v82
	v_dual_mul_f32 v95, 0x3fb8aa3b, v83 :: v_dual_mul_f32 v96, 0x3fb8aa3b, v84
	;; [unrolled: 1-line block ×3, first 2 shown]
	v_fma_f32 v99, 0x3fb8aa3b, v79, -v87
	v_fma_f32 v101, 0x3fb8aa3b, v80, -v92
	v_rndne_f32_e32 v102, v92
	v_cmp_ngt_f32_e64 s4, 0xc2ce8ed0, v80
	v_cmp_nlt_f32_e64 s12, 0x42b17218, v80
	v_rndne_f32_e32 v100, v87
	v_fma_f32 v103, 0x3fb8aa3b, v81, -v93
	v_fma_f32 v105, 0x3fb8aa3b, v82, -v94
	v_fma_f32 v109, 0x3fb8aa3b, v84, -v96
	v_rndne_f32_e32 v110, v96
	v_fma_f32 v113, 0x3fb8aa3b, v86, -v98
	v_rndne_f32_e32 v114, v98
	v_fmac_f32_e32 v99, 0x32a5705f, v79
	v_dual_fmac_f32 v101, 0x32a5705f, v80 :: v_dual_sub_f32 v80, v92, v102
	v_rndne_f32_e32 v104, v93
	v_rndne_f32_e32 v106, v94
	v_cmp_ngt_f32_e64 s3, 0xc2ce8ed0, v79
	v_cmp_ngt_f32_e64 s8, 0xc2ce8ed0, v84
	;; [unrolled: 1-line block ×3, first 2 shown]
	v_cmp_nlt_f32_e64 s11, 0x42b17218, v79
	v_cmp_nlt_f32_e64 s16, 0x42b17218, v84
	;; [unrolled: 1-line block ×3, first 2 shown]
	v_sub_f32_e32 v79, v87, v100
	v_fmac_f32_e32 v103, 0x32a5705f, v81
	v_fmac_f32_e32 v113, 0x32a5705f, v86
	v_dual_sub_f32 v86, v98, v114 :: v_dual_fmac_f32 v109, 0x32a5705f, v84
	v_sub_f32_e32 v84, v96, v110
	v_dual_fmac_f32 v105, 0x32a5705f, v82 :: v_dual_add_f32 v80, v80, v101
	v_cmp_ngt_f32_e64 s5, 0xc2ce8ed0, v81
	v_cmp_ngt_f32_e64 s6, 0xc2ce8ed0, v82
	v_cmp_nlt_f32_e64 s13, 0x42b17218, v81
	v_cmp_nlt_f32_e64 s14, 0x42b17218, v82
	v_fma_f32 v107, 0x3fb8aa3b, v83, -v95
	v_rndne_f32_e32 v108, v95
	v_fma_f32 v111, 0x3fb8aa3b, v85, -v97
	v_rndne_f32_e32 v112, v97
	v_dual_sub_f32 v82, v94, v106 :: v_dual_sub_f32 v81, v93, v104
	v_add_f32_e32 v79, v79, v99
	v_exp_f32_e32 v80, v80
	v_cmp_ngt_f32_e64 s7, 0xc2ce8ed0, v83
	v_cmp_ngt_f32_e64 s9, 0xc2ce8ed0, v85
	v_cmp_nlt_f32_e64 s15, 0x42b17218, v83
	v_cmp_nlt_f32_e64 s17, 0x42b17218, v85
	v_cvt_i32_f32_e32 v92, v102
	v_dual_fmac_f32 v107, 0x32a5705f, v83 :: v_dual_add_f32 v82, v82, v105
	v_dual_sub_f32 v83, v95, v108 :: v_dual_add_f32 v81, v81, v103
	v_fmac_f32_e32 v111, 0x32a5705f, v85
	v_sub_f32_e32 v85, v97, v112
	v_exp_f32_e32 v79, v79
	v_cvt_i32_f32_e32 v87, v100
	v_dual_add_f32 v83, v83, v107 :: v_dual_add_f32 v86, v86, v113
	v_add_f32_e32 v84, v84, v109
	v_exp_f32_e32 v81, v81
	v_ldexp_f32 v80, v80, v92
	v_add_f32_e32 v85, v85, v111
	v_cvt_i32_f32_e32 v93, v104
	v_exp_f32_e32 v82, v82
	v_exp_f32_e32 v83, v83
	;; [unrolled: 1-line block ×4, first 2 shown]
	v_ldexp_f32 v79, v79, v87
	v_cndmask_b32_e64 v87, 0, v80, s4
	v_exp_f32_e32 v85, v85
	v_cvt_i32_f32_e32 v94, v106
	v_cvt_i32_f32_e32 v95, v108
	;; [unrolled: 1-line block ×5, first 2 shown]
	v_ldexp_f32 v81, v81, v93
	v_ldexp_f32 v82, v82, v94
	;; [unrolled: 1-line block ×6, first 2 shown]
	v_dual_cndmask_b32 v79, 0, v79, s3 :: v_dual_cndmask_b32 v92, 0, v81, s5
	v_dual_cndmask_b32 v93, 0, v82, s6 :: v_dual_cndmask_b32 v94, 0, v83, s7
	s_delay_alu instid0(VALU_DEP_4) | instskip(NEXT) | instid1(VALU_DEP_4)
	v_dual_cndmask_b32 v95, 0, v84, s8 :: v_dual_cndmask_b32 v96, 0, v85, s9
	v_cndmask_b32_e64 v97, 0, v86, s10
	s_delay_alu instid0(VALU_DEP_4)
	v_cndmask_b32_e64 v80, 0x7f800000, v79, s11
	v_cndmask_b32_e64 v81, 0x7f800000, v87, s12
	;; [unrolled: 1-line block ×8, first 2 shown]
	v_cvt_f16_f32_e32 v79, v80
	v_cvt_f16_f32_e32 v92, v81
	;; [unrolled: 1-line block ×7, first 2 shown]
	v_pk_fma_f32 v[18:19], v[18:19], v[82:83], v[10:11]
	v_pk_fma_f32 v[20:21], v[20:21], v[80:81], v[8:9]
	v_cvt_f16_f32_e32 v8, v87
	v_and_b32_e32 v9, 0xffff, v79
	v_and_b32_e32 v10, 0xffff, v92
	;; [unrolled: 1-line block ×3, first 2 shown]
	v_pk_fma_f32 v[14:15], v[14:15], v[86:87], v[32:33]
	v_pk_fma_f32 v[16:17], v[16:17], v[84:85], v[30:31]
	v_and_b32_e32 v30, 0xffff, v94
	v_and_b32_e32 v31, 0xffff, v95
	;; [unrolled: 1-line block ×5, first 2 shown]
	v_mul_u32_u24_e32 v9, 0x10001, v9
	v_mul_u32_u24_e32 v10, 0x10001, v10
	;; [unrolled: 1-line block ×8, first 2 shown]
	v_pk_mul_f16 v104, v77, v9
	v_pk_mul_f16 v105, v78, v9
	;; [unrolled: 1-line block ×16, first 2 shown]
	s_wait_loadcnt 0x0
	ds_store_b128 v58, v[88:91]
	s_wait_dscnt 0x0
	s_barrier_signal -1
	s_barrier_wait -1
	ds_load_b128 v[8:11], v52
	ds_load_b128 v[30:33], v52 offset:16
	ds_load_2addr_b64 v[64:67], v53 offset1:18
	ds_load_b128 v[68:71], v52 offset:32
	ds_load_b128 v[72:75], v52 offset:48
	ds_load_2addr_b64 v[76:79], v53 offset0:36 offset1:54
	ds_load_2addr_b64 v[80:83], v53 offset0:72 offset1:90
	ds_load_b128 v[84:87], v52 offset:64
	ds_load_b128 v[88:91], v52 offset:80
	ds_load_2addr_b64 v[92:95], v53 offset0:108 offset1:126
	ds_load_b128 v[96:99], v52 offset:96
	ds_load_b128 v[100:103], v52 offset:112
	s_wait_dscnt 0x8
	v_dual_lshrrev_b32 v127, 16, v68 :: v_dual_lshrrev_b32 v128, 16, v69
	v_and_b32_e32 v68, 0xffff, v68
	v_and_b32_e32 v69, 0xffff, v69
	v_dual_lshrrev_b32 v129, 16, v70 :: v_dual_lshrrev_b32 v130, 16, v71
	v_dual_lshrrev_b32 v119, 16, v8 :: v_dual_lshrrev_b32 v120, 16, v9
	v_lshrrev_b32_e32 v121, 16, v10
	v_and_b32_e32 v8, 0xffff, v8
	v_and_b32_e32 v9, 0xffff, v9
	v_lshrrev_b32_e32 v122, 16, v11
	v_and_b32_e32 v10, 0xffff, v10
	v_and_b32_e32 v11, 0xffff, v11
	v_dual_lshrrev_b32 v123, 16, v30 :: v_dual_lshrrev_b32 v124, 16, v31
	v_and_b32_e32 v30, 0xffff, v30
	v_and_b32_e32 v31, 0xffff, v31
	v_mul_u32_u24_e32 v8, 0x10001, v8
	v_mul_u32_u24_e32 v9, 0x10001, v9
	v_dual_lshrrev_b32 v125, 16, v32 :: v_dual_lshrrev_b32 v126, 16, v33
	v_and_b32_e32 v32, 0xffff, v32
	v_and_b32_e32 v33, 0xffff, v33
	v_mul_u32_u24_e32 v10, 0x10001, v10
	v_mul_u32_u24_e32 v11, 0x10001, v11
	;; [unrolled: 1-line block ×4, first 2 shown]
	v_pk_fma_f16 v104, v64, v8, v104
	v_pk_fma_f16 v108, v64, v9, v108
	;; [unrolled: 1-line block ×4, first 2 shown]
	v_and_b32_e32 v70, 0xffff, v70
	v_and_b32_e32 v71, 0xffff, v71
	s_wait_dscnt 0x7
	v_dual_lshrrev_b32 v131, 16, v72 :: v_dual_lshrrev_b32 v132, 16, v73
	v_and_b32_e32 v72, 0xffff, v72
	v_and_b32_e32 v73, 0xffff, v73
	v_mul_u32_u24_e32 v119, 0x10001, v119
	v_mul_u32_u24_e32 v120, 0x10001, v120
	;; [unrolled: 1-line block ×8, first 2 shown]
	v_pk_fma_f16 v112, v64, v10, v112
	v_pk_fma_f16 v116, v64, v11, v116
	;; [unrolled: 1-line block ×6, first 2 shown]
	v_dual_lshrrev_b32 v133, 16, v74 :: v_dual_lshrrev_b32 v134, 16, v75
	v_and_b32_e32 v74, 0xffff, v74
	v_and_b32_e32 v75, 0xffff, v75
	s_wait_dscnt 0x4
	v_dual_lshrrev_b32 v135, 16, v84 :: v_dual_lshrrev_b32 v136, 16, v85
	v_and_b32_e32 v84, 0xffff, v84
	v_and_b32_e32 v85, 0xffff, v85
	v_mul_u32_u24_e32 v124, 0x10001, v124
	v_mul_u32_u24_e32 v126, 0x10001, v126
	;; [unrolled: 1-line block ×6, first 2 shown]
	v_pk_fma_f16 v106, v64, v119, v106
	v_pk_fma_f16 v110, v64, v120, v110
	v_pk_fma_f16 v114, v64, v121, v114
	v_pk_fma_f16 v63, v64, v122, v63
	v_pk_fma_f16 v64, v65, v119, v107
	v_pk_fma_f16 v105, v65, v120, v111
	v_pk_fma_f16 v107, v65, v121, v115
	v_pk_fma_f16 v65, v65, v122, v118
	v_pk_fma_f16 v10, v67, v32, v10
	v_pk_fma_f16 v11, v67, v33, v11
	v_pk_fma_f16 v8, v77, v68, v8
	v_pk_fma_f16 v9, v77, v69, v9
	v_dual_lshrrev_b32 v137, 16, v86 :: v_dual_lshrrev_b32 v138, 16, v87
	v_and_b32_e32 v86, 0xffff, v86
	v_and_b32_e32 v87, 0xffff, v87
	s_wait_dscnt 0x3
	v_dual_lshrrev_b32 v139, 16, v88 :: v_dual_lshrrev_b32 v140, 16, v89
	v_and_b32_e32 v88, 0xffff, v88
	v_and_b32_e32 v89, 0xffff, v89
	v_mul_u32_u24_e32 v123, 0x10001, v123
	v_mul_u32_u24_e32 v125, 0x10001, v125
	;; [unrolled: 1-line block ×7, first 2 shown]
	v_pk_fma_f16 v109, v66, v124, v110
	v_pk_fma_f16 v110, v66, v32, v112
	;; [unrolled: 1-line block ×8, first 2 shown]
	v_dual_lshrrev_b32 v141, 16, v90 :: v_dual_lshrrev_b32 v142, 16, v91
	v_and_b32_e32 v90, 0xffff, v90
	v_and_b32_e32 v91, 0xffff, v91
	s_wait_dscnt 0x1
	v_dual_lshrrev_b32 v143, 16, v96 :: v_dual_lshrrev_b32 v144, 16, v97
	v_and_b32_e32 v96, 0xffff, v96
	v_and_b32_e32 v97, 0xffff, v97
	v_mul_u32_u24_e32 v127, 0x10001, v127
	v_mul_u32_u24_e32 v128, 0x10001, v128
	;; [unrolled: 1-line block ×8, first 2 shown]
	v_pk_fma_f16 v104, v66, v30, v104
	v_pk_fma_f16 v106, v66, v123, v106
	;; [unrolled: 1-line block ×13, first 2 shown]
	v_dual_lshrrev_b32 v145, 16, v98 :: v_dual_lshrrev_b32 v146, 16, v99
	v_and_b32_e32 v98, 0xffff, v98
	v_and_b32_e32 v99, 0xffff, v99
	v_mul_u32_u24_e32 v131, 0x10001, v131
	v_mul_u32_u24_e32 v132, 0x10001, v132
	;; [unrolled: 1-line block ×8, first 2 shown]
	v_pk_fma_f16 v64, v76, v68, v104
	v_pk_fma_f16 v65, v76, v127, v106
	v_pk_fma_f16 v66, v76, v69, v108
	v_pk_fma_f16 v67, v76, v128, v109
	v_pk_fma_f16 v104, v76, v70, v110
	v_pk_fma_f16 v105, v76, v129, v111
	v_pk_fma_f16 v106, v76, v71, v112
	v_pk_fma_f16 v63, v76, v130, v63
	v_pk_fma_f16 v30, v77, v127, v30
	v_pk_fma_f16 v31, v77, v128, v31
	v_pk_fma_f16 v32, v77, v129, v32
	v_pk_fma_f16 v33, v79, v134, v33
	v_pk_fma_f16 v10, v81, v86, v10
	v_pk_fma_f16 v11, v81, v87, v11
	v_pk_fma_f16 v8, v83, v88, v8
	v_pk_fma_f16 v9, v83, v89, v9
	v_mul_u32_u24_e32 v135, 0x10001, v135
	v_mul_u32_u24_e32 v136, 0x10001, v136
	;; [unrolled: 1-line block ×6, first 2 shown]
	v_pk_fma_f16 v64, v78, v72, v64
	v_pk_fma_f16 v65, v78, v131, v65
	;; [unrolled: 1-line block ×16, first 2 shown]
	s_wait_dscnt 0x0
	v_lshrrev_b32_e32 v8, 16, v100
	v_and_b32_e32 v9, 0xffff, v100
	v_mul_u32_u24_e32 v139, 0x10001, v139
	v_mul_u32_u24_e32 v140, 0x10001, v140
	;; [unrolled: 1-line block ×4, first 2 shown]
	v_pk_fma_f16 v64, v80, v84, v64
	v_pk_fma_f16 v65, v80, v135, v65
	;; [unrolled: 1-line block ×14, first 2 shown]
	v_dual_lshrrev_b32 v10, 16, v101 :: v_dual_lshrrev_b32 v11, 16, v102
	v_mul_u32_u24_e32 v77, 0x10001, v9
	v_and_b32_e32 v9, 0xffff, v102
	v_mul_u32_u24_e32 v78, 0x10001, v8
	v_and_b32_e32 v8, 0xffff, v103
	v_mul_u32_u24_e32 v143, 0x10001, v143
	v_mul_u32_u24_e32 v144, 0x10001, v144
	;; [unrolled: 1-line block ×3, first 2 shown]
	v_pk_fma_f16 v64, v82, v88, v64
	v_pk_fma_f16 v65, v82, v139, v65
	;; [unrolled: 1-line block ×12, first 2 shown]
	v_lshrrev_b32_e32 v33, 16, v103
	v_and_b32_e32 v76, 0xffff, v101
	v_mul_u32_u24_e32 v79, 0x10001, v10
	v_mul_u32_u24_e32 v80, 0x10001, v9
	v_mul_u32_u24_e32 v81, 0x10001, v11
	v_mul_u32_u24_e32 v82, 0x10001, v8
	ds_load_b128 v[8:11], v52 offset:128
	v_pk_fma_f16 v64, v92, v96, v64
	v_pk_fma_f16 v65, v92, v143, v65
	;; [unrolled: 1-line block ×7, first 2 shown]
	v_mul_u32_u24_e32 v76, 0x10001, v76
	v_mul_u32_u24_e32 v83, 0x10001, v33
	v_pk_fma_f16 v84, v94, v77, v64
	v_pk_fma_f16 v85, v94, v78, v65
	;; [unrolled: 1-line block ×9, first 2 shown]
	ds_load_2addr_b64 v[30:33], v53 offset0:144 offset1:162
	ds_load_b128 v[64:67], v52 offset:144
	v_pk_fma_f16 v68, v92, v98, v68
	v_pk_fma_f16 v69, v92, v145, v69
	;; [unrolled: 1-line block ×9, first 2 shown]
	s_wait_dscnt 0x2
	v_dual_lshrrev_b32 v79, 16, v8 :: v_dual_lshrrev_b32 v80, 16, v9
	v_and_b32_e32 v8, 0xffff, v8
	v_dual_lshrrev_b32 v81, 16, v10 :: v_dual_lshrrev_b32 v82, 16, v11
	v_and_b32_e32 v9, 0xffff, v9
	v_and_b32_e32 v10, 0xffff, v10
	v_and_b32_e32 v11, 0xffff, v11
	v_pk_fma_f16 v63, v94, v83, v63
	v_mul_u32_u24_e32 v8, 0x10001, v8
	v_mul_u32_u24_e32 v79, 0x10001, v79
	;; [unrolled: 1-line block ×8, first 2 shown]
	v_pk_fma_f16 v75, v95, v83, v75
	s_wait_dscnt 0x1
	v_pk_fma_f16 v83, v30, v8, v84
	v_pk_fma_f16 v84, v30, v79, v85
	;; [unrolled: 1-line block ×10, first 2 shown]
	s_wait_dscnt 0x0
	v_lshrrev_b32_e32 v8, 16, v64
	v_and_b32_e32 v9, 0xffff, v64
	v_pk_fma_f16 v71, v31, v79, v77
	v_pk_fma_f16 v76, v31, v80, v76
	;; [unrolled: 1-line block ×6, first 2 shown]
	v_dual_lshrrev_b32 v10, 16, v65 :: v_dual_lshrrev_b32 v11, 16, v66
	v_lshrrev_b32_e32 v64, 16, v67
	v_mul_u32_u24_e32 v75, 0x10001, v9
	v_and_b32_e32 v9, 0xffff, v66
	v_mul_u32_u24_e32 v66, 0x10001, v8
	v_and_b32_e32 v8, 0xffff, v67
	v_and_b32_e32 v65, 0xffff, v65
	v_mul_u32_u24_e32 v67, 0x10001, v10
	v_mul_u32_u24_e32 v78, 0x10001, v9
	;; [unrolled: 1-line block ×4, first 2 shown]
	ds_load_b128 v[8:11], v52 offset:160
	v_mul_u32_u24_e32 v65, 0x10001, v65
	v_mul_u32_u24_e32 v81, 0x10001, v64
	v_pk_fma_f16 v82, v32, v75, v83
	v_pk_fma_f16 v83, v32, v66, v84
	;; [unrolled: 1-line block ×14, first 2 shown]
	ds_load_2addr_b64 v[64:67], v53 offset0:180 offset1:198
	v_pk_fma_f16 v74, v33, v80, v74
	v_pk_fma_f16 v77, v33, v81, v31
	ds_load_b128 v[30:33], v52 offset:176
	s_wait_dscnt 0x2
	v_dual_lshrrev_b32 v78, 16, v8 :: v_dual_lshrrev_b32 v79, 16, v9
	v_and_b32_e32 v8, 0xffff, v8
	v_and_b32_e32 v9, 0xffff, v9
	v_dual_lshrrev_b32 v80, 16, v10 :: v_dual_lshrrev_b32 v81, 16, v11
	v_and_b32_e32 v10, 0xffff, v10
	s_delay_alu instid0(VALU_DEP_4)
	v_mul_u32_u24_e32 v8, 0x10001, v8
	v_and_b32_e32 v11, 0xffff, v11
	v_mul_u32_u24_e32 v9, 0x10001, v9
	v_mul_u32_u24_e32 v78, 0x10001, v78
	;; [unrolled: 1-line block ×7, first 2 shown]
	s_wait_dscnt 0x1
	v_pk_fma_f16 v82, v64, v8, v82
	v_pk_fma_f16 v84, v64, v9, v84
	;; [unrolled: 1-line block ×4, first 2 shown]
	s_wait_dscnt 0x0
	v_lshrrev_b32_e32 v8, 16, v30
	v_and_b32_e32 v9, 0xffff, v30
	v_pk_fma_f16 v68, v64, v10, v68
	v_pk_fma_f16 v70, v64, v11, v70
	;; [unrolled: 1-line block ×8, first 2 shown]
	v_dual_lshrrev_b32 v10, 16, v31 :: v_dual_lshrrev_b32 v11, 16, v32
	v_lshrrev_b32_e32 v30, 16, v33
	v_mul_u32_u24_e32 v77, 0x10001, v9
	v_and_b32_e32 v9, 0xffff, v32
	v_mul_u32_u24_e32 v32, 0x10001, v8
	v_and_b32_e32 v8, 0xffff, v33
	v_pk_fma_f16 v83, v64, v78, v83
	v_pk_fma_f16 v85, v64, v79, v85
	v_pk_fma_f16 v69, v64, v80, v69
	v_and_b32_e32 v31, 0xffff, v31
	v_mul_u32_u24_e32 v33, 0x10001, v10
	v_mul_u32_u24_e32 v78, 0x10001, v9
	;; [unrolled: 1-line block ×4, first 2 shown]
	ds_load_b128 v[8:11], v52 offset:192
	v_pk_fma_f16 v64, v64, v81, v86
	v_mul_u32_u24_e32 v31, 0x10001, v31
	v_mul_u32_u24_e32 v81, 0x10001, v30
	v_pk_fma_f16 v82, v66, v77, v82
	v_pk_fma_f16 v83, v66, v32, v83
	;; [unrolled: 1-line block ×14, first 2 shown]
	ds_load_2addr_b64 v[30:33], v53 offset0:216 offset1:234
	v_pk_fma_f16 v74, v67, v80, v74
	v_pk_fma_f16 v77, v67, v81, v65
	ds_load_b128 v[64:67], v52 offset:208
	s_wait_dscnt 0x2
	v_dual_lshrrev_b32 v78, 16, v8 :: v_dual_lshrrev_b32 v79, 16, v9
	v_and_b32_e32 v8, 0xffff, v8
	v_and_b32_e32 v9, 0xffff, v9
	v_dual_lshrrev_b32 v80, 16, v10 :: v_dual_lshrrev_b32 v81, 16, v11
	v_and_b32_e32 v10, 0xffff, v10
	s_delay_alu instid0(VALU_DEP_4)
	v_mul_u32_u24_e32 v8, 0x10001, v8
	v_and_b32_e32 v11, 0xffff, v11
	v_mul_u32_u24_e32 v9, 0x10001, v9
	v_mul_u32_u24_e32 v78, 0x10001, v78
	;; [unrolled: 1-line block ×7, first 2 shown]
	s_wait_dscnt 0x1
	v_pk_fma_f16 v82, v30, v8, v82
	v_pk_fma_f16 v84, v30, v9, v84
	;; [unrolled: 1-line block ×4, first 2 shown]
	s_wait_dscnt 0x0
	v_lshrrev_b32_e32 v8, 16, v64
	v_and_b32_e32 v9, 0xffff, v64
	v_pk_fma_f16 v68, v30, v10, v68
	v_pk_fma_f16 v70, v30, v11, v70
	;; [unrolled: 1-line block ×8, first 2 shown]
	v_dual_lshrrev_b32 v10, 16, v65 :: v_dual_lshrrev_b32 v11, 16, v66
	v_lshrrev_b32_e32 v64, 16, v67
	v_mul_u32_u24_e32 v77, 0x10001, v9
	v_and_b32_e32 v9, 0xffff, v66
	v_mul_u32_u24_e32 v66, 0x10001, v8
	v_and_b32_e32 v8, 0xffff, v67
	v_pk_fma_f16 v83, v30, v78, v83
	v_pk_fma_f16 v85, v30, v79, v85
	;; [unrolled: 1-line block ×4, first 2 shown]
	v_and_b32_e32 v65, 0xffff, v65
	v_mul_u32_u24_e32 v67, 0x10001, v10
	v_mul_u32_u24_e32 v78, 0x10001, v9
	v_mul_u32_u24_e32 v79, 0x10001, v11
	v_mul_u32_u24_e32 v80, 0x10001, v8
	v_mul_u32_u24_e32 v81, 0x10001, v64
	ds_load_b128 v[8:11], v52 offset:224
	v_mul_u32_u24_e32 v65, 0x10001, v65
	v_pk_fma_f16 v82, v32, v77, v82
	v_pk_fma_f16 v83, v32, v66, v83
	v_pk_fma_f16 v86, v32, v81, v30
	v_add_nc_u32_e32 v30, 0x400, v53
	v_pk_fma_f16 v84, v32, v65, v84
	v_pk_fma_f16 v85, v32, v67, v85
	;; [unrolled: 1-line block ×11, first 2 shown]
	ds_load_2addr_b64 v[64:67], v30 offset0:124 offset1:142
	v_pk_fma_f16 v74, v33, v80, v74
	v_pk_fma_f16 v77, v33, v81, v31
	ds_load_b128 v[30:33], v52 offset:240
	s_wait_dscnt 0x2
	v_dual_lshrrev_b32 v78, 16, v8 :: v_dual_lshrrev_b32 v79, 16, v9
	v_and_b32_e32 v8, 0xffff, v8
	v_and_b32_e32 v9, 0xffff, v9
	v_dual_lshrrev_b32 v80, 16, v10 :: v_dual_lshrrev_b32 v81, 16, v11
	v_and_b32_e32 v10, 0xffff, v10
	s_delay_alu instid0(VALU_DEP_4)
	v_mul_u32_u24_e32 v8, 0x10001, v8
	v_and_b32_e32 v11, 0xffff, v11
	v_mul_u32_u24_e32 v9, 0x10001, v9
	v_mul_u32_u24_e32 v78, 0x10001, v78
	;; [unrolled: 1-line block ×7, first 2 shown]
	s_wait_dscnt 0x1
	v_pk_fma_f16 v82, v64, v8, v82
	v_pk_fma_f16 v84, v64, v9, v84
	;; [unrolled: 1-line block ×4, first 2 shown]
	s_wait_dscnt 0x0
	v_lshrrev_b32_e32 v8, 16, v30
	v_and_b32_e32 v9, 0xffff, v30
	v_pk_fma_f16 v68, v64, v10, v68
	v_pk_fma_f16 v70, v64, v11, v70
	;; [unrolled: 1-line block ×8, first 2 shown]
	v_dual_lshrrev_b32 v10, 16, v31 :: v_dual_lshrrev_b32 v11, 16, v32
	v_lshrrev_b32_e32 v30, 16, v33
	v_mul_u32_u24_e32 v77, 0x10001, v9
	v_and_b32_e32 v9, 0xffff, v32
	v_mul_u32_u24_e32 v32, 0x10001, v8
	v_and_b32_e32 v8, 0xffff, v33
	v_pk_fma_f16 v83, v64, v78, v83
	v_pk_fma_f16 v85, v64, v79, v85
	;; [unrolled: 1-line block ×3, first 2 shown]
	v_and_b32_e32 v31, 0xffff, v31
	v_mul_u32_u24_e32 v33, 0x10001, v10
	v_mul_u32_u24_e32 v78, 0x10001, v9
	;; [unrolled: 1-line block ×4, first 2 shown]
	ds_load_b128 v[8:11], v52 offset:256
	v_pk_fma_f16 v64, v64, v81, v86
	v_mul_u32_u24_e32 v31, 0x10001, v31
	v_mul_u32_u24_e32 v81, 0x10001, v30
	v_pk_fma_f16 v82, v66, v77, v82
	v_pk_fma_f16 v63, v67, v77, v63
	v_add_nc_u32_e32 v77, 0x800, v53
	v_pk_fma_f16 v83, v66, v32, v83
	v_pk_fma_f16 v84, v66, v31, v84
	;; [unrolled: 1-line block ×12, first 2 shown]
	ds_load_2addr_b64 v[30:33], v77 offset0:32 offset1:50
	v_pk_fma_f16 v74, v67, v80, v74
	v_pk_fma_f16 v78, v67, v81, v65
	ds_load_b128 v[64:67], v52 offset:272
	s_wait_dscnt 0x2
	v_dual_lshrrev_b32 v79, 16, v8 :: v_dual_lshrrev_b32 v80, 16, v9
	v_and_b32_e32 v8, 0xffff, v8
	v_and_b32_e32 v9, 0xffff, v9
	v_dual_lshrrev_b32 v81, 16, v10 :: v_dual_lshrrev_b32 v87, 16, v11
	v_and_b32_e32 v10, 0xffff, v10
	s_delay_alu instid0(VALU_DEP_4)
	v_mul_u32_u24_e32 v8, 0x10001, v8
	v_and_b32_e32 v11, 0xffff, v11
	v_mul_u32_u24_e32 v9, 0x10001, v9
	v_mul_u32_u24_e32 v79, 0x10001, v79
	;; [unrolled: 1-line block ×7, first 2 shown]
	s_wait_dscnt 0x1
	v_pk_fma_f16 v82, v30, v8, v82
	v_pk_fma_f16 v84, v30, v9, v84
	;; [unrolled: 1-line block ×4, first 2 shown]
	s_wait_dscnt 0x0
	v_lshrrev_b32_e32 v8, 16, v64
	v_and_b32_e32 v9, 0xffff, v64
	v_pk_fma_f16 v68, v30, v10, v68
	v_pk_fma_f16 v70, v30, v11, v70
	;; [unrolled: 1-line block ×8, first 2 shown]
	v_dual_lshrrev_b32 v10, 16, v65 :: v_dual_lshrrev_b32 v11, 16, v66
	v_lshrrev_b32_e32 v64, 16, v67
	v_mul_u32_u24_e32 v78, 0x10001, v9
	v_and_b32_e32 v9, 0xffff, v66
	v_mul_u32_u24_e32 v66, 0x10001, v8
	v_and_b32_e32 v8, 0xffff, v67
	v_pk_fma_f16 v83, v30, v79, v83
	v_pk_fma_f16 v85, v30, v80, v85
	;; [unrolled: 1-line block ×3, first 2 shown]
	v_and_b32_e32 v65, 0xffff, v65
	v_mul_u32_u24_e32 v67, 0x10001, v10
	v_mul_u32_u24_e32 v79, 0x10001, v9
	;; [unrolled: 1-line block ×4, first 2 shown]
	ds_load_b128 v[8:11], v52 offset:288
	v_pk_fma_f16 v30, v30, v87, v86
	v_mul_u32_u24_e32 v65, 0x10001, v65
	v_mul_u32_u24_e32 v86, 0x10001, v64
	v_pk_fma_f16 v82, v32, v78, v82
	v_pk_fma_f16 v83, v32, v66, v83
	;; [unrolled: 1-line block ×14, first 2 shown]
	ds_load_2addr_b64 v[64:67], v77 offset0:68 offset1:86
	v_pk_fma_f16 v74, v33, v81, v74
	v_pk_fma_f16 v78, v33, v86, v31
	ds_load_b128 v[30:33], v52 offset:304
	s_wait_dscnt 0x2
	v_dual_lshrrev_b32 v79, 16, v8 :: v_dual_lshrrev_b32 v80, 16, v9
	v_and_b32_e32 v8, 0xffff, v8
	v_and_b32_e32 v9, 0xffff, v9
	v_dual_lshrrev_b32 v81, 16, v10 :: v_dual_lshrrev_b32 v86, 16, v11
	v_and_b32_e32 v10, 0xffff, v10
	s_delay_alu instid0(VALU_DEP_4)
	v_mul_u32_u24_e32 v8, 0x10001, v8
	v_and_b32_e32 v11, 0xffff, v11
	v_mul_u32_u24_e32 v9, 0x10001, v9
	v_mul_u32_u24_e32 v79, 0x10001, v79
	;; [unrolled: 1-line block ×7, first 2 shown]
	s_wait_dscnt 0x1
	v_pk_fma_f16 v82, v64, v8, v82
	v_pk_fma_f16 v84, v64, v9, v84
	;; [unrolled: 1-line block ×4, first 2 shown]
	s_wait_dscnt 0x0
	v_lshrrev_b32_e32 v8, 16, v30
	v_and_b32_e32 v9, 0xffff, v30
	v_pk_fma_f16 v68, v64, v10, v68
	v_pk_fma_f16 v70, v64, v11, v70
	;; [unrolled: 1-line block ×8, first 2 shown]
	v_dual_lshrrev_b32 v10, 16, v31 :: v_dual_lshrrev_b32 v11, 16, v32
	v_lshrrev_b32_e32 v30, 16, v33
	v_mul_u32_u24_e32 v78, 0x10001, v9
	v_and_b32_e32 v9, 0xffff, v32
	v_mul_u32_u24_e32 v32, 0x10001, v8
	v_and_b32_e32 v8, 0xffff, v33
	v_pk_fma_f16 v83, v64, v79, v83
	v_pk_fma_f16 v85, v64, v80, v85
	;; [unrolled: 1-line block ×3, first 2 shown]
	v_and_b32_e32 v31, 0xffff, v31
	v_mul_u32_u24_e32 v33, 0x10001, v10
	v_mul_u32_u24_e32 v79, 0x10001, v9
	;; [unrolled: 1-line block ×4, first 2 shown]
	ds_load_b128 v[8:11], v52 offset:320
	v_pk_fma_f16 v64, v64, v86, v87
	v_mul_u32_u24_e32 v31, 0x10001, v31
	v_mul_u32_u24_e32 v86, 0x10001, v30
	v_pk_fma_f16 v82, v66, v78, v82
	v_pk_fma_f16 v83, v66, v32, v83
	;; [unrolled: 1-line block ×14, first 2 shown]
	ds_load_2addr_b64 v[30:33], v77 offset0:104 offset1:122
	v_pk_fma_f16 v74, v67, v81, v74
	v_pk_fma_f16 v78, v67, v86, v65
	ds_load_b128 v[64:67], v52 offset:336
	s_wait_dscnt 0x2
	v_dual_lshrrev_b32 v79, 16, v8 :: v_dual_lshrrev_b32 v80, 16, v9
	v_and_b32_e32 v8, 0xffff, v8
	v_and_b32_e32 v9, 0xffff, v9
	v_dual_lshrrev_b32 v81, 16, v10 :: v_dual_lshrrev_b32 v86, 16, v11
	v_and_b32_e32 v10, 0xffff, v10
	s_delay_alu instid0(VALU_DEP_4)
	v_mul_u32_u24_e32 v8, 0x10001, v8
	v_and_b32_e32 v11, 0xffff, v11
	v_mul_u32_u24_e32 v9, 0x10001, v9
	v_mul_u32_u24_e32 v79, 0x10001, v79
	;; [unrolled: 1-line block ×7, first 2 shown]
	s_wait_dscnt 0x1
	v_pk_fma_f16 v82, v30, v8, v82
	v_pk_fma_f16 v84, v30, v9, v84
	;; [unrolled: 1-line block ×4, first 2 shown]
	s_wait_dscnt 0x0
	v_lshrrev_b32_e32 v8, 16, v64
	v_and_b32_e32 v9, 0xffff, v64
	v_pk_fma_f16 v68, v30, v10, v68
	v_pk_fma_f16 v70, v30, v11, v70
	;; [unrolled: 1-line block ×8, first 2 shown]
	v_dual_lshrrev_b32 v10, 16, v65 :: v_dual_lshrrev_b32 v11, 16, v66
	v_lshrrev_b32_e32 v64, 16, v67
	v_mul_u32_u24_e32 v78, 0x10001, v9
	v_and_b32_e32 v9, 0xffff, v66
	v_mul_u32_u24_e32 v66, 0x10001, v8
	v_and_b32_e32 v8, 0xffff, v67
	v_pk_fma_f16 v83, v30, v79, v83
	v_pk_fma_f16 v85, v30, v80, v85
	;; [unrolled: 1-line block ×3, first 2 shown]
	v_and_b32_e32 v65, 0xffff, v65
	v_mul_u32_u24_e32 v67, 0x10001, v10
	v_mul_u32_u24_e32 v79, 0x10001, v9
	;; [unrolled: 1-line block ×4, first 2 shown]
	ds_load_b128 v[8:11], v52 offset:352
	v_pk_fma_f16 v30, v30, v86, v87
	v_mul_u32_u24_e32 v65, 0x10001, v65
	v_mul_u32_u24_e32 v86, 0x10001, v64
	v_pk_fma_f16 v82, v32, v78, v82
	v_pk_fma_f16 v83, v32, v66, v83
	;; [unrolled: 1-line block ×14, first 2 shown]
	ds_load_2addr_b64 v[64:67], v77 offset0:140 offset1:158
	v_pk_fma_f16 v74, v33, v81, v74
	v_pk_fma_f16 v78, v33, v86, v31
	ds_load_b128 v[30:33], v52 offset:368
	s_wait_dscnt 0x2
	v_dual_lshrrev_b32 v79, 16, v8 :: v_dual_lshrrev_b32 v80, 16, v9
	v_and_b32_e32 v8, 0xffff, v8
	v_and_b32_e32 v9, 0xffff, v9
	v_dual_lshrrev_b32 v81, 16, v10 :: v_dual_lshrrev_b32 v86, 16, v11
	v_and_b32_e32 v10, 0xffff, v10
	s_delay_alu instid0(VALU_DEP_4)
	v_mul_u32_u24_e32 v8, 0x10001, v8
	v_and_b32_e32 v11, 0xffff, v11
	v_mul_u32_u24_e32 v9, 0x10001, v9
	v_mul_u32_u24_e32 v79, 0x10001, v79
	;; [unrolled: 1-line block ×7, first 2 shown]
	s_wait_dscnt 0x1
	v_pk_fma_f16 v82, v64, v8, v82
	v_pk_fma_f16 v84, v64, v9, v84
	;; [unrolled: 1-line block ×4, first 2 shown]
	s_wait_dscnt 0x0
	v_lshrrev_b32_e32 v8, 16, v30
	v_and_b32_e32 v9, 0xffff, v30
	v_pk_fma_f16 v68, v64, v10, v68
	v_pk_fma_f16 v70, v64, v11, v70
	;; [unrolled: 1-line block ×8, first 2 shown]
	v_dual_lshrrev_b32 v10, 16, v31 :: v_dual_lshrrev_b32 v11, 16, v32
	v_lshrrev_b32_e32 v30, 16, v33
	v_mul_u32_u24_e32 v78, 0x10001, v9
	v_and_b32_e32 v9, 0xffff, v32
	v_mul_u32_u24_e32 v32, 0x10001, v8
	v_and_b32_e32 v8, 0xffff, v33
	v_pk_fma_f16 v83, v64, v79, v83
	v_pk_fma_f16 v85, v64, v80, v85
	;; [unrolled: 1-line block ×3, first 2 shown]
	v_and_b32_e32 v31, 0xffff, v31
	v_mul_u32_u24_e32 v33, 0x10001, v10
	v_mul_u32_u24_e32 v79, 0x10001, v9
	;; [unrolled: 1-line block ×4, first 2 shown]
	ds_load_b128 v[8:11], v52 offset:384
	v_pk_fma_f16 v64, v64, v86, v87
	v_mul_u32_u24_e32 v31, 0x10001, v31
	v_mul_u32_u24_e32 v86, 0x10001, v30
	v_pk_fma_f16 v82, v66, v78, v82
	v_pk_fma_f16 v83, v66, v32, v83
	;; [unrolled: 1-line block ×14, first 2 shown]
	ds_load_2addr_b64 v[30:33], v77 offset0:176 offset1:194
	v_pk_fma_f16 v74, v67, v81, v74
	v_pk_fma_f16 v78, v67, v86, v65
	ds_load_b128 v[64:67], v52 offset:400
	s_wait_dscnt 0x2
	v_dual_lshrrev_b32 v79, 16, v8 :: v_dual_lshrrev_b32 v80, 16, v9
	v_and_b32_e32 v8, 0xffff, v8
	v_and_b32_e32 v9, 0xffff, v9
	v_dual_lshrrev_b32 v81, 16, v10 :: v_dual_lshrrev_b32 v86, 16, v11
	v_and_b32_e32 v10, 0xffff, v10
	s_delay_alu instid0(VALU_DEP_4)
	v_mul_u32_u24_e32 v8, 0x10001, v8
	v_and_b32_e32 v11, 0xffff, v11
	v_mul_u32_u24_e32 v9, 0x10001, v9
	v_mul_u32_u24_e32 v79, 0x10001, v79
	;; [unrolled: 1-line block ×7, first 2 shown]
	s_wait_dscnt 0x1
	v_pk_fma_f16 v82, v30, v8, v82
	v_pk_fma_f16 v84, v30, v9, v84
	v_pk_fma_f16 v63, v31, v8, v63
	v_pk_fma_f16 v72, v31, v9, v72
	s_wait_dscnt 0x0
	v_lshrrev_b32_e32 v8, 16, v64
	v_and_b32_e32 v9, 0xffff, v64
	v_pk_fma_f16 v68, v30, v10, v68
	v_pk_fma_f16 v70, v30, v11, v70
	;; [unrolled: 1-line block ×8, first 2 shown]
	v_dual_lshrrev_b32 v10, 16, v65 :: v_dual_lshrrev_b32 v11, 16, v66
	v_lshrrev_b32_e32 v64, 16, v67
	v_mul_u32_u24_e32 v78, 0x10001, v9
	v_and_b32_e32 v9, 0xffff, v66
	v_mul_u32_u24_e32 v66, 0x10001, v8
	v_and_b32_e32 v8, 0xffff, v67
	v_pk_fma_f16 v83, v30, v79, v83
	v_pk_fma_f16 v85, v30, v80, v85
	;; [unrolled: 1-line block ×3, first 2 shown]
	v_and_b32_e32 v65, 0xffff, v65
	v_mul_u32_u24_e32 v67, 0x10001, v10
	v_mul_u32_u24_e32 v79, 0x10001, v9
	;; [unrolled: 1-line block ×4, first 2 shown]
	ds_load_b128 v[8:11], v52 offset:416
	v_pk_fma_f16 v30, v30, v86, v87
	v_mul_u32_u24_e32 v65, 0x10001, v65
	v_mul_u32_u24_e32 v86, 0x10001, v64
	v_pk_fma_f16 v82, v32, v78, v82
	v_pk_fma_f16 v83, v32, v66, v83
	;; [unrolled: 1-line block ×14, first 2 shown]
	ds_load_2addr_b64 v[64:67], v77 offset0:212 offset1:230
	v_pk_fma_f16 v74, v33, v81, v74
	v_pk_fma_f16 v77, v33, v86, v31
	ds_load_b128 v[30:33], v52 offset:432
	s_wait_dscnt 0x2
	v_dual_lshrrev_b32 v78, 16, v8 :: v_dual_lshrrev_b32 v79, 16, v9
	v_and_b32_e32 v8, 0xffff, v8
	v_and_b32_e32 v9, 0xffff, v9
	v_dual_lshrrev_b32 v80, 16, v10 :: v_dual_lshrrev_b32 v81, 16, v11
	v_and_b32_e32 v10, 0xffff, v10
	s_delay_alu instid0(VALU_DEP_4)
	v_mul_u32_u24_e32 v8, 0x10001, v8
	v_and_b32_e32 v11, 0xffff, v11
	v_mul_u32_u24_e32 v9, 0x10001, v9
	v_mul_u32_u24_e32 v78, 0x10001, v78
	;; [unrolled: 1-line block ×7, first 2 shown]
	s_wait_dscnt 0x1
	v_pk_fma_f16 v82, v64, v8, v82
	v_pk_fma_f16 v84, v64, v9, v84
	;; [unrolled: 1-line block ×4, first 2 shown]
	s_wait_dscnt 0x0
	v_lshrrev_b32_e32 v8, 16, v30
	v_and_b32_e32 v9, 0xffff, v30
	v_pk_fma_f16 v68, v64, v10, v68
	v_pk_fma_f16 v70, v64, v11, v70
	;; [unrolled: 1-line block ×8, first 2 shown]
	v_dual_lshrrev_b32 v10, 16, v31 :: v_dual_lshrrev_b32 v11, 16, v32
	v_lshrrev_b32_e32 v30, 16, v33
	v_mul_u32_u24_e32 v77, 0x10001, v9
	v_and_b32_e32 v9, 0xffff, v32
	v_mul_u32_u24_e32 v32, 0x10001, v8
	v_and_b32_e32 v8, 0xffff, v33
	v_pk_fma_f16 v83, v64, v78, v83
	v_pk_fma_f16 v85, v64, v79, v85
	;; [unrolled: 1-line block ×3, first 2 shown]
	v_and_b32_e32 v31, 0xffff, v31
	v_mul_u32_u24_e32 v33, 0x10001, v10
	v_mul_u32_u24_e32 v78, 0x10001, v9
	;; [unrolled: 1-line block ×4, first 2 shown]
	ds_load_b128 v[8:11], v52 offset:448
	v_pk_fma_f16 v64, v64, v81, v87
	v_mul_u32_u24_e32 v31, 0x10001, v31
	v_mul_u32_u24_e32 v81, 0x10001, v30
	v_add_nc_u32_e32 v30, 0xc00, v53
	v_pk_fma_f16 v82, v66, v77, v82
	v_pk_fma_f16 v83, v66, v32, v83
	;; [unrolled: 1-line block ×14, first 2 shown]
	ds_load_2addr_b64 v[30:33], v30 offset0:120 offset1:138
	v_pk_fma_f16 v74, v67, v80, v74
	v_pk_fma_f16 v77, v67, v81, v65
	ds_load_b128 v[64:67], v52 offset:464
	s_wait_dscnt 0x2
	v_dual_lshrrev_b32 v78, 16, v8 :: v_dual_lshrrev_b32 v79, 16, v9
	v_and_b32_e32 v8, 0xffff, v8
	v_and_b32_e32 v9, 0xffff, v9
	v_dual_lshrrev_b32 v80, 16, v10 :: v_dual_lshrrev_b32 v81, 16, v11
	v_and_b32_e32 v10, 0xffff, v10
	s_delay_alu instid0(VALU_DEP_4)
	v_mul_u32_u24_e32 v8, 0x10001, v8
	v_and_b32_e32 v11, 0xffff, v11
	v_mul_u32_u24_e32 v9, 0x10001, v9
	v_mul_u32_u24_e32 v78, 0x10001, v78
	;; [unrolled: 1-line block ×7, first 2 shown]
	s_wait_dscnt 0x1
	v_pk_fma_f16 v82, v30, v8, v82
	v_pk_fma_f16 v84, v30, v9, v84
	v_pk_fma_f16 v63, v31, v8, v63
	v_pk_fma_f16 v72, v31, v9, v72
	s_wait_dscnt 0x0
	v_lshrrev_b32_e32 v8, 16, v64
	v_and_b32_e32 v9, 0xffff, v64
	v_pk_fma_f16 v68, v30, v10, v68
	v_pk_fma_f16 v70, v30, v11, v70
	;; [unrolled: 1-line block ×8, first 2 shown]
	v_dual_lshrrev_b32 v10, 16, v65 :: v_dual_lshrrev_b32 v11, 16, v66
	v_lshrrev_b32_e32 v64, 16, v67
	v_and_b32_e32 v65, 0xffff, v65
	v_mul_u32_u24_e32 v77, 0x10001, v9
	v_and_b32_e32 v9, 0xffff, v66
	v_mul_u32_u24_e32 v66, 0x10001, v8
	v_and_b32_e32 v8, 0xffff, v67
	v_pk_fma_f16 v83, v30, v78, v83
	v_pk_fma_f16 v85, v30, v79, v85
	;; [unrolled: 1-line block ×4, first 2 shown]
	v_mul_u32_u24_e32 v65, 0x10001, v65
	v_mul_u32_u24_e32 v67, 0x10001, v10
	;; [unrolled: 1-line block ×6, first 2 shown]
	ds_load_b128 v[8:11], v52 offset:480
	v_pk_fma_f16 v81, v32, v77, v82
	v_pk_fma_f16 v82, v32, v66, v83
	;; [unrolled: 1-line block ×5, first 2 shown]
	v_add_nc_u32_e32 v30, 0x1000, v53
	v_pk_fma_f16 v68, v32, v78, v68
	v_pk_fma_f16 v69, v32, v79, v69
	;; [unrolled: 1-line block ×9, first 2 shown]
	ds_load_2addr_b64 v[76:79], v30 offset0:28 offset1:46
	v_pk_fma_f16 v73, v33, v80, v74
	v_pk_fma_f16 v64, v33, v64, v31
	ds_load_b128 v[30:33], v52 offset:496
	s_wait_dscnt 0x0
	s_barrier_signal -1
	s_barrier_wait -1
	s_load_b32 s3, s[42:43], 0x4
	v_dual_lshrrev_b32 v74, 16, v8 :: v_dual_lshrrev_b32 v75, 16, v9
	v_and_b32_e32 v8, 0xffff, v8
	v_dual_lshrrev_b32 v80, 16, v10 :: v_dual_lshrrev_b32 v86, 16, v11
	v_and_b32_e32 v9, 0xffff, v9
	v_and_b32_e32 v10, 0xffff, v10
	s_delay_alu instid0(VALU_DEP_4)
	v_mul_u32_u24_e32 v8, 0x10001, v8
	v_and_b32_e32 v11, 0xffff, v11
	v_mul_u32_u24_e32 v75, 0x10001, v75
	v_mul_u32_u24_e32 v9, 0x10001, v9
	;; [unrolled: 1-line block ×7, first 2 shown]
	v_pk_fma_f16 v81, v76, v8, v81
	v_pk_fma_f16 v83, v76, v9, v83
	;; [unrolled: 1-line block ×6, first 2 shown]
	v_dual_lshrrev_b32 v63, 16, v30 :: v_dual_lshrrev_b32 v65, 16, v31
	v_and_b32_e32 v30, 0xffff, v30
	v_and_b32_e32 v31, 0xffff, v31
	v_dual_lshrrev_b32 v67, 16, v32 :: v_dual_lshrrev_b32 v69, 16, v33
	v_and_b32_e32 v32, 0xffff, v32
	v_and_b32_e32 v33, 0xffff, v33
	v_pk_fma_f16 v82, v76, v74, v82
	v_pk_fma_f16 v84, v76, v75, v84
	;; [unrolled: 1-line block ×10, first 2 shown]
	v_mul_u32_u24_e32 v30, 0x10001, v30
	v_mul_u32_u24_e32 v71, 0x10001, v63
	;; [unrolled: 1-line block ×8, first 2 shown]
	s_wait_kmcnt 0x0
	s_lshl_b32 s3, s3, 5
	v_pk_fma_f16 v77, v78, v30, v81
	v_pk_fma_f16 v76, v78, v71, v82
	;; [unrolled: 1-line block ×16, first 2 shown]
	s_add_co_i32 s22, s3, s22
	s_delay_alu instid0(SALU_CYCLE_1)
	s_cmp_ge_i32 s22, s38
	s_cbranch_scc1 .LBB33_29
; %bb.28:                               ;   in Loop: Header=BB33_23 Depth=1
	v_dual_mov_b32 v79, v0 :: v_dual_mov_b32 v80, v1
	v_dual_mov_b32 v81, v2 :: v_dual_mov_b32 v82, v3
	;; [unrolled: 1-line block ×4, first 2 shown]
	s_branch .LBB33_23
.LBB33_29:
	v_mov_b32_e32 v8, v48
.LBB33_30:
	v_cmp_lt_i32_e32 vcc_lo, v49, v43
	s_cmp_lg_u64 s[20:21], 0
	s_cselect_b32 s3, -1, 0
	s_cmp_eq_u32 s39, 0
	v_cndmask_b32_e32 v9, v8, v49, vcc_lo
	v_cmp_lt_i32_e32 vcc_lo, v47, v43
	s_cselect_b32 s4, -1, 0
	s_delay_alu instid0(SALU_CYCLE_1) | instskip(NEXT) | instid1(VALU_DEP_2)
	s_and_b32 s3, s4, s3
	v_lshlrev_b32_e32 v9, 2, v9
	ds_bpermute_b32 v10, v9, v20
	ds_bpermute_b32 v11, v9, v21
	ds_bpermute_b32 v12, v9, v18
	ds_bpermute_b32 v13, v9, v19
	ds_bpermute_b32 v22, v9, v16
	ds_bpermute_b32 v23, v9, v17
	ds_bpermute_b32 v24, v9, v14
	ds_bpermute_b32 v25, v9, v15
	v_cndmask_b32_e32 v9, v8, v47, vcc_lo
	v_cmp_lt_i32_e32 vcc_lo, v46, v43
	s_delay_alu instid0(VALU_DEP_2)
	v_lshlrev_b32_e32 v9, 2, v9
	s_wait_dscnt 0x6
	v_pk_add_f32 v[10:11], v[20:21], v[10:11]
	s_wait_dscnt 0x4
	v_pk_add_f32 v[12:13], v[18:19], v[12:13]
	;; [unrolled: 2-line block ×3, first 2 shown]
	ds_bpermute_b32 v18, v9, v10
	s_wait_dscnt 0x1
	v_pk_add_f32 v[14:15], v[14:15], v[24:25]
	ds_bpermute_b32 v19, v9, v11
	ds_bpermute_b32 v20, v9, v12
	;; [unrolled: 1-line block ×7, first 2 shown]
	v_cndmask_b32_e32 v9, v8, v46, vcc_lo
	v_cmp_lt_i32_e32 vcc_lo, v45, v43
	s_delay_alu instid0(VALU_DEP_2)
	v_lshlrev_b32_e32 v9, 2, v9
	s_wait_dscnt 0x6
	v_pk_add_f32 v[10:11], v[10:11], v[18:19]
	s_wait_dscnt 0x4
	v_pk_add_f32 v[12:13], v[12:13], v[20:21]
	;; [unrolled: 2-line block ×3, first 2 shown]
	ds_bpermute_b32 v18, v9, v10
	s_wait_dscnt 0x1
	v_pk_add_f32 v[14:15], v[14:15], v[24:25]
	ds_bpermute_b32 v19, v9, v11
	ds_bpermute_b32 v20, v9, v12
	ds_bpermute_b32 v21, v9, v13
	ds_bpermute_b32 v22, v9, v16
	ds_bpermute_b32 v23, v9, v17
	ds_bpermute_b32 v24, v9, v14
	ds_bpermute_b32 v25, v9, v15
	v_cndmask_b32_e32 v9, v8, v45, vcc_lo
	v_cmp_lt_i32_e32 vcc_lo, v44, v43
	s_delay_alu instid0(VALU_DEP_2) | instskip(SKIP_1) | instid1(VALU_DEP_1)
	v_dual_cndmask_b32 v8, v8, v44 :: v_dual_lshlrev_b32 v9, 2, v9
	s_and_b32 vcc_lo, exec_lo, s3
	v_lshlrev_b32_e32 v26, 2, v8
	s_wait_dscnt 0x6
	v_pk_add_f32 v[10:11], v[10:11], v[18:19]
	s_wait_dscnt 0x4
	v_pk_add_f32 v[12:13], v[12:13], v[20:21]
	;; [unrolled: 2-line block ×3, first 2 shown]
	ds_bpermute_b32 v18, v9, v10
	s_wait_dscnt 0x1
	v_pk_add_f32 v[14:15], v[14:15], v[24:25]
	ds_bpermute_b32 v19, v9, v11
	ds_bpermute_b32 v20, v9, v12
	;; [unrolled: 1-line block ×7, first 2 shown]
	s_wait_dscnt 0x6
	v_pk_add_f32 v[8:9], v[10:11], v[18:19]
	s_wait_dscnt 0x4
	v_pk_add_f32 v[10:11], v[12:13], v[20:21]
	;; [unrolled: 2-line block ×3, first 2 shown]
	ds_bpermute_b32 v12, v26, v8
	s_wait_dscnt 0x1
	v_pk_add_f32 v[18:19], v[14:15], v[24:25]
	ds_bpermute_b32 v13, v26, v9
	ds_bpermute_b32 v20, v26, v10
	;; [unrolled: 1-line block ×7, first 2 shown]
	s_wait_dscnt 0x6
	v_pk_add_f32 v[14:15], v[8:9], v[12:13]
	s_wait_dscnt 0x4
	v_pk_add_f32 v[12:13], v[10:11], v[20:21]
	;; [unrolled: 2-line block ×4, first 2 shown]
	s_cbranch_vccz .LBB33_32
; %bb.31:
	s_ashr_i32 s35, s34, 31
	v_dual_mov_b32 v16, 0 :: v_dual_max_num_f32 v17, v1, v1
	s_lshl_b64 s[4:5], s[34:35], 2
	v_dual_max_num_f32 v19, v3, v3 :: v_dual_max_num_f32 v20, v4, v4
	s_add_nc_u64 s[4:5], s[20:21], s[4:5]
	v_max_num_f32_e32 v18, v2, v2
	global_load_b64 v[24:25], v16, s[4:5]
	s_wait_xcnt 0x0
	v_dual_max_num_f32 v16, v0, v0 :: v_dual_max_num_f32 v21, v5, v5
	s_wait_loadcnt 0x0
	v_dual_max_num_f32 v26, v6, v6 :: v_dual_max_num_f32 v22, v24, v24
	v_dual_max_num_f32 v23, v25, v25 :: v_dual_max_num_f32 v27, v7, v7
	s_delay_alu instid0(VALU_DEP_1) | instskip(SKIP_2) | instid1(VALU_DEP_4)
	v_dual_max_num_f32 v16, v16, v22 :: v_dual_max_num_f32 v17, v17, v23
	v_dual_max_num_f32 v18, v18, v22 :: v_dual_max_num_f32 v19, v19, v23
	;; [unrolled: 1-line block ×4, first 2 shown]
	s_delay_alu instid0(VALU_DEP_4) | instskip(SKIP_2) | instid1(VALU_DEP_3)
	v_sub_f32_e32 v0, v0, v16
	v_dual_sub_f32 v26, v24, v16 :: v_dual_sub_f32 v1, v1, v17
	v_dual_sub_f32 v27, v25, v17 :: v_dual_sub_f32 v28, v2, v18
	v_dual_mul_f32 v2, 0x3fb8aa3b, v0 :: v_dual_sub_f32 v29, v24, v18
	v_dual_sub_f32 v30, v3, v19 :: v_dual_sub_f32 v31, v25, v19
	v_sub_f32_e32 v32, v4, v20
	v_dual_sub_f32 v33, v24, v20 :: v_dual_sub_f32 v43, v5, v21
	v_dual_sub_f32 v44, v25, v21 :: v_dual_sub_f32 v45, v6, v22
	v_dual_sub_f32 v48, v25, v23 :: v_dual_mul_f32 v3, 0x3fb8aa3b, v26
	v_dual_mul_f32 v4, 0x3fb8aa3b, v1 :: v_dual_mul_f32 v25, 0x3fb8aa3b, v31
	v_dual_mul_f32 v5, 0x3fb8aa3b, v27 :: v_dual_mul_f32 v6, 0x3fb8aa3b, v28
	v_fma_f32 v57, 0x3fb8aa3b, v0, -v2
	v_rndne_f32_e32 v58, v2
	v_dual_sub_f32 v46, v24, v22 :: v_dual_sub_f32 v47, v7, v23
	v_dual_mul_f32 v7, 0x3fb8aa3b, v29 :: v_dual_mul_f32 v24, 0x3fb8aa3b, v30
	v_dual_mul_f32 v49, 0x3fb8aa3b, v32 :: v_dual_mul_f32 v50, 0x3fb8aa3b, v33
	v_mul_f32_e32 v51, 0x3fb8aa3b, v43
	v_fma_f32 v59, 0x3fb8aa3b, v26, -v3
	v_rndne_f32_e32 v60, v3
	v_fma_f32 v61, 0x3fb8aa3b, v1, -v4
	v_rndne_f32_e32 v62, v4
	v_fma_f32 v81, 0x3fb8aa3b, v28, -v6
	v_dual_fmac_f32 v57, 0x32a5705f, v0 :: v_dual_sub_f32 v2, v2, v58
	v_rndne_f32_e32 v82, v6
	v_fma_f32 v89, 0x3fb8aa3b, v32, -v49
	v_rndne_f32_e32 v90, v49
	v_rndne_f32_e32 v92, v50
	v_fmac_f32_e32 v59, 0x32a5705f, v26
	v_dual_sub_f32 v3, v3, v60 :: v_dual_sub_f32 v4, v4, v62
	v_dual_fmac_f32 v61, 0x32a5705f, v1 :: v_dual_sub_f32 v6, v6, v82
	v_dual_fmac_f32 v81, 0x32a5705f, v28 :: v_dual_add_f32 v2, v2, v57
	v_dual_mul_f32 v56, 0x3fb8aa3b, v48 :: v_dual_sub_f32 v49, v49, v90
	v_fma_f32 v79, 0x3fb8aa3b, v27, -v5
	v_rndne_f32_e32 v80, v5
	v_fma_f32 v91, 0x3fb8aa3b, v33, -v50
	v_dual_fmac_f32 v89, 0x32a5705f, v32 :: v_dual_add_f32 v4, v4, v61
	v_dual_sub_f32 v50, v50, v92 :: v_dual_add_f32 v3, v3, v59
	v_exp_f32_e32 v2, v2
	v_dual_mul_f32 v54, 0x3fb8aa3b, v46 :: v_dual_mul_f32 v55, 0x3fb8aa3b, v47
	v_cvt_i32_f32_e32 v58, v58
	v_dual_mul_f32 v52, 0x3fb8aa3b, v44 :: v_dual_mul_f32 v53, 0x3fb8aa3b, v45
	v_fma_f32 v85, 0x3fb8aa3b, v30, -v24
	v_rndne_f32_e32 v86, v24
	v_fma_f32 v93, 0x3fb8aa3b, v43, -v51
	v_rndne_f32_e32 v94, v51
	v_fmac_f32_e32 v79, 0x32a5705f, v27
	v_sub_f32_e32 v5, v5, v80
	v_add_f32_e32 v49, v49, v89
	v_exp_f32_e32 v3, v3
	v_fma_f32 v101, 0x3fb8aa3b, v47, -v55
	v_cvt_i32_f32_e32 v60, v60
	v_ldexp_f32 v2, v2, v58
	v_cmp_ngt_f32_e32 vcc_lo, 0xc2ce8ed0, v0
	v_fma_f32 v83, 0x3fb8aa3b, v29, -v7
	v_rndne_f32_e32 v84, v7
	v_fma_f32 v95, 0x3fb8aa3b, v44, -v52
	v_rndne_f32_e32 v96, v52
	v_rndne_f32_e32 v100, v54
	v_fmac_f32_e32 v85, 0x32a5705f, v30
	v_dual_sub_f32 v24, v24, v86 :: v_dual_fmac_f32 v93, 0x32a5705f, v43
	v_dual_add_f32 v6, v6, v81 :: v_dual_sub_f32 v51, v51, v94
	v_add_f32_e32 v5, v5, v79
	v_exp_f32_e32 v4, v4
	v_cvt_i32_f32_e32 v62, v62
	v_dual_fmac_f32 v101, 0x32a5705f, v47 :: v_dual_cndmask_b32 v2, 0, v2
	v_ldexp_f32 v3, v3, v60
	v_cmp_ngt_f32_e32 vcc_lo, 0xc2ce8ed0, v26
	v_fma_f32 v97, 0x3fb8aa3b, v45, -v53
	v_rndne_f32_e32 v98, v53
	v_fma_f32 v99, 0x3fb8aa3b, v46, -v54
	v_dual_fmac_f32 v83, 0x32a5705f, v29 :: v_dual_sub_f32 v52, v52, v96
	s_delay_alu instid0(VALU_DEP_3)
	v_dual_sub_f32 v7, v7, v84 :: v_dual_sub_f32 v53, v53, v98
	v_sub_f32_e32 v54, v54, v100
	v_dual_fmac_f32 v95, 0x32a5705f, v44 :: v_dual_add_f32 v24, v24, v85
	v_fmac_f32_e32 v91, 0x32a5705f, v33
	v_add_f32_e32 v51, v51, v93
	v_exp_f32_e32 v5, v5
	v_cvt_i32_f32_e32 v80, v80
	v_ldexp_f32 v4, v4, v62
	v_cndmask_b32_e32 v3, 0, v3, vcc_lo
	v_cmp_ngt_f32_e32 vcc_lo, 0xc2ce8ed0, v1
	v_fma_f32 v87, 0x3fb8aa3b, v31, -v25
	v_rndne_f32_e32 v88, v25
	v_dual_add_f32 v52, v52, v95 :: v_dual_fmac_f32 v97, 0x32a5705f, v45
	v_add_f32_e32 v50, v50, v91
	v_add_f32_e32 v7, v7, v83
	v_exp_f32_e32 v6, v6
	v_cvt_i32_f32_e32 v82, v82
	v_ldexp_f32 v5, v5, v80
	v_cndmask_b32_e32 v4, 0, v4, vcc_lo
	v_cmp_ngt_f32_e32 vcc_lo, 0xc2ce8ed0, v27
	v_rndne_f32_e32 v102, v55
	v_rndne_f32_e32 v104, v56
	v_fmac_f32_e32 v87, 0x32a5705f, v31
	v_sub_f32_e32 v25, v25, v88
	v_add_f32_e32 v53, v53, v97
	v_exp_f32_e32 v7, v7
	v_cvt_i32_f32_e32 v84, v84
	v_ldexp_f32 v6, v6, v82
	v_cndmask_b32_e32 v5, 0, v5, vcc_lo
	v_cmp_ngt_f32_e32 vcc_lo, 0xc2ce8ed0, v28
	v_fma_f32 v103, 0x3fb8aa3b, v48, -v56
	v_dual_sub_f32 v55, v55, v102 :: v_dual_sub_f32 v56, v56, v104
	v_add_f32_e32 v25, v25, v87
	v_exp_f32_e32 v24, v24
	v_cvt_i32_f32_e32 v86, v86
	v_ldexp_f32 v7, v7, v84
	v_cndmask_b32_e32 v6, 0, v6, vcc_lo
	v_cmp_ngt_f32_e32 vcc_lo, 0xc2ce8ed0, v29
	v_add_f32_e32 v55, v55, v101
	v_exp_f32_e32 v25, v25
	v_cvt_i32_f32_e32 v88, v88
	v_ldexp_f32 v24, v24, v86
	v_cndmask_b32_e32 v7, 0, v7, vcc_lo
	v_cmp_ngt_f32_e32 vcc_lo, 0xc2ce8ed0, v30
	v_exp_f32_e32 v49, v49
	v_exp_f32_e32 v50, v50
	v_cvt_i32_f32_e32 v90, v90
	v_cvt_i32_f32_e32 v92, v92
	v_ldexp_f32 v25, v25, v88
	v_cndmask_b32_e32 v24, 0, v24, vcc_lo
	v_cmp_ngt_f32_e32 vcc_lo, 0xc2ce8ed0, v31
	v_exp_f32_e32 v51, v51
	v_cvt_i32_f32_e32 v94, v94
	v_ldexp_f32 v49, v49, v90
	v_ldexp_f32 v50, v50, v92
	v_cndmask_b32_e32 v25, 0, v25, vcc_lo
	v_cmp_ngt_f32_e32 vcc_lo, 0xc2ce8ed0, v32
	v_fmac_f32_e32 v103, 0x32a5705f, v48
	v_ldexp_f32 v51, v51, v94
	v_fmac_f32_e32 v99, 0x32a5705f, v46
	v_exp_f32_e32 v52, v52
	v_cndmask_b32_e32 v49, 0, v49, vcc_lo
	v_cmp_ngt_f32_e32 vcc_lo, 0xc2ce8ed0, v33
	v_cvt_i32_f32_e32 v96, v96
	v_add_f32_e32 v56, v56, v103
	v_add_f32_e32 v54, v54, v99
	v_exp_f32_e32 v53, v53
	v_cndmask_b32_e32 v50, 0, v50, vcc_lo
	v_cmp_ngt_f32_e32 vcc_lo, 0xc2ce8ed0, v43
	v_cvt_i32_f32_e32 v98, v98
	v_ldexp_f32 v52, v52, v96
	v_exp_f32_e32 v54, v54
	v_cvt_i32_f32_e32 v100, v100
	v_cndmask_b32_e32 v51, 0, v51, vcc_lo
	v_cmp_ngt_f32_e32 vcc_lo, 0xc2ce8ed0, v44
	v_ldexp_f32 v53, v53, v98
	v_exp_f32_e32 v55, v55
	v_cvt_i32_f32_e32 v102, v102
	v_ldexp_f32 v54, v54, v100
	v_cndmask_b32_e32 v52, 0, v52, vcc_lo
	v_cmp_ngt_f32_e32 vcc_lo, 0xc2ce8ed0, v45
	v_exp_f32_e32 v56, v56
	v_cvt_i32_f32_e32 v104, v104
	v_ldexp_f32 v55, v55, v102
	v_cndmask_b32_e32 v53, 0, v53, vcc_lo
	v_cmp_ngt_f32_e32 vcc_lo, 0xc2ce8ed0, v46
	s_delay_alu instid0(TRANS32_DEP_1) | instid1(VALU_DEP_4)
	v_ldexp_f32 v56, v56, v104
	v_cndmask_b32_e32 v54, 0, v54, vcc_lo
	v_cmp_ngt_f32_e32 vcc_lo, 0xc2ce8ed0, v47
	v_cndmask_b32_e32 v55, 0, v55, vcc_lo
	v_cmp_ngt_f32_e32 vcc_lo, 0xc2ce8ed0, v48
	v_cndmask_b32_e32 v56, 0, v56, vcc_lo
	v_cmp_nlt_f32_e32 vcc_lo, 0x42b17218, v0
	v_cndmask_b32_e32 v0, 0x7f800000, v2, vcc_lo
	v_cmp_nlt_f32_e32 vcc_lo, 0x42b17218, v26
	;; [unrolled: 2-line block ×5, first 2 shown]
	s_delay_alu instid0(VALU_DEP_2)
	v_pk_fma_f32 v[14:15], v[14:15], v[0:1], v[2:3]
	v_cndmask_b32_e32 v4, 0x7f800000, v6, vcc_lo
	v_cmp_nlt_f32_e32 vcc_lo, 0x42b17218, v29
	v_cndmask_b32_e32 v6, 0x7f800000, v7, vcc_lo
	v_cmp_nlt_f32_e32 vcc_lo, 0x42b17218, v30
	;; [unrolled: 2-line block ×4, first 2 shown]
	v_cvt_f16_f32_e32 v32, v0
	s_delay_alu instid0(VALU_DEP_3)
	v_pk_fma_f32 v[12:13], v[12:13], v[4:5], v[6:7]
	v_cndmask_b32_e32 v24, 0x7f800000, v49, vcc_lo
	v_cmp_nlt_f32_e32 vcc_lo, 0x42b17218, v33
	v_cvt_f16_f32_e32 v33, v1
	v_and_b32_e32 v0, 0xffff, v32
	v_cndmask_b32_e32 v26, 0x7f800000, v50, vcc_lo
	v_cmp_nlt_f32_e32 vcc_lo, 0x42b17218, v43
	v_cvt_f16_f32_e32 v43, v4
	v_and_b32_e32 v1, 0xffff, v33
	v_mul_u32_u24_e32 v0, 0x10001, v0
	v_cndmask_b32_e32 v25, 0x7f800000, v51, vcc_lo
	v_cmp_nlt_f32_e32 vcc_lo, 0x42b17218, v44
	v_cvt_f16_f32_e32 v44, v5
	v_and_b32_e32 v2, 0xffff, v43
	v_mul_u32_u24_e32 v1, 0x10001, v1
	v_pk_mul_f16 v77, v77, v0
	v_cndmask_b32_e32 v27, 0x7f800000, v52, vcc_lo
	v_cmp_nlt_f32_e32 vcc_lo, 0x42b17218, v45
	v_cvt_f16_f32_e32 v45, v24
	v_and_b32_e32 v3, 0xffff, v44
	v_mul_u32_u24_e32 v2, 0x10001, v2
	v_pk_mul_f16 v78, v78, v0
	;; [unrolled: 6-line block ×4, first 2 shown]
	v_cndmask_b32_e32 v29, 0x7f800000, v55, vcc_lo
	v_cmp_nlt_f32_e32 vcc_lo, 0x42b17218, v48
	v_and_b32_e32 v6, 0xffff, v47
	v_mul_u32_u24_e32 v5, 0x10001, v5
	v_pk_mul_f16 v73, v73, v2
	v_cvt_f16_f32_e32 v48, v29
	v_cndmask_b32_e32 v31, 0x7f800000, v56, vcc_lo
	v_mul_u32_u24_e32 v6, 0x10001, v6
	v_pk_mul_f16 v74, v74, v2
	v_pk_mul_f16 v72, v72, v3
	v_and_b32_e32 v7, 0xffff, v48
	v_pk_mul_f16 v71, v71, v3
	v_pk_mul_f16 v69, v69, v4
	;; [unrolled: 1-line block ×4, first 2 shown]
	v_mul_u32_u24_e32 v7, 0x10001, v7
	v_pk_mul_f16 v68, v68, v5
	v_pk_mul_f16 v65, v65, v6
	;; [unrolled: 1-line block ×3, first 2 shown]
	v_pk_fma_f32 v[10:11], v[10:11], v[24:25], v[26:27]
	v_pk_mul_f16 v63, v63, v7
	v_pk_mul_f16 v64, v64, v7
	v_mov_b64_e32 v[0:1], v[16:17]
	v_mov_b64_e32 v[2:3], v[18:19]
	;; [unrolled: 1-line block ×4, first 2 shown]
	v_pk_fma_f32 v[8:9], v[8:9], v[28:29], v[30:31]
.LBB33_32:
	v_add_nc_u32_e32 v16, s33, v42
	s_mov_b32 s3, exec_lo
	s_delay_alu instid0(VALU_DEP_1)
	v_cmpx_gt_i32_e64 s30, v16
	s_cbranch_execz .LBB33_87
; %bb.33:
	s_load_b32 s0, s[0:1], 0xd4
	v_mov_b32_e32 v16, 1.0
	s_wait_kmcnt 0x0
	s_cmp_lg_u32 s0, 1
	s_cselect_b32 s3, -1, 0
	s_cmp_eq_u32 s0, 1
	s_cselect_b32 s4, -1, 0
	s_and_b32 vcc_lo, exec_lo, s3
	s_cbranch_vccnz .LBB33_35
; %bb.34:
	v_div_scale_f32 v16, null, v14, v14, 1.0
	s_delay_alu instid0(VALU_DEP_1) | instskip(SKIP_1) | instid1(TRANS32_DEP_1)
	v_rcp_f32_e32 v17, v16
	v_nop
	v_fma_f32 v18, -v16, v17, 1.0
	s_delay_alu instid0(VALU_DEP_1) | instskip(SKIP_1) | instid1(VALU_DEP_1)
	v_fmac_f32_e32 v17, v18, v17
	v_div_scale_f32 v18, vcc_lo, 1.0, v14, 1.0
	v_mul_f32_e32 v19, v18, v17
	s_delay_alu instid0(VALU_DEP_1) | instskip(NEXT) | instid1(VALU_DEP_1)
	v_fma_f32 v20, -v16, v19, v18
	v_fmac_f32_e32 v19, v20, v17
	s_delay_alu instid0(VALU_DEP_1) | instskip(NEXT) | instid1(VALU_DEP_1)
	v_fma_f32 v16, -v16, v19, v18
	v_div_fmas_f32 v16, v16, v17, v19
	s_delay_alu instid0(VALU_DEP_1)
	v_div_fixup_f32 v16, v16, v14, 1.0
.LBB33_35:
	s_mul_i32 s1, s36, s30
	s_delay_alu instid0(SALU_CYCLE_1) | instskip(NEXT) | instid1(SALU_CYCLE_1)
	s_add_co_i32 s1, s1, s33
	v_add_nc_u32_e32 v17, s1, v42
	s_delay_alu instid0(VALU_DEP_1) | instskip(NEXT) | instid1(VALU_DEP_1)
	v_mul_lo_u32 v17, v17, s31
	v_add_nc_u32_e32 v18, s34, v17
	s_delay_alu instid0(VALU_DEP_1)
	v_mad_u32 v18, s0, v18, s39
	s_and_saveexec_b32 s5, s2
	s_cbranch_execz .LBB33_37
; %bb.36:
	s_delay_alu instid0(VALU_DEP_1) | instskip(SKIP_4) | instid1(VALU_DEP_4)
	v_mad_u32 v22, 0x48, v18, v34
	v_dual_lshrrev_b32 v19, 16, v77 :: v_dual_lshrrev_b32 v25, 16, v78
	v_mov_b32_e32 v23, 0
	v_cvt_f32_f16_e32 v20, v77
	v_cvt_f32_f16_e32 v24, v78
	;; [unrolled: 1-line block ×4, first 2 shown]
	s_delay_alu instid0(VALU_DEP_2) | instskip(SKIP_1) | instid1(VALU_DEP_3)
	v_pk_mul_f32 v[20:21], v[16:17], v[20:21] op_sel_hi:[0,1]
	v_lshl_add_u64 v[26:27], v[22:23], 2, s[24:25]
	v_pk_mul_f32 v[22:23], v[16:17], v[24:25] op_sel_hi:[0,1]
	global_store_b128 v[26:27], v[20:23], off
.LBB33_37:
	s_wait_xcnt 0x0
	s_or_b32 exec_lo, exec_lo, s5
	v_cmp_eq_u32_e32 vcc_lo, 0, v41
	s_and_b32 s3, vcc_lo, s3
	s_delay_alu instid0(SALU_CYCLE_1)
	s_and_saveexec_b32 s5, s3
	s_cbranch_execz .LBB33_39
; %bb.38:
	v_dual_mov_b32 v20, v0 :: v_dual_mov_b32 v21, v14
	global_store_b64 v18, v[20:21], s[26:27] scale_offset
.LBB33_39:
	s_wait_xcnt 0x0
	s_or_b32 exec_lo, exec_lo, s5
	v_cndmask_b32_e64 v16, 0, 1, s4
	v_mov_b32_e32 v0, 1.0
	s_and_not1_b32 vcc_lo, exec_lo, s4
	s_cbranch_vccnz .LBB33_41
; %bb.40:
	v_div_scale_f32 v0, null, v15, v15, 1.0
	s_delay_alu instid0(VALU_DEP_1) | instskip(SKIP_1) | instid1(TRANS32_DEP_1)
	v_rcp_f32_e32 v14, v0
	v_nop
	v_fma_f32 v18, -v0, v14, 1.0
	s_delay_alu instid0(VALU_DEP_1) | instskip(SKIP_1) | instid1(VALU_DEP_1)
	v_fmac_f32_e32 v14, v18, v14
	v_div_scale_f32 v18, vcc_lo, 1.0, v15, 1.0
	v_mul_f32_e32 v19, v18, v14
	s_delay_alu instid0(VALU_DEP_1) | instskip(NEXT) | instid1(VALU_DEP_1)
	v_fma_f32 v20, -v0, v19, v18
	v_fmac_f32_e32 v19, v20, v14
	s_delay_alu instid0(VALU_DEP_1) | instskip(NEXT) | instid1(VALU_DEP_1)
	v_fma_f32 v0, -v0, v19, v18
	v_div_fmas_f32 v0, v0, v14, v19
	s_delay_alu instid0(VALU_DEP_1)
	v_div_fixup_f32 v0, v0, v15, 1.0
.LBB33_41:
	s_add_co_i32 s4, s34, 1
	s_delay_alu instid0(SALU_CYCLE_1) | instskip(NEXT) | instid1(VALU_DEP_1)
	v_add_nc_u32_e32 v14, s4, v17
	v_mad_u32 v17, s0, v14, s39
	s_and_saveexec_b32 s5, s2
	s_cbranch_execz .LBB33_43
; %bb.42:
	s_delay_alu instid0(VALU_DEP_1) | instskip(SKIP_4) | instid1(VALU_DEP_4)
	v_mad_u32 v20, 0x48, v17, v34
	v_dual_lshrrev_b32 v14, 16, v76 :: v_dual_lshrrev_b32 v23, 16, v75
	v_mov_b32_e32 v21, 0
	v_cvt_f32_f16_e32 v18, v76
	v_cvt_f32_f16_e32 v22, v75
	;; [unrolled: 1-line block ×4, first 2 shown]
	s_delay_alu instid0(VALU_DEP_2) | instskip(SKIP_1) | instid1(VALU_DEP_3)
	v_pk_mul_f32 v[18:19], v[0:1], v[18:19] op_sel_hi:[0,1]
	v_lshl_add_u64 v[24:25], v[20:21], 2, s[24:25]
	v_pk_mul_f32 v[20:21], v[0:1], v[22:23] op_sel_hi:[0,1]
	global_store_b128 v[24:25], v[18:21], off
.LBB33_43:
	s_wait_xcnt 0x0
	s_or_b32 exec_lo, exec_lo, s5
	s_and_saveexec_b32 s5, s3
	s_cbranch_execz .LBB33_45
; %bb.44:
	v_mov_b32_e32 v14, v1
	global_store_b64 v17, v[14:15], s[26:27] scale_offset
.LBB33_45:
	s_wait_xcnt 0x0
	s_or_b32 exec_lo, exec_lo, s5
	v_add_nc_u32_e32 v0, s33, v40
	s_delay_alu instid0(VALU_DEP_1)
	v_cmp_gt_i32_e32 vcc_lo, s30, v0
	s_and_b32 exec_lo, exec_lo, vcc_lo
	s_cbranch_execz .LBB33_87
; %bb.46:
	v_cmp_ne_u32_e32 vcc_lo, 1, v16
	v_mov_b32_e32 v0, 1.0
	s_cbranch_vccnz .LBB33_48
; %bb.47:
	v_div_scale_f32 v0, null, v12, v12, 1.0
	s_delay_alu instid0(VALU_DEP_1) | instskip(SKIP_1) | instid1(TRANS32_DEP_1)
	v_rcp_f32_e32 v1, v0
	v_nop
	v_fma_f32 v14, -v0, v1, 1.0
	s_delay_alu instid0(VALU_DEP_1) | instskip(SKIP_1) | instid1(VALU_DEP_1)
	v_fmac_f32_e32 v1, v14, v1
	v_div_scale_f32 v14, vcc_lo, 1.0, v12, 1.0
	v_mul_f32_e32 v15, v14, v1
	s_delay_alu instid0(VALU_DEP_1) | instskip(NEXT) | instid1(VALU_DEP_1)
	v_fma_f32 v17, -v0, v15, v14
	v_fmac_f32_e32 v15, v17, v1
	s_delay_alu instid0(VALU_DEP_1) | instskip(NEXT) | instid1(VALU_DEP_1)
	v_fma_f32 v0, -v0, v15, v14
	v_div_fmas_f32 v0, v0, v1, v15
	s_delay_alu instid0(VALU_DEP_1)
	v_div_fixup_f32 v0, v0, v12, 1.0
.LBB33_48:
	v_add_nc_u32_e32 v1, s1, v40
	s_delay_alu instid0(VALU_DEP_1) | instskip(NEXT) | instid1(VALU_DEP_1)
	v_mad_u32 v1, v1, s31, s34
	v_mad_u32 v1, s0, v1, s39
	s_and_saveexec_b32 s5, s2
	s_cbranch_execz .LBB33_50
; %bb.49:
	s_delay_alu instid0(VALU_DEP_1) | instskip(SKIP_4) | instid1(VALU_DEP_4)
	v_mad_u32 v14, 0x48, v1, v34
	v_dual_lshrrev_b32 v17, 16, v73 :: v_dual_lshrrev_b32 v21, 16, v74
	v_mov_b32_e32 v15, 0
	v_cvt_f32_f16_e32 v18, v73
	v_cvt_f32_f16_e32 v20, v74
	;; [unrolled: 1-line block ×4, first 2 shown]
	s_delay_alu instid0(VALU_DEP_2) | instskip(SKIP_1) | instid1(VALU_DEP_3)
	v_pk_mul_f32 v[18:19], v[0:1], v[18:19] op_sel_hi:[0,1]
	v_lshl_add_u64 v[14:15], v[14:15], 2, s[24:25]
	v_pk_mul_f32 v[20:21], v[0:1], v[20:21] op_sel_hi:[0,1]
	global_store_b128 v[14:15], v[18:21], off
.LBB33_50:
	s_wait_xcnt 0x0
	s_or_b32 exec_lo, exec_lo, s5
	s_and_saveexec_b32 s5, s3
	s_cbranch_execz .LBB33_52
; %bb.51:
	v_dual_mov_b32 v14, v2 :: v_dual_mov_b32 v15, v12
	global_store_b64 v1, v[14:15], s[26:27] scale_offset
.LBB33_52:
	s_wait_xcnt 0x0
	s_or_b32 exec_lo, exec_lo, s5
	v_lshrrev_b32_e32 v1, 1, v39
	s_delay_alu instid0(VALU_DEP_1) | instskip(NEXT) | instid1(VALU_DEP_1)
	v_add_nc_u32_e32 v0, s33, v1
	v_cmp_gt_i32_e32 vcc_lo, s30, v0
	s_and_b32 exec_lo, exec_lo, vcc_lo
	s_cbranch_execz .LBB33_87
; %bb.53:
	v_cmp_ne_u32_e32 vcc_lo, 1, v16
	v_mov_b32_e32 v0, 1.0
	s_cbranch_vccnz .LBB33_55
; %bb.54:
	v_div_scale_f32 v0, null, v13, v13, 1.0
	s_delay_alu instid0(VALU_DEP_1) | instskip(SKIP_1) | instid1(TRANS32_DEP_1)
	v_rcp_f32_e32 v2, v0
	v_nop
	v_fma_f32 v12, -v0, v2, 1.0
	s_delay_alu instid0(VALU_DEP_1) | instskip(SKIP_1) | instid1(VALU_DEP_1)
	v_fmac_f32_e32 v2, v12, v2
	v_div_scale_f32 v12, vcc_lo, 1.0, v13, 1.0
	v_mul_f32_e32 v14, v12, v2
	s_delay_alu instid0(VALU_DEP_1) | instskip(NEXT) | instid1(VALU_DEP_1)
	v_fma_f32 v15, -v0, v14, v12
	v_fmac_f32_e32 v14, v15, v2
	s_delay_alu instid0(VALU_DEP_1) | instskip(NEXT) | instid1(VALU_DEP_1)
	v_fma_f32 v0, -v0, v14, v12
	v_div_fmas_f32 v0, v0, v2, v14
	s_delay_alu instid0(VALU_DEP_1)
	v_div_fixup_f32 v0, v0, v13, 1.0
.LBB33_55:
	v_add_nc_u32_e32 v1, s1, v1
	s_delay_alu instid0(VALU_DEP_1) | instskip(NEXT) | instid1(VALU_DEP_1)
	v_mad_u32 v1, v1, s31, s4
	v_mad_u32 v1, s0, v1, s39
	s_and_saveexec_b32 s5, s2
	s_cbranch_execz .LBB33_57
; %bb.56:
	s_delay_alu instid0(VALU_DEP_1) | instskip(SKIP_4) | instid1(VALU_DEP_4)
	v_mad_u32 v14, 0x48, v1, v34
	v_dual_lshrrev_b32 v2, 16, v72 :: v_dual_lshrrev_b32 v12, 16, v71
	v_mov_b32_e32 v15, 0
	v_cvt_f32_f16_e32 v18, v72
	v_cvt_f32_f16_e32 v20, v71
	;; [unrolled: 1-line block ×4, first 2 shown]
	s_delay_alu instid0(VALU_DEP_2) | instskip(SKIP_1) | instid1(VALU_DEP_3)
	v_pk_mul_f32 v[18:19], v[0:1], v[18:19] op_sel_hi:[0,1]
	v_lshl_add_u64 v[14:15], v[14:15], 2, s[24:25]
	v_pk_mul_f32 v[20:21], v[0:1], v[20:21] op_sel_hi:[0,1]
	global_store_b128 v[14:15], v[18:21], off
.LBB33_57:
	s_wait_xcnt 0x0
	s_or_b32 exec_lo, exec_lo, s5
	s_and_saveexec_b32 s5, s3
	s_cbranch_execz .LBB33_59
; %bb.58:
	v_mov_b32_e32 v12, v3
	global_store_b64 v1, v[12:13], s[26:27] scale_offset
.LBB33_59:
	s_wait_xcnt 0x0
	s_or_b32 exec_lo, exec_lo, s5
	v_lshrrev_b32_e32 v1, 1, v38
	s_delay_alu instid0(VALU_DEP_1) | instskip(NEXT) | instid1(VALU_DEP_1)
	v_add_nc_u32_e32 v0, s33, v1
	v_cmp_gt_i32_e32 vcc_lo, s30, v0
	s_and_b32 exec_lo, exec_lo, vcc_lo
	s_cbranch_execz .LBB33_87
; %bb.60:
	v_cmp_ne_u32_e32 vcc_lo, 1, v16
	v_mov_b32_e32 v0, 1.0
	s_cbranch_vccnz .LBB33_62
; %bb.61:
	v_div_scale_f32 v0, null, v10, v10, 1.0
	s_delay_alu instid0(VALU_DEP_1) | instskip(SKIP_1) | instid1(TRANS32_DEP_1)
	v_rcp_f32_e32 v2, v0
	v_nop
	v_fma_f32 v3, -v0, v2, 1.0
	s_delay_alu instid0(VALU_DEP_1) | instskip(SKIP_1) | instid1(VALU_DEP_1)
	v_fmac_f32_e32 v2, v3, v2
	v_div_scale_f32 v3, vcc_lo, 1.0, v10, 1.0
	v_mul_f32_e32 v12, v3, v2
	s_delay_alu instid0(VALU_DEP_1) | instskip(NEXT) | instid1(VALU_DEP_1)
	v_fma_f32 v13, -v0, v12, v3
	v_fmac_f32_e32 v12, v13, v2
	s_delay_alu instid0(VALU_DEP_1) | instskip(NEXT) | instid1(VALU_DEP_1)
	v_fma_f32 v0, -v0, v12, v3
	v_div_fmas_f32 v0, v0, v2, v12
	s_delay_alu instid0(VALU_DEP_1)
	v_div_fixup_f32 v0, v0, v10, 1.0
.LBB33_62:
	v_add_nc_u32_e32 v1, s1, v1
	s_delay_alu instid0(VALU_DEP_1) | instskip(NEXT) | instid1(VALU_DEP_1)
	v_mad_u32 v1, v1, s31, s34
	v_mad_u32 v1, s0, v1, s39
	s_and_saveexec_b32 s5, s2
	s_cbranch_execz .LBB33_64
; %bb.63:
	s_delay_alu instid0(VALU_DEP_1) | instskip(SKIP_4) | instid1(VALU_DEP_4)
	v_mad_u32 v2, 0x48, v1, v34
	v_dual_lshrrev_b32 v13, 16, v69 :: v_dual_lshrrev_b32 v15, 16, v70
	v_mov_b32_e32 v3, 0
	v_cvt_f32_f16_e32 v12, v69
	v_cvt_f32_f16_e32 v14, v70
	;; [unrolled: 1-line block ×4, first 2 shown]
	s_delay_alu instid0(VALU_DEP_2) | instskip(SKIP_1) | instid1(VALU_DEP_3)
	v_pk_mul_f32 v[12:13], v[0:1], v[12:13] op_sel_hi:[0,1]
	v_lshl_add_u64 v[2:3], v[2:3], 2, s[24:25]
	v_pk_mul_f32 v[14:15], v[0:1], v[14:15] op_sel_hi:[0,1]
	global_store_b128 v[2:3], v[12:15], off
.LBB33_64:
	s_wait_xcnt 0x0
	s_or_b32 exec_lo, exec_lo, s5
	s_and_saveexec_b32 s5, s3
	s_cbranch_execz .LBB33_66
; %bb.65:
	v_dual_mov_b32 v2, v4 :: v_dual_mov_b32 v3, v10
	global_store_b64 v1, v[2:3], s[26:27] scale_offset
.LBB33_66:
	s_wait_xcnt 0x0
	s_or_b32 exec_lo, exec_lo, s5
	v_lshrrev_b32_e32 v1, 1, v37
	s_delay_alu instid0(VALU_DEP_1) | instskip(NEXT) | instid1(VALU_DEP_1)
	v_add_nc_u32_e32 v0, s33, v1
	v_cmp_gt_i32_e32 vcc_lo, s30, v0
	s_and_b32 exec_lo, exec_lo, vcc_lo
	s_cbranch_execz .LBB33_87
; %bb.67:
	v_cmp_ne_u32_e32 vcc_lo, 1, v16
	v_mov_b32_e32 v0, 1.0
	s_cbranch_vccnz .LBB33_69
; %bb.68:
	v_div_scale_f32 v0, null, v11, v11, 1.0
	s_delay_alu instid0(VALU_DEP_1) | instskip(SKIP_1) | instid1(TRANS32_DEP_1)
	v_rcp_f32_e32 v2, v0
	v_nop
	v_fma_f32 v3, -v0, v2, 1.0
	s_delay_alu instid0(VALU_DEP_1) | instskip(SKIP_1) | instid1(VALU_DEP_1)
	v_fmac_f32_e32 v2, v3, v2
	v_div_scale_f32 v3, vcc_lo, 1.0, v11, 1.0
	v_mul_f32_e32 v4, v3, v2
	s_delay_alu instid0(VALU_DEP_1) | instskip(NEXT) | instid1(VALU_DEP_1)
	v_fma_f32 v10, -v0, v4, v3
	v_fmac_f32_e32 v4, v10, v2
	s_delay_alu instid0(VALU_DEP_1) | instskip(NEXT) | instid1(VALU_DEP_1)
	v_fma_f32 v0, -v0, v4, v3
	v_div_fmas_f32 v0, v0, v2, v4
	s_delay_alu instid0(VALU_DEP_1)
	v_div_fixup_f32 v0, v0, v11, 1.0
.LBB33_69:
	v_add_nc_u32_e32 v1, s1, v1
	s_delay_alu instid0(VALU_DEP_1) | instskip(NEXT) | instid1(VALU_DEP_1)
	v_mad_u32 v1, v1, s31, s4
	v_mad_u32 v1, s0, v1, s39
	s_and_saveexec_b32 s5, s2
	s_cbranch_execz .LBB33_71
; %bb.70:
	s_delay_alu instid0(VALU_DEP_1) | instskip(SKIP_4) | instid1(VALU_DEP_4)
	v_mad_u32 v2, 0x48, v1, v34
	v_dual_lshrrev_b32 v4, 16, v67 :: v_dual_lshrrev_b32 v10, 16, v68
	v_mov_b32_e32 v3, 0
	v_cvt_f32_f16_e32 v12, v67
	v_cvt_f32_f16_e32 v14, v68
	;; [unrolled: 1-line block ×4, first 2 shown]
	s_delay_alu instid0(VALU_DEP_2) | instskip(SKIP_1) | instid1(VALU_DEP_3)
	v_pk_mul_f32 v[12:13], v[0:1], v[12:13] op_sel_hi:[0,1]
	v_lshl_add_u64 v[2:3], v[2:3], 2, s[24:25]
	v_pk_mul_f32 v[14:15], v[0:1], v[14:15] op_sel_hi:[0,1]
	global_store_b128 v[2:3], v[12:15], off
.LBB33_71:
	s_wait_xcnt 0x0
	s_or_b32 exec_lo, exec_lo, s5
	s_and_saveexec_b32 s5, s3
	s_cbranch_execz .LBB33_73
; %bb.72:
	v_mov_b32_e32 v10, v5
	global_store_b64 v1, v[10:11], s[26:27] scale_offset
.LBB33_73:
	s_wait_xcnt 0x0
	s_or_b32 exec_lo, exec_lo, s5
	v_lshrrev_b32_e32 v1, 1, v36
	s_delay_alu instid0(VALU_DEP_1) | instskip(NEXT) | instid1(VALU_DEP_1)
	v_add_nc_u32_e32 v0, s33, v1
	v_cmp_gt_i32_e32 vcc_lo, s30, v0
	s_and_b32 exec_lo, exec_lo, vcc_lo
	s_cbranch_execz .LBB33_87
; %bb.74:
	v_cmp_ne_u32_e32 vcc_lo, 1, v16
	v_mov_b32_e32 v0, 1.0
	s_cbranch_vccnz .LBB33_76
; %bb.75:
	v_div_scale_f32 v0, null, v8, v8, 1.0
	s_delay_alu instid0(VALU_DEP_1) | instskip(SKIP_1) | instid1(TRANS32_DEP_1)
	v_rcp_f32_e32 v2, v0
	v_nop
	v_fma_f32 v3, -v0, v2, 1.0
	s_delay_alu instid0(VALU_DEP_1) | instskip(SKIP_1) | instid1(VALU_DEP_1)
	v_fmac_f32_e32 v2, v3, v2
	v_div_scale_f32 v3, vcc_lo, 1.0, v8, 1.0
	v_mul_f32_e32 v4, v3, v2
	s_delay_alu instid0(VALU_DEP_1) | instskip(NEXT) | instid1(VALU_DEP_1)
	v_fma_f32 v5, -v0, v4, v3
	v_fmac_f32_e32 v4, v5, v2
	s_delay_alu instid0(VALU_DEP_1) | instskip(NEXT) | instid1(VALU_DEP_1)
	v_fma_f32 v0, -v0, v4, v3
	v_div_fmas_f32 v0, v0, v2, v4
	s_delay_alu instid0(VALU_DEP_1)
	v_div_fixup_f32 v0, v0, v8, 1.0
.LBB33_76:
	v_add_nc_u32_e32 v1, s1, v1
	s_delay_alu instid0(VALU_DEP_1) | instskip(NEXT) | instid1(VALU_DEP_1)
	v_mad_u32 v1, v1, s31, s34
	v_mad_u32 v1, s0, v1, s39
	s_and_saveexec_b32 s5, s2
	s_cbranch_execz .LBB33_78
; %bb.77:
	s_delay_alu instid0(VALU_DEP_1) | instskip(SKIP_4) | instid1(VALU_DEP_4)
	v_mad_u32 v4, 0x48, v1, v34
	v_dual_lshrrev_b32 v3, 16, v65 :: v_dual_lshrrev_b32 v11, 16, v66
	v_mov_b32_e32 v5, 0
	v_cvt_f32_f16_e32 v2, v65
	v_cvt_f32_f16_e32 v10, v66
	;; [unrolled: 1-line block ×4, first 2 shown]
	s_delay_alu instid0(VALU_DEP_2) | instskip(SKIP_1) | instid1(VALU_DEP_3)
	v_pk_mul_f32 v[2:3], v[0:1], v[2:3] op_sel_hi:[0,1]
	v_lshl_add_u64 v[12:13], v[4:5], 2, s[24:25]
	v_pk_mul_f32 v[4:5], v[0:1], v[10:11] op_sel_hi:[0,1]
	global_store_b128 v[12:13], v[2:5], off
.LBB33_78:
	s_wait_xcnt 0x0
	s_or_b32 exec_lo, exec_lo, s5
	s_and_saveexec_b32 s5, s3
	s_cbranch_execz .LBB33_80
; %bb.79:
	v_dual_mov_b32 v2, v6 :: v_dual_mov_b32 v3, v8
	global_store_b64 v1, v[2:3], s[26:27] scale_offset
.LBB33_80:
	s_wait_xcnt 0x0
	s_or_b32 exec_lo, exec_lo, s5
	v_lshrrev_b32_e32 v1, 1, v35
	s_delay_alu instid0(VALU_DEP_1) | instskip(NEXT) | instid1(VALU_DEP_1)
	v_add_nc_u32_e32 v0, s33, v1
	v_cmp_gt_i32_e32 vcc_lo, s30, v0
	s_and_b32 exec_lo, exec_lo, vcc_lo
	s_cbranch_execz .LBB33_87
; %bb.81:
	v_cmp_ne_u32_e32 vcc_lo, 1, v16
	v_mov_b32_e32 v0, 1.0
	s_cbranch_vccnz .LBB33_83
; %bb.82:
	v_div_scale_f32 v0, null, v9, v9, 1.0
	s_delay_alu instid0(VALU_DEP_1) | instskip(SKIP_1) | instid1(TRANS32_DEP_1)
	v_rcp_f32_e32 v2, v0
	v_nop
	v_fma_f32 v3, -v0, v2, 1.0
	s_delay_alu instid0(VALU_DEP_1) | instskip(SKIP_1) | instid1(VALU_DEP_1)
	v_fmac_f32_e32 v2, v3, v2
	v_div_scale_f32 v3, vcc_lo, 1.0, v9, 1.0
	v_mul_f32_e32 v4, v3, v2
	s_delay_alu instid0(VALU_DEP_1) | instskip(NEXT) | instid1(VALU_DEP_1)
	v_fma_f32 v5, -v0, v4, v3
	v_fmac_f32_e32 v4, v5, v2
	s_delay_alu instid0(VALU_DEP_1) | instskip(NEXT) | instid1(VALU_DEP_1)
	v_fma_f32 v0, -v0, v4, v3
	v_div_fmas_f32 v0, v0, v2, v4
	s_delay_alu instid0(VALU_DEP_1)
	v_div_fixup_f32 v0, v0, v9, 1.0
.LBB33_83:
	v_add_nc_u32_e32 v1, s1, v1
	s_delay_alu instid0(VALU_DEP_1) | instskip(NEXT) | instid1(VALU_DEP_1)
	v_mad_u32 v1, v1, s31, s4
	v_mad_u32 v1, s0, v1, s39
	s_and_saveexec_b32 s0, s2
	s_cbranch_execz .LBB33_85
; %bb.84:
	s_delay_alu instid0(VALU_DEP_1) | instskip(SKIP_4) | instid1(VALU_DEP_4)
	v_mad_u32 v4, 0x48, v1, v34
	v_dual_lshrrev_b32 v3, 16, v63 :: v_dual_lshrrev_b32 v6, 16, v64
	v_mov_b32_e32 v5, 0
	v_cvt_f32_f16_e32 v2, v63
	v_cvt_f32_f16_e32 v10, v64
	;; [unrolled: 1-line block ×4, first 2 shown]
	s_delay_alu instid0(VALU_DEP_2) | instskip(SKIP_1) | instid1(VALU_DEP_3)
	v_pk_mul_f32 v[2:3], v[0:1], v[2:3] op_sel_hi:[0,1]
	v_lshl_add_u64 v[12:13], v[4:5], 2, s[24:25]
	v_pk_mul_f32 v[4:5], v[0:1], v[10:11] op_sel_hi:[0,1]
	global_store_b128 v[12:13], v[2:5], off
.LBB33_85:
	s_wait_xcnt 0x0
	s_or_b32 exec_lo, exec_lo, s0
	s_delay_alu instid0(SALU_CYCLE_1)
	s_and_b32 exec_lo, exec_lo, s3
	s_cbranch_execz .LBB33_87
; %bb.86:
	v_mov_b32_e32 v8, v7
	global_store_b64 v1, v[8:9], s[26:27] scale_offset
.LBB33_87:
	s_sendmsg sendmsg(MSG_DEALLOC_VGPRS)
	s_endpgm
	.section	.rodata,"a",@progbits
	.p2align	6, 0x0
	.amdhsa_kernel _ZL15flash_attn_tileILi72ELi72ELi32ELi2ELb0EEvPKcS1_S1_S1_S1_PKiPfP15HIP_vector_typeIfLj2EEffffjfiS5_IjLj3EEiiiiiiiiiiiliiliiiiil
		.amdhsa_group_segment_fixed_size 18656
		.amdhsa_private_segment_fixed_size 0
		.amdhsa_kernarg_size 464
		.amdhsa_user_sgpr_count 2
		.amdhsa_user_sgpr_dispatch_ptr 0
		.amdhsa_user_sgpr_queue_ptr 0
		.amdhsa_user_sgpr_kernarg_segment_ptr 1
		.amdhsa_user_sgpr_dispatch_id 0
		.amdhsa_user_sgpr_kernarg_preload_length 0
		.amdhsa_user_sgpr_kernarg_preload_offset 0
		.amdhsa_user_sgpr_private_segment_size 0
		.amdhsa_wavefront_size32 1
		.amdhsa_uses_dynamic_stack 0
		.amdhsa_enable_private_segment 0
		.amdhsa_system_sgpr_workgroup_id_x 1
		.amdhsa_system_sgpr_workgroup_id_y 1
		.amdhsa_system_sgpr_workgroup_id_z 1
		.amdhsa_system_sgpr_workgroup_info 0
		.amdhsa_system_vgpr_workitem_id 1
		.amdhsa_next_free_vgpr 147
		.amdhsa_next_free_sgpr 50
		.amdhsa_named_barrier_count 0
		.amdhsa_reserve_vcc 1
		.amdhsa_float_round_mode_32 0
		.amdhsa_float_round_mode_16_64 0
		.amdhsa_float_denorm_mode_32 3
		.amdhsa_float_denorm_mode_16_64 3
		.amdhsa_fp16_overflow 0
		.amdhsa_memory_ordered 1
		.amdhsa_forward_progress 1
		.amdhsa_inst_pref_size 170
		.amdhsa_round_robin_scheduling 0
		.amdhsa_exception_fp_ieee_invalid_op 0
		.amdhsa_exception_fp_denorm_src 0
		.amdhsa_exception_fp_ieee_div_zero 0
		.amdhsa_exception_fp_ieee_overflow 0
		.amdhsa_exception_fp_ieee_underflow 0
		.amdhsa_exception_fp_ieee_inexact 0
		.amdhsa_exception_int_div_zero 0
	.end_amdhsa_kernel
	.section	.text._ZL15flash_attn_tileILi72ELi72ELi32ELi2ELb0EEvPKcS1_S1_S1_S1_PKiPfP15HIP_vector_typeIfLj2EEffffjfiS5_IjLj3EEiiiiiiiiiiiliiliiiiil,"axG",@progbits,_ZL15flash_attn_tileILi72ELi72ELi32ELi2ELb0EEvPKcS1_S1_S1_S1_PKiPfP15HIP_vector_typeIfLj2EEffffjfiS5_IjLj3EEiiiiiiiiiiiliiliiiiil,comdat
.Lfunc_end33:
	.size	_ZL15flash_attn_tileILi72ELi72ELi32ELi2ELb0EEvPKcS1_S1_S1_S1_PKiPfP15HIP_vector_typeIfLj2EEffffjfiS5_IjLj3EEiiiiiiiiiiiliiliiiiil, .Lfunc_end33-_ZL15flash_attn_tileILi72ELi72ELi32ELi2ELb0EEvPKcS1_S1_S1_S1_PKiPfP15HIP_vector_typeIfLj2EEffffjfiS5_IjLj3EEiiiiiiiiiiiliiliiiiil
                                        ; -- End function
	.set _ZL15flash_attn_tileILi72ELi72ELi32ELi2ELb0EEvPKcS1_S1_S1_S1_PKiPfP15HIP_vector_typeIfLj2EEffffjfiS5_IjLj3EEiiiiiiiiiiiliiliiiiil.num_vgpr, 147
	.set _ZL15flash_attn_tileILi72ELi72ELi32ELi2ELb0EEvPKcS1_S1_S1_S1_PKiPfP15HIP_vector_typeIfLj2EEffffjfiS5_IjLj3EEiiiiiiiiiiiliiliiiiil.num_agpr, 0
	.set _ZL15flash_attn_tileILi72ELi72ELi32ELi2ELb0EEvPKcS1_S1_S1_S1_PKiPfP15HIP_vector_typeIfLj2EEffffjfiS5_IjLj3EEiiiiiiiiiiiliiliiiiil.numbered_sgpr, 50
	.set _ZL15flash_attn_tileILi72ELi72ELi32ELi2ELb0EEvPKcS1_S1_S1_S1_PKiPfP15HIP_vector_typeIfLj2EEffffjfiS5_IjLj3EEiiiiiiiiiiiliiliiiiil.num_named_barrier, 0
	.set _ZL15flash_attn_tileILi72ELi72ELi32ELi2ELb0EEvPKcS1_S1_S1_S1_PKiPfP15HIP_vector_typeIfLj2EEffffjfiS5_IjLj3EEiiiiiiiiiiiliiliiiiil.private_seg_size, 0
	.set _ZL15flash_attn_tileILi72ELi72ELi32ELi2ELb0EEvPKcS1_S1_S1_S1_PKiPfP15HIP_vector_typeIfLj2EEffffjfiS5_IjLj3EEiiiiiiiiiiiliiliiiiil.uses_vcc, 1
	.set _ZL15flash_attn_tileILi72ELi72ELi32ELi2ELb0EEvPKcS1_S1_S1_S1_PKiPfP15HIP_vector_typeIfLj2EEffffjfiS5_IjLj3EEiiiiiiiiiiiliiliiiiil.uses_flat_scratch, 0
	.set _ZL15flash_attn_tileILi72ELi72ELi32ELi2ELb0EEvPKcS1_S1_S1_S1_PKiPfP15HIP_vector_typeIfLj2EEffffjfiS5_IjLj3EEiiiiiiiiiiiliiliiiiil.has_dyn_sized_stack, 0
	.set _ZL15flash_attn_tileILi72ELi72ELi32ELi2ELb0EEvPKcS1_S1_S1_S1_PKiPfP15HIP_vector_typeIfLj2EEffffjfiS5_IjLj3EEiiiiiiiiiiiliiliiiiil.has_recursion, 0
	.set _ZL15flash_attn_tileILi72ELi72ELi32ELi2ELb0EEvPKcS1_S1_S1_S1_PKiPfP15HIP_vector_typeIfLj2EEffffjfiS5_IjLj3EEiiiiiiiiiiiliiliiiiil.has_indirect_call, 0
	.section	.AMDGPU.csdata,"",@progbits
; Kernel info:
; codeLenInByte = 21704
; TotalNumSgprs: 52
; NumVgprs: 147
; ScratchSize: 0
; MemoryBound: 0
; FloatMode: 240
; IeeeMode: 1
; LDSByteSize: 18656 bytes/workgroup (compile time only)
; SGPRBlocks: 0
; VGPRBlocks: 9
; NumSGPRsForWavesPerEU: 52
; NumVGPRsForWavesPerEU: 147
; NamedBarCnt: 0
; Occupancy: 6
; WaveLimiterHint : 1
; COMPUTE_PGM_RSRC2:SCRATCH_EN: 0
; COMPUTE_PGM_RSRC2:USER_SGPR: 2
; COMPUTE_PGM_RSRC2:TRAP_HANDLER: 0
; COMPUTE_PGM_RSRC2:TGID_X_EN: 1
; COMPUTE_PGM_RSRC2:TGID_Y_EN: 1
; COMPUTE_PGM_RSRC2:TGID_Z_EN: 1
; COMPUTE_PGM_RSRC2:TIDIG_COMP_CNT: 1
	.section	.text._ZL25flash_attn_mask_to_KV_maxILi32EEvPK7__half2Piiii,"axG",@progbits,_ZL25flash_attn_mask_to_KV_maxILi32EEvPK7__half2Piiii,comdat
	.globl	_ZL25flash_attn_mask_to_KV_maxILi32EEvPK7__half2Piiii ; -- Begin function _ZL25flash_attn_mask_to_KV_maxILi32EEvPK7__half2Piiii
	.p2align	8
	.type	_ZL25flash_attn_mask_to_KV_maxILi32EEvPK7__half2Piiii,@function
_ZL25flash_attn_mask_to_KV_maxILi32EEvPK7__half2Piiii: ; @_ZL25flash_attn_mask_to_KV_maxILi32EEvPK7__half2Piiii
; %bb.0:
	s_load_b128 s[4:7], s[0:1], 0x0
	s_mov_b32 s2, exec_lo
	v_cmpx_gt_u32_e32 32, v0
; %bb.1:
	v_dual_mov_b32 v2, 1 :: v_dual_lshlrev_b32 v1, 2, v0
	ds_store_b32 v1, v2
; %bb.2:
	s_or_b32 exec_lo, exec_lo, s2
	s_clause 0x1
	s_load_b96 s[8:10], s[0:1], 0x10
	s_load_b32 s11, s[0:1], 0x20
	s_wait_xcnt 0x0
	s_bfe_u32 s1, ttmp6, 0x4000c
	s_bfe_u32 s2, ttmp6, 0x40010
	s_add_co_i32 s1, s1, 1
	s_add_co_i32 s2, s2, 1
	s_and_b32 s0, ttmp6, 15
	s_bfe_u32 s3, ttmp6, 0x40004
	s_mul_i32 s1, ttmp9, s1
	s_mul_i32 s2, ttmp7, s2
	s_getreg_b32 s12, hwreg(HW_REG_IB_STS2, 6, 4)
	s_add_co_i32 s0, s0, s1
	s_add_co_i32 s3, s3, s2
	s_cmp_eq_u32 s12, 0
	v_dual_lshrrev_b32 v1, 3, v0 :: v_dual_bitop2_b32 v2, 31, v0 bitop3:0x40
	s_cselect_b32 s1, ttmp9, s0
	s_cselect_b32 s12, ttmp7, s3
	s_wait_dscnt 0x0
	s_barrier_signal -1
	s_wait_kmcnt 0x0
	s_mul_i32 s0, s1, s9
	s_mul_i32 s2, s10, s12
	s_lshl_b32 s0, s0, 5
	s_barrier_wait -1
	s_add_co_i32 s2, s2, s0
	v_cmp_eq_u32_e64 s0, 0, v2
	s_ashr_i32 s3, s2, 31
	v_lshlrev_b32_e32 v2, 2, v2
	s_lshl_b64 s[2:3], s[2:3], 2
	s_delay_alu instid0(SALU_CYCLE_1)
	s_add_nc_u64 s[2:3], s[4:5], s[2:3]
	s_lshl_b32 s5, s8, 8
	s_branch .LBB34_4
.LBB34_3:                               ;   in Loop: Header=BB34_4 Depth=1
	s_or_b32 exec_lo, exec_lo, s8
	s_wait_dscnt 0x0
	s_barrier_signal -1
	s_barrier_wait -1
	ds_load_b32 v3, v2
	s_wait_dscnt 0x0
	s_barrier_signal -1
	s_barrier_wait -1
	v_cmp_ne_u32_e32 vcc_lo, 0, v3
	s_cmp_lg_u32 vcc_lo, exec_lo
	s_cselect_b32 s8, -1, 0
	s_delay_alu instid0(SALU_CYCLE_1)
	s_and_b32 vcc_lo, exec_lo, s8
	s_cbranch_vccnz .LBB34_132
.LBB34_4:                               ; =>This Inner Loop Header: Depth=1
	s_mov_b32 s4, s5
	s_addk_co_i32 s5, 0xff00
	s_delay_alu instid0(SALU_CYCLE_1)
	s_cmp_lt_i32 s5, 0
	s_cbranch_scc1 .LBB34_131
; %bb.5:                                ;   in Loop: Header=BB34_4 Depth=1
	s_lshr_b32 s8, s5, 1
	s_delay_alu instid0(SALU_CYCLE_1) | instskip(SKIP_4) | instid1(VALU_DEP_2)
	v_add_nc_u32_e32 v3, s8, v0
	global_load_b32 v4, v3, s[2:3] scale_offset
	s_wait_loadcnt 0x0
	v_lshrrev_b32_e32 v5, 16, v4
	v_cmp_class_f16_e64 s8, v4, 0x204
	v_cmp_class_f16_e64 s10, v5, 0x204
	s_and_b32 s13, s8, s10
	s_mov_b32 s10, 0
	s_and_saveexec_b32 s8, s13
	s_cbranch_execz .LBB34_129
; %bb.6:                                ;   in Loop: Header=BB34_4 Depth=1
	v_add_nc_u32_e32 v3, s9, v3
	s_mov_b32 s13, 0
	global_load_b32 v4, v3, s[2:3] scale_offset
	s_wait_loadcnt 0x0
	v_cmp_class_f16_e64 s14, v4, 0x204
	s_and_saveexec_b32 s10, s14
	s_cbranch_execz .LBB34_128
; %bb.7:                                ;   in Loop: Header=BB34_4 Depth=1
	v_lshrrev_b32_e32 v4, 16, v4
	s_mov_b32 s14, 0
	s_delay_alu instid0(VALU_DEP_1)
	v_cmp_class_f16_e64 s15, v4, 0x204
	s_and_saveexec_b32 s13, s15
	s_cbranch_execz .LBB34_127
; %bb.8:                                ;   in Loop: Header=BB34_4 Depth=1
	v_add_nc_u32_e32 v3, s9, v3
	s_mov_b32 s15, 0
	global_load_b32 v4, v3, s[2:3] scale_offset
	s_wait_loadcnt 0x0
	v_cmp_class_f16_e64 s16, v4, 0x204
	s_and_saveexec_b32 s14, s16
	s_cbranch_execz .LBB34_126
; %bb.9:                                ;   in Loop: Header=BB34_4 Depth=1
	v_lshrrev_b32_e32 v4, 16, v4
	s_mov_b32 s16, 0
	s_delay_alu instid0(VALU_DEP_1)
	v_cmp_class_f16_e64 s17, v4, 0x204
	s_and_saveexec_b32 s15, s17
	s_cbranch_execz .LBB34_125
; %bb.10:                               ;   in Loop: Header=BB34_4 Depth=1
	v_add_nc_u32_e32 v3, s9, v3
	s_mov_b32 s17, 0
	global_load_b32 v4, v3, s[2:3] scale_offset
	s_wait_loadcnt 0x0
	v_cmp_class_f16_e64 s18, v4, 0x204
	s_and_saveexec_b32 s16, s18
	s_cbranch_execz .LBB34_124
; %bb.11:                               ;   in Loop: Header=BB34_4 Depth=1
	v_lshrrev_b32_e32 v4, 16, v4
	s_mov_b32 s18, 0
	s_delay_alu instid0(VALU_DEP_1)
	v_cmp_class_f16_e64 s19, v4, 0x204
	s_and_saveexec_b32 s17, s19
	s_cbranch_execz .LBB34_123
; %bb.12:                               ;   in Loop: Header=BB34_4 Depth=1
	v_add_nc_u32_e32 v3, s9, v3
	s_mov_b32 s19, 0
	global_load_b32 v4, v3, s[2:3] scale_offset
	s_wait_loadcnt 0x0
	v_cmp_class_f16_e64 s20, v4, 0x204
	s_and_saveexec_b32 s18, s20
	s_cbranch_execz .LBB34_122
; %bb.13:                               ;   in Loop: Header=BB34_4 Depth=1
	;; [unrolled: 15-line block ×28, first 2 shown]
	v_lshrrev_b32_e32 v4, 16, v4
	s_mov_b32 s73, 0
	s_delay_alu instid0(VALU_DEP_1)
	v_cmp_class_f16_e64 s74, v4, 0x204
	s_and_saveexec_b32 s72, s74
	s_cbranch_execz .LBB34_69
; %bb.66:                               ;   in Loop: Header=BB34_4 Depth=1
	v_add_nc_u32_e32 v3, s9, v3
	global_load_b32 v3, v3, s[2:3] scale_offset
	s_wait_loadcnt 0x0
	v_cmp_class_f16_e64 s75, v3, 0x204
	s_and_saveexec_b32 s74, s75
; %bb.67:                               ;   in Loop: Header=BB34_4 Depth=1
	v_lshrrev_b32_e32 v3, 16, v3
	s_delay_alu instid0(VALU_DEP_1)
	v_cmp_class_f16_e64 s73, v3, 0x204
	s_and_b32 s73, s73, exec_lo
; %bb.68:                               ;   in Loop: Header=BB34_4 Depth=1
	s_or_b32 exec_lo, exec_lo, s74
	s_delay_alu instid0(SALU_CYCLE_1)
	s_and_b32 s73, s73, exec_lo
.LBB34_69:                              ;   in Loop: Header=BB34_4 Depth=1
	s_or_b32 exec_lo, exec_lo, s72
	s_delay_alu instid0(SALU_CYCLE_1)
	s_and_b32 s72, s73, exec_lo
.LBB34_70:                              ;   in Loop: Header=BB34_4 Depth=1
	s_or_b32 exec_lo, exec_lo, s71
	s_delay_alu instid0(SALU_CYCLE_1)
	s_and_b32 s71, s72, exec_lo
.LBB34_71:                              ;   in Loop: Header=BB34_4 Depth=1
	s_or_b32 exec_lo, exec_lo, s70
	s_delay_alu instid0(SALU_CYCLE_1)
	s_and_b32 s70, s71, exec_lo
.LBB34_72:                              ;   in Loop: Header=BB34_4 Depth=1
	s_or_b32 exec_lo, exec_lo, s69
	s_delay_alu instid0(SALU_CYCLE_1)
	s_and_b32 s69, s70, exec_lo
.LBB34_73:                              ;   in Loop: Header=BB34_4 Depth=1
	s_or_b32 exec_lo, exec_lo, s68
	s_delay_alu instid0(SALU_CYCLE_1)
	s_and_b32 s68, s69, exec_lo
.LBB34_74:                              ;   in Loop: Header=BB34_4 Depth=1
	s_or_b32 exec_lo, exec_lo, s67
	s_delay_alu instid0(SALU_CYCLE_1)
	s_and_b32 s67, s68, exec_lo
.LBB34_75:                              ;   in Loop: Header=BB34_4 Depth=1
	s_or_b32 exec_lo, exec_lo, s66
	s_delay_alu instid0(SALU_CYCLE_1)
	s_and_b32 s66, s67, exec_lo
.LBB34_76:                              ;   in Loop: Header=BB34_4 Depth=1
	s_or_b32 exec_lo, exec_lo, s65
	s_delay_alu instid0(SALU_CYCLE_1)
	s_and_b32 s65, s66, exec_lo
.LBB34_77:                              ;   in Loop: Header=BB34_4 Depth=1
	s_or_b32 exec_lo, exec_lo, s64
	s_delay_alu instid0(SALU_CYCLE_1)
	s_and_b32 s64, s65, exec_lo
.LBB34_78:                              ;   in Loop: Header=BB34_4 Depth=1
	s_or_b32 exec_lo, exec_lo, s63
	s_delay_alu instid0(SALU_CYCLE_1)
	s_and_b32 s63, s64, exec_lo
.LBB34_79:                              ;   in Loop: Header=BB34_4 Depth=1
	s_or_b32 exec_lo, exec_lo, s62
	s_delay_alu instid0(SALU_CYCLE_1)
	s_and_b32 s62, s63, exec_lo
.LBB34_80:                              ;   in Loop: Header=BB34_4 Depth=1
	s_or_b32 exec_lo, exec_lo, s61
	s_delay_alu instid0(SALU_CYCLE_1)
	s_and_b32 s61, s62, exec_lo
.LBB34_81:                              ;   in Loop: Header=BB34_4 Depth=1
	s_or_b32 exec_lo, exec_lo, s60
	s_delay_alu instid0(SALU_CYCLE_1)
	s_and_b32 s60, s61, exec_lo
.LBB34_82:                              ;   in Loop: Header=BB34_4 Depth=1
	s_or_b32 exec_lo, exec_lo, s59
	s_delay_alu instid0(SALU_CYCLE_1)
	s_and_b32 s59, s60, exec_lo
.LBB34_83:                              ;   in Loop: Header=BB34_4 Depth=1
	s_or_b32 exec_lo, exec_lo, s58
	s_delay_alu instid0(SALU_CYCLE_1)
	s_and_b32 s58, s59, exec_lo
.LBB34_84:                              ;   in Loop: Header=BB34_4 Depth=1
	s_or_b32 exec_lo, exec_lo, s57
	s_delay_alu instid0(SALU_CYCLE_1)
	s_and_b32 s57, s58, exec_lo
.LBB34_85:                              ;   in Loop: Header=BB34_4 Depth=1
	s_or_b32 exec_lo, exec_lo, s56
	s_delay_alu instid0(SALU_CYCLE_1)
	s_and_b32 s56, s57, exec_lo
.LBB34_86:                              ;   in Loop: Header=BB34_4 Depth=1
	s_or_b32 exec_lo, exec_lo, s55
	s_delay_alu instid0(SALU_CYCLE_1)
	s_and_b32 s55, s56, exec_lo
.LBB34_87:                              ;   in Loop: Header=BB34_4 Depth=1
	s_or_b32 exec_lo, exec_lo, s54
	s_delay_alu instid0(SALU_CYCLE_1)
	s_and_b32 s54, s55, exec_lo
.LBB34_88:                              ;   in Loop: Header=BB34_4 Depth=1
	s_or_b32 exec_lo, exec_lo, s53
	s_delay_alu instid0(SALU_CYCLE_1)
	s_and_b32 s53, s54, exec_lo
.LBB34_89:                              ;   in Loop: Header=BB34_4 Depth=1
	s_or_b32 exec_lo, exec_lo, s52
	s_delay_alu instid0(SALU_CYCLE_1)
	s_and_b32 s52, s53, exec_lo
.LBB34_90:                              ;   in Loop: Header=BB34_4 Depth=1
	s_or_b32 exec_lo, exec_lo, s51
	s_delay_alu instid0(SALU_CYCLE_1)
	s_and_b32 s51, s52, exec_lo
.LBB34_91:                              ;   in Loop: Header=BB34_4 Depth=1
	s_or_b32 exec_lo, exec_lo, s50
	s_delay_alu instid0(SALU_CYCLE_1)
	s_and_b32 s50, s51, exec_lo
.LBB34_92:                              ;   in Loop: Header=BB34_4 Depth=1
	s_or_b32 exec_lo, exec_lo, s49
	s_delay_alu instid0(SALU_CYCLE_1)
	s_and_b32 s49, s50, exec_lo
.LBB34_93:                              ;   in Loop: Header=BB34_4 Depth=1
	s_or_b32 exec_lo, exec_lo, s48
	s_delay_alu instid0(SALU_CYCLE_1)
	s_and_b32 s48, s49, exec_lo
.LBB34_94:                              ;   in Loop: Header=BB34_4 Depth=1
	s_or_b32 exec_lo, exec_lo, s47
	s_delay_alu instid0(SALU_CYCLE_1)
	s_and_b32 s47, s48, exec_lo
.LBB34_95:                              ;   in Loop: Header=BB34_4 Depth=1
	s_or_b32 exec_lo, exec_lo, s46
	s_delay_alu instid0(SALU_CYCLE_1)
	s_and_b32 s46, s47, exec_lo
.LBB34_96:                              ;   in Loop: Header=BB34_4 Depth=1
	s_or_b32 exec_lo, exec_lo, s45
	s_delay_alu instid0(SALU_CYCLE_1)
	s_and_b32 s45, s46, exec_lo
.LBB34_97:                              ;   in Loop: Header=BB34_4 Depth=1
	s_or_b32 exec_lo, exec_lo, s44
	s_delay_alu instid0(SALU_CYCLE_1)
	s_and_b32 s44, s45, exec_lo
.LBB34_98:                              ;   in Loop: Header=BB34_4 Depth=1
	s_or_b32 exec_lo, exec_lo, s43
	s_delay_alu instid0(SALU_CYCLE_1)
	s_and_b32 s43, s44, exec_lo
.LBB34_99:                              ;   in Loop: Header=BB34_4 Depth=1
	s_or_b32 exec_lo, exec_lo, s42
	s_delay_alu instid0(SALU_CYCLE_1)
	s_and_b32 s42, s43, exec_lo
.LBB34_100:                             ;   in Loop: Header=BB34_4 Depth=1
	s_or_b32 exec_lo, exec_lo, s41
	s_delay_alu instid0(SALU_CYCLE_1)
	s_and_b32 s41, s42, exec_lo
.LBB34_101:                             ;   in Loop: Header=BB34_4 Depth=1
	s_or_b32 exec_lo, exec_lo, s40
	s_delay_alu instid0(SALU_CYCLE_1)
	s_and_b32 s40, s41, exec_lo
.LBB34_102:                             ;   in Loop: Header=BB34_4 Depth=1
	s_or_b32 exec_lo, exec_lo, s39
	s_delay_alu instid0(SALU_CYCLE_1)
	s_and_b32 s39, s40, exec_lo
.LBB34_103:                             ;   in Loop: Header=BB34_4 Depth=1
	s_or_b32 exec_lo, exec_lo, s38
	s_delay_alu instid0(SALU_CYCLE_1)
	s_and_b32 s38, s39, exec_lo
.LBB34_104:                             ;   in Loop: Header=BB34_4 Depth=1
	s_or_b32 exec_lo, exec_lo, s37
	s_delay_alu instid0(SALU_CYCLE_1)
	s_and_b32 s37, s38, exec_lo
.LBB34_105:                             ;   in Loop: Header=BB34_4 Depth=1
	s_or_b32 exec_lo, exec_lo, s36
	s_delay_alu instid0(SALU_CYCLE_1)
	s_and_b32 s36, s37, exec_lo
.LBB34_106:                             ;   in Loop: Header=BB34_4 Depth=1
	s_or_b32 exec_lo, exec_lo, s35
	s_delay_alu instid0(SALU_CYCLE_1)
	s_and_b32 s35, s36, exec_lo
.LBB34_107:                             ;   in Loop: Header=BB34_4 Depth=1
	s_or_b32 exec_lo, exec_lo, s34
	s_delay_alu instid0(SALU_CYCLE_1)
	s_and_b32 s34, s35, exec_lo
.LBB34_108:                             ;   in Loop: Header=BB34_4 Depth=1
	s_or_b32 exec_lo, exec_lo, s33
	s_delay_alu instid0(SALU_CYCLE_1)
	s_and_b32 s33, s34, exec_lo
.LBB34_109:                             ;   in Loop: Header=BB34_4 Depth=1
	s_or_b32 exec_lo, exec_lo, s31
	s_delay_alu instid0(SALU_CYCLE_1)
	s_and_b32 s31, s33, exec_lo
.LBB34_110:                             ;   in Loop: Header=BB34_4 Depth=1
	s_or_b32 exec_lo, exec_lo, s30
	s_delay_alu instid0(SALU_CYCLE_1)
	s_and_b32 s30, s31, exec_lo
.LBB34_111:                             ;   in Loop: Header=BB34_4 Depth=1
	s_or_b32 exec_lo, exec_lo, s29
	s_delay_alu instid0(SALU_CYCLE_1)
	s_and_b32 s29, s30, exec_lo
.LBB34_112:                             ;   in Loop: Header=BB34_4 Depth=1
	s_or_b32 exec_lo, exec_lo, s28
	s_delay_alu instid0(SALU_CYCLE_1)
	s_and_b32 s28, s29, exec_lo
.LBB34_113:                             ;   in Loop: Header=BB34_4 Depth=1
	s_or_b32 exec_lo, exec_lo, s27
	s_delay_alu instid0(SALU_CYCLE_1)
	s_and_b32 s27, s28, exec_lo
.LBB34_114:                             ;   in Loop: Header=BB34_4 Depth=1
	s_or_b32 exec_lo, exec_lo, s26
	s_delay_alu instid0(SALU_CYCLE_1)
	s_and_b32 s26, s27, exec_lo
.LBB34_115:                             ;   in Loop: Header=BB34_4 Depth=1
	s_or_b32 exec_lo, exec_lo, s25
	s_delay_alu instid0(SALU_CYCLE_1)
	s_and_b32 s25, s26, exec_lo
.LBB34_116:                             ;   in Loop: Header=BB34_4 Depth=1
	s_or_b32 exec_lo, exec_lo, s24
	s_delay_alu instid0(SALU_CYCLE_1)
	s_and_b32 s24, s25, exec_lo
.LBB34_117:                             ;   in Loop: Header=BB34_4 Depth=1
	s_or_b32 exec_lo, exec_lo, s23
	s_delay_alu instid0(SALU_CYCLE_1)
	s_and_b32 s23, s24, exec_lo
.LBB34_118:                             ;   in Loop: Header=BB34_4 Depth=1
	s_or_b32 exec_lo, exec_lo, s22
	s_delay_alu instid0(SALU_CYCLE_1)
	s_and_b32 s22, s23, exec_lo
.LBB34_119:                             ;   in Loop: Header=BB34_4 Depth=1
	s_or_b32 exec_lo, exec_lo, s21
	s_delay_alu instid0(SALU_CYCLE_1)
	s_and_b32 s21, s22, exec_lo
.LBB34_120:                             ;   in Loop: Header=BB34_4 Depth=1
	s_or_b32 exec_lo, exec_lo, s20
	s_delay_alu instid0(SALU_CYCLE_1)
	s_and_b32 s20, s21, exec_lo
.LBB34_121:                             ;   in Loop: Header=BB34_4 Depth=1
	s_or_b32 exec_lo, exec_lo, s19
	s_delay_alu instid0(SALU_CYCLE_1)
	s_and_b32 s19, s20, exec_lo
.LBB34_122:                             ;   in Loop: Header=BB34_4 Depth=1
	s_or_b32 exec_lo, exec_lo, s18
	s_delay_alu instid0(SALU_CYCLE_1)
	s_and_b32 s18, s19, exec_lo
.LBB34_123:                             ;   in Loop: Header=BB34_4 Depth=1
	s_or_b32 exec_lo, exec_lo, s17
	s_delay_alu instid0(SALU_CYCLE_1)
	s_and_b32 s17, s18, exec_lo
.LBB34_124:                             ;   in Loop: Header=BB34_4 Depth=1
	s_or_b32 exec_lo, exec_lo, s16
	s_delay_alu instid0(SALU_CYCLE_1)
	s_and_b32 s16, s17, exec_lo
.LBB34_125:                             ;   in Loop: Header=BB34_4 Depth=1
	s_or_b32 exec_lo, exec_lo, s15
	s_delay_alu instid0(SALU_CYCLE_1)
	s_and_b32 s15, s16, exec_lo
.LBB34_126:                             ;   in Loop: Header=BB34_4 Depth=1
	s_or_b32 exec_lo, exec_lo, s14
	s_delay_alu instid0(SALU_CYCLE_1)
	s_and_b32 s14, s15, exec_lo
.LBB34_127:                             ;   in Loop: Header=BB34_4 Depth=1
	s_or_b32 exec_lo, exec_lo, s13
	s_delay_alu instid0(SALU_CYCLE_1)
	s_and_b32 s13, s14, exec_lo
.LBB34_128:                             ;   in Loop: Header=BB34_4 Depth=1
	s_or_b32 exec_lo, exec_lo, s10
	s_delay_alu instid0(SALU_CYCLE_1)
	s_and_b32 s10, s13, exec_lo
.LBB34_129:                             ;   in Loop: Header=BB34_4 Depth=1
	s_or_b32 exec_lo, exec_lo, s8
	v_cndmask_b32_e64 v3, 0, 1, s10
	s_mov_b32 s13, exec_lo
	s_delay_alu instid0(VALU_DEP_1)
	v_cmp_ne_u32_e32 vcc_lo, 0, v3
	s_and_saveexec_b32 s8, s0
	s_cbranch_execz .LBB34_3
; %bb.130:                              ;   in Loop: Header=BB34_4 Depth=1
	s_cmp_eq_u32 vcc_lo, s13
	s_cselect_b32 s10, -1, 0
	s_delay_alu instid0(SALU_CYCLE_1)
	v_cndmask_b32_e64 v3, 0, 1, s10
	ds_store_b32 v1, v3
	s_branch .LBB34_3
.LBB34_131:                             ;   in Loop: Header=BB34_4 Depth=1
	s_cbranch_execz .LBB34_4
.LBB34_132:
	s_mov_b32 s0, exec_lo
	v_cmpx_eq_u32_e32 0, v0
	s_cbranch_execz .LBB34_134
; %bb.133:
	s_mul_i32 s0, s11, s12
	v_mov_b32_e32 v1, s4
	s_add_co_i32 s0, s0, s1
	s_delay_alu instid0(SALU_CYCLE_1)
	v_mov_b32_e32 v0, s0
	global_store_b32 v0, v1, s[6:7] scale_offset
.LBB34_134:
	s_endpgm
	.section	.rodata,"a",@progbits
	.p2align	6, 0x0
	.amdhsa_kernel _ZL25flash_attn_mask_to_KV_maxILi32EEvPK7__half2Piiii
		.amdhsa_group_segment_fixed_size 128
		.amdhsa_private_segment_fixed_size 0
		.amdhsa_kernarg_size 288
		.amdhsa_user_sgpr_count 2
		.amdhsa_user_sgpr_dispatch_ptr 0
		.amdhsa_user_sgpr_queue_ptr 0
		.amdhsa_user_sgpr_kernarg_segment_ptr 1
		.amdhsa_user_sgpr_dispatch_id 0
		.amdhsa_user_sgpr_kernarg_preload_length 0
		.amdhsa_user_sgpr_kernarg_preload_offset 0
		.amdhsa_user_sgpr_private_segment_size 0
		.amdhsa_wavefront_size32 1
		.amdhsa_uses_dynamic_stack 0
		.amdhsa_enable_private_segment 0
		.amdhsa_system_sgpr_workgroup_id_x 1
		.amdhsa_system_sgpr_workgroup_id_y 1
		.amdhsa_system_sgpr_workgroup_id_z 0
		.amdhsa_system_sgpr_workgroup_info 0
		.amdhsa_system_vgpr_workitem_id 0
		.amdhsa_next_free_vgpr 6
		.amdhsa_next_free_sgpr 76
		.amdhsa_named_barrier_count 0
		.amdhsa_reserve_vcc 1
		.amdhsa_float_round_mode_32 0
		.amdhsa_float_round_mode_16_64 0
		.amdhsa_float_denorm_mode_32 3
		.amdhsa_float_denorm_mode_16_64 3
		.amdhsa_fp16_overflow 0
		.amdhsa_memory_ordered 1
		.amdhsa_forward_progress 1
		.amdhsa_inst_pref_size 28
		.amdhsa_round_robin_scheduling 0
		.amdhsa_exception_fp_ieee_invalid_op 0
		.amdhsa_exception_fp_denorm_src 0
		.amdhsa_exception_fp_ieee_div_zero 0
		.amdhsa_exception_fp_ieee_overflow 0
		.amdhsa_exception_fp_ieee_underflow 0
		.amdhsa_exception_fp_ieee_inexact 0
		.amdhsa_exception_int_div_zero 0
	.end_amdhsa_kernel
	.section	.text._ZL25flash_attn_mask_to_KV_maxILi32EEvPK7__half2Piiii,"axG",@progbits,_ZL25flash_attn_mask_to_KV_maxILi32EEvPK7__half2Piiii,comdat
.Lfunc_end34:
	.size	_ZL25flash_attn_mask_to_KV_maxILi32EEvPK7__half2Piiii, .Lfunc_end34-_ZL25flash_attn_mask_to_KV_maxILi32EEvPK7__half2Piiii
                                        ; -- End function
	.set _ZL25flash_attn_mask_to_KV_maxILi32EEvPK7__half2Piiii.num_vgpr, 6
	.set _ZL25flash_attn_mask_to_KV_maxILi32EEvPK7__half2Piiii.num_agpr, 0
	.set _ZL25flash_attn_mask_to_KV_maxILi32EEvPK7__half2Piiii.numbered_sgpr, 76
	.set _ZL25flash_attn_mask_to_KV_maxILi32EEvPK7__half2Piiii.num_named_barrier, 0
	.set _ZL25flash_attn_mask_to_KV_maxILi32EEvPK7__half2Piiii.private_seg_size, 0
	.set _ZL25flash_attn_mask_to_KV_maxILi32EEvPK7__half2Piiii.uses_vcc, 1
	.set _ZL25flash_attn_mask_to_KV_maxILi32EEvPK7__half2Piiii.uses_flat_scratch, 0
	.set _ZL25flash_attn_mask_to_KV_maxILi32EEvPK7__half2Piiii.has_dyn_sized_stack, 0
	.set _ZL25flash_attn_mask_to_KV_maxILi32EEvPK7__half2Piiii.has_recursion, 0
	.set _ZL25flash_attn_mask_to_KV_maxILi32EEvPK7__half2Piiii.has_indirect_call, 0
	.section	.AMDGPU.csdata,"",@progbits
; Kernel info:
; codeLenInByte = 3548
; TotalNumSgprs: 78
; NumVgprs: 6
; ScratchSize: 0
; MemoryBound: 0
; FloatMode: 240
; IeeeMode: 1
; LDSByteSize: 128 bytes/workgroup (compile time only)
; SGPRBlocks: 0
; VGPRBlocks: 0
; NumSGPRsForWavesPerEU: 78
; NumVGPRsForWavesPerEU: 6
; NamedBarCnt: 0
; Occupancy: 16
; WaveLimiterHint : 0
; COMPUTE_PGM_RSRC2:SCRATCH_EN: 0
; COMPUTE_PGM_RSRC2:USER_SGPR: 2
; COMPUTE_PGM_RSRC2:TRAP_HANDLER: 0
; COMPUTE_PGM_RSRC2:TGID_X_EN: 1
; COMPUTE_PGM_RSRC2:TGID_Y_EN: 1
; COMPUTE_PGM_RSRC2:TGID_Z_EN: 0
; COMPUTE_PGM_RSRC2:TIDIG_COMP_CNT: 0
	.section	.text._ZL33flash_attn_stream_k_fixup_uniformILi72ELi32ELi2EEvPfPK15HIP_vector_typeIfLj2EEiiiiiiS1_IjLj3EES5_S5_,"axG",@progbits,_ZL33flash_attn_stream_k_fixup_uniformILi72ELi32ELi2EEvPfPK15HIP_vector_typeIfLj2EEiiiiiiS1_IjLj3EES5_S5_,comdat
	.globl	_ZL33flash_attn_stream_k_fixup_uniformILi72ELi32ELi2EEvPfPK15HIP_vector_typeIfLj2EEiiiiiiS1_IjLj3EES5_S5_ ; -- Begin function _ZL33flash_attn_stream_k_fixup_uniformILi72ELi32ELi2EEvPfPK15HIP_vector_typeIfLj2EEiiiiiiS1_IjLj3EES5_S5_
	.p2align	8
	.type	_ZL33flash_attn_stream_k_fixup_uniformILi72ELi32ELi2EEvPfPK15HIP_vector_typeIfLj2EEiiiiiiS1_IjLj3EES5_S5_,@function
_ZL33flash_attn_stream_k_fixup_uniformILi72ELi32ELi2EEvPfPK15HIP_vector_typeIfLj2EEiiiiiiS1_IjLj3EES5_S5_: ; @_ZL33flash_attn_stream_k_fixup_uniformILi72ELi32ELi2EEvPfPK15HIP_vector_typeIfLj2EEiiiiiiS1_IjLj3EES5_S5_
; %bb.0:
	s_load_b256 s[4:11], s[0:1], 0x1c
	s_bfe_u32 s2, ttmp6, 0x40014
	s_lshr_b32 s3, ttmp7, 16
	s_add_co_i32 s2, s2, 1
	s_bfe_u32 s13, ttmp6, 0x40010
	s_mul_i32 s2, s3, s2
	s_bfe_u32 s12, ttmp6, 0x40008
	s_and_b32 s15, ttmp7, 0xffff
	s_add_co_i32 s13, s13, 1
	s_bfe_u32 s14, ttmp6, 0x4000c
	s_add_co_i32 s2, s12, s2
	s_mul_i32 s12, s15, s13
	s_bfe_u32 s13, ttmp6, 0x40004
	s_add_co_i32 s14, s14, 1
	s_add_co_i32 s13, s13, s12
	s_and_b32 s12, ttmp6, 15
	s_mul_i32 s14, ttmp9, s14
	s_getreg_b32 s20, hwreg(HW_REG_IB_STS2, 6, 4)
	s_add_co_i32 s12, s12, s14
	s_load_b128 s[16:19], s[0:1], 0x3c
	s_cmp_eq_u32 s20, 0
	s_cselect_b32 s14, ttmp9, s12
	s_cselect_b32 s12, s15, s13
	s_wait_kmcnt 0x0
	s_mul_hi_u32 s7, s7, s14
	s_cselect_b32 s13, s3, s2
	s_add_co_i32 s2, s14, s7
	s_delay_alu instid0(SALU_CYCLE_1) | instskip(NEXT) | instid1(SALU_CYCLE_1)
	s_lshr_b32 s7, s2, s8
	s_mul_i32 s2, s7, s9
	s_delay_alu instid0(SALU_CYCLE_1) | instskip(NEXT) | instid1(SALU_CYCLE_1)
	s_sub_co_i32 s8, s14, s2
	s_mul_hi_u32 s2, s8, s10
	s_delay_alu instid0(SALU_CYCLE_1) | instskip(SKIP_2) | instid1(SALU_CYCLE_1)
	s_add_co_i32 s9, s8, s2
	s_load_b64 s[2:3], s[0:1], 0x10
	s_lshr_b32 s15, s9, s11
	s_mul_i32 s9, s15, s16
	s_delay_alu instid0(SALU_CYCLE_1) | instskip(NEXT) | instid1(SALU_CYCLE_1)
	s_sub_co_i32 s8, s8, s9
	s_mul_hi_u32 s9, s8, s17
	s_delay_alu instid0(SALU_CYCLE_1) | instskip(NEXT) | instid1(SALU_CYCLE_1)
	s_add_co_i32 s9, s8, s9
	s_lshr_b32 s9, s9, s18
	s_delay_alu instid0(SALU_CYCLE_1) | instskip(SKIP_2) | instid1(SALU_CYCLE_1)
	s_mul_i32 s10, s9, s19
	s_lshl_b32 s17, s9, 1
	s_sub_co_i32 s16, s8, s10
	s_lshl_b32 s8, s16, 5
	s_delay_alu instid0(SALU_CYCLE_1) | instskip(SKIP_4) | instid1(SALU_CYCLE_1)
	s_add_co_i32 s8, s8, s12
	s_wait_kmcnt 0x0
	s_cmp_lt_i32 s8, s2
	s_cselect_b32 s8, -1, 0
	s_add_co_i32 s17, s17, s13
	s_cmp_lt_i32 s17, s5
	s_cselect_b32 s9, -1, 0
	s_delay_alu instid0(SALU_CYCLE_1) | instskip(NEXT) | instid1(SALU_CYCLE_1)
	s_and_b32 s8, s8, s9
	s_and_not1_b32 vcc_lo, exec_lo, s8
	s_cbranch_vccnz .LBB35_6
; %bb.1:
	s_load_b128 s[8:11], s[0:1], 0x0
	s_wait_xcnt 0x0
	s_mul_i32 s0, s7, s2
	s_mul_i32 s15, s15, s5
	s_add_co_i32 s0, s0, s12
	s_add_co_i32 s1, s17, s15
	s_mul_i32 s0, s0, s3
	s_mul_i32 s2, s3, s16
	s_add_co_i32 s0, s1, s0
	s_mulk_i32 s2, 0x900
	s_mulk_i32 s0, 0x48
	s_mul_i32 s7, s6, s14
	v_add3_u32 v4, s0, s2, v0
	s_lshl_b32 s5, s12, 1
	s_add_co_i32 s15, s7, s6
	s_add_co_i32 s0, s5, s13
	s_lshl_b32 s1, s15, 6
	v_ashrrev_i32_e32 v5, 31, v4
	s_add_co_i32 s0, s0, s1
	s_add_co_i32 s2, s15, -2
	s_sub_co_i32 s0, s0, 64
	s_wait_kmcnt 0x0
	global_load_b32 v3, v4, s[8:9] scale_offset
	s_ashr_i32 s1, s0, 31
	s_delay_alu instid0(SALU_CYCLE_1)
	s_lshl_b64 s[0:1], s[0:1], 3
	s_cmp_lt_i32 s2, s7
	s_add_nc_u64 s[0:1], s[10:11], s[0:1]
	s_load_b32 s16, s[0:1], 0x4
	s_cbranch_scc1 .LBB35_4
; %bb.2:
	s_wait_xcnt 0x0
	s_load_b32 s0, s[0:1], 0x0
	s_add_co_i32 s14, s14, 1
	s_mulk_i32 s12, 0x90
	s_wait_xcnt 0x0
	s_mul_i32 s1, s6, s14
	s_lshl_b32 s2, s4, 8
	s_lshl_b32 s6, s1, 6
	s_mulk_i32 s1, 0x1200
	s_add_co_i32 s6, s13, s6
	s_mulk_i32 s13, 0x48
	s_lshl_b32 s4, s4, 6
	s_add_co_i32 s12, s13, s12
	s_ashr_i32 s3, s2, 31
	s_add_co_i32 s12, s12, s1
	s_add_co_i32 s1, s6, s4
	v_add3_u32 v0, s12, v0, 0xffffdc00
	s_wait_kmcnt 0x0
	v_mov_b32_e32 v2, s16
	s_lshl_b64 s[2:3], s[2:3], 2
	s_add_co_i32 s4, s1, s5
	s_add_nc_u64 s[2:3], s[10:11], s[2:3]
	s_add_co_i32 s1, s15, -1
	s_addk_co_i32 s4, 0xff80
.LBB35_3:                               ; =>This Inner Loop Header: Depth=1
	global_load_b32 v7, v0, s[2:3] scale_offset
	s_ashr_i32 s5, s4, 31
	v_max_num_f32_e64 v1, s0, s0
	s_lshl_b64 s[12:13], s[4:5], 3
	s_delay_alu instid0(SALU_CYCLE_1) | instskip(SKIP_1) | instid1(VALU_DEP_1)
	s_add_nc_u64 s[12:13], s[10:11], s[12:13]
	s_load_b64 s[12:13], s[12:13], 0x0
	v_readfirstlane_b32 s5, v1
	v_add_nc_u32_e32 v0, 0xffffee00, v0
	s_wait_kmcnt 0x0
	v_max_num_f32_e64 v1, s12, s12
	s_delay_alu instid0(VALU_DEP_1) | instskip(SKIP_1) | instid1(SALU_CYCLE_3)
	v_readfirstlane_b32 s6, v1
	s_max_num_f32 s5, s5, s6
	s_sub_f32 s0, s0, s5
	s_sub_f32 s6, s12, s5
	s_delay_alu instid0(SALU_CYCLE_2) | instskip(NEXT) | instid1(SALU_CYCLE_2)
	s_mul_f32 s12, s0, 0x3fb8aa3b
	s_mul_f32 s14, s6, 0x3fb8aa3b
	s_delay_alu instid0(SALU_CYCLE_2)
	s_xor_b32 s15, s12, 0x80000000
	s_rndne_f32 s16, s12
	s_fmamk_f32 s15, s0, 0x3fb8aa3b, s15
	s_cmp_nlt_f32 s0, 0xc2ce8ed0
	s_rndne_f32 s17, s14
	s_sub_f32 s12, s12, s16
	s_fmamk_f32 s15, s0, 0x32a5705f, s15
	s_cselect_b32 vcc_lo, -1, 0
	s_cmp_ngt_f32 s0, 0x42b17218
	s_delay_alu instid0(SALU_CYCLE_1) | instskip(SKIP_2) | instid1(SALU_CYCLE_1)
	s_add_f32 s12, s12, s15
	s_cvt_i32_f32 s15, s16
	s_sub_f32 s16, s14, s17
	v_s_exp_f32 s12, s12
	v_nop
	s_delay_alu instid0(TRANS32_DEP_1) | instskip(SKIP_1) | instid1(VALU_DEP_1)
	v_ldexp_f32 v1, s12, s15
	s_cvt_i32_f32 s12, s17
	v_cndmask_b32_e32 v1, 0, v1, vcc_lo
	s_cselect_b32 vcc_lo, -1, 0
	s_cmp_ge_f32 s0, 0xc1a00000
	s_delay_alu instid0(VALU_DEP_1)
	v_cndmask_b32_e32 v1, 0x7f800000, v1, vcc_lo
	s_cselect_b32 vcc_lo, -1, 0
	s_xor_b32 s0, s14, 0x80000000
	s_cmp_nlt_f32 s6, 0xc2ce8ed0
	s_fmamk_f32 s0, s6, 0x3fb8aa3b, s0
	v_cndmask_b32_e32 v10, 0, v1, vcc_lo
	s_delay_alu instid0(SALU_CYCLE_2) | instskip(NEXT) | instid1(SALU_CYCLE_3)
	s_fmamk_f32 s0, s6, 0x32a5705f, s0
	s_add_f32 s0, s16, s0
	s_delay_alu instid0(SALU_CYCLE_3) | instskip(SKIP_1) | instid1(TRANS32_DEP_1)
	v_s_exp_f32 s0, s0
	v_nop
	v_ldexp_f32 v6, s0, s12
	s_cselect_b32 s0, -1, 0
	s_cmp_ngt_f32 s6, 0x42b17218
	s_delay_alu instid0(VALU_DEP_1) | instskip(SKIP_2) | instid1(VALU_DEP_1)
	v_cndmask_b32_e64 v6, 0, v6, s0
	s_cselect_b32 s0, -1, 0
	s_cmp_ge_f32 s6, 0xc1a00000
	v_cndmask_b32_e64 v8, 0x7f800000, v6, s0
	s_cselect_b32 s0, -1, 0
	v_mov_b32_e32 v6, s13
	s_add_co_i32 s1, s1, -1
	s_sub_co_i32 s4, s4, 64
	v_cndmask_b32_e64 v8, 0, v8, s0
	s_cmp_le_i32 s1, s7
	s_mov_b32 s0, s5
	s_wait_loadcnt 0x0
	s_delay_alu instid0(VALU_DEP_1) | instskip(NEXT) | instid1(VALU_DEP_1)
	v_pk_mul_f32 v[6:7], v[6:7], v[8:9] op_sel_hi:[1,0]
	v_pk_fma_f32 v[2:3], v[2:3], v[10:11], v[6:7] op_sel_hi:[1,0,1]
	s_cbranch_scc0 .LBB35_3
	s_branch .LBB35_5
.LBB35_4:
	s_wait_kmcnt 0x0
	v_mov_b32_e32 v2, s16
.LBB35_5:
	v_lshl_add_u64 v[0:1], v[4:5], 2, s[8:9]
	s_wait_loadcnt 0x0
	s_delay_alu instid0(VALU_DEP_2) | instskip(NEXT) | instid1(VALU_DEP_1)
	v_div_scale_f32 v4, null, v2, v2, v3
	v_rcp_f32_e32 v5, v4
	v_nop
	s_delay_alu instid0(TRANS32_DEP_1) | instskip(NEXT) | instid1(VALU_DEP_1)
	v_fma_f32 v6, -v4, v5, 1.0
	v_fmac_f32_e32 v5, v6, v5
	v_div_scale_f32 v6, vcc_lo, v3, v2, v3
	s_delay_alu instid0(VALU_DEP_1) | instskip(NEXT) | instid1(VALU_DEP_1)
	v_mul_f32_e32 v7, v6, v5
	v_fma_f32 v8, -v4, v7, v6
	s_delay_alu instid0(VALU_DEP_1) | instskip(NEXT) | instid1(VALU_DEP_1)
	v_fmac_f32_e32 v7, v8, v5
	v_fma_f32 v4, -v4, v7, v6
	s_delay_alu instid0(VALU_DEP_1) | instskip(NEXT) | instid1(VALU_DEP_1)
	v_div_fmas_f32 v4, v4, v5, v7
	v_div_fixup_f32 v2, v4, v2, v3
	global_store_b32 v[0:1], v2, off
.LBB35_6:
	s_endpgm
	.section	.rodata,"a",@progbits
	.p2align	6, 0x0
	.amdhsa_kernel _ZL33flash_attn_stream_k_fixup_uniformILi72ELi32ELi2EEvPfPK15HIP_vector_typeIfLj2EEiiiiiiS1_IjLj3EES5_S5_
		.amdhsa_group_segment_fixed_size 0
		.amdhsa_private_segment_fixed_size 0
		.amdhsa_kernarg_size 76
		.amdhsa_user_sgpr_count 2
		.amdhsa_user_sgpr_dispatch_ptr 0
		.amdhsa_user_sgpr_queue_ptr 0
		.amdhsa_user_sgpr_kernarg_segment_ptr 1
		.amdhsa_user_sgpr_dispatch_id 0
		.amdhsa_user_sgpr_kernarg_preload_length 0
		.amdhsa_user_sgpr_kernarg_preload_offset 0
		.amdhsa_user_sgpr_private_segment_size 0
		.amdhsa_wavefront_size32 1
		.amdhsa_uses_dynamic_stack 0
		.amdhsa_enable_private_segment 0
		.amdhsa_system_sgpr_workgroup_id_x 1
		.amdhsa_system_sgpr_workgroup_id_y 1
		.amdhsa_system_sgpr_workgroup_id_z 1
		.amdhsa_system_sgpr_workgroup_info 0
		.amdhsa_system_vgpr_workitem_id 0
		.amdhsa_next_free_vgpr 12
		.amdhsa_next_free_sgpr 21
		.amdhsa_named_barrier_count 0
		.amdhsa_reserve_vcc 1
		.amdhsa_float_round_mode_32 0
		.amdhsa_float_round_mode_16_64 0
		.amdhsa_float_denorm_mode_32 3
		.amdhsa_float_denorm_mode_16_64 3
		.amdhsa_fp16_overflow 0
		.amdhsa_memory_ordered 1
		.amdhsa_forward_progress 1
		.amdhsa_inst_pref_size 9
		.amdhsa_round_robin_scheduling 0
		.amdhsa_exception_fp_ieee_invalid_op 0
		.amdhsa_exception_fp_denorm_src 0
		.amdhsa_exception_fp_ieee_div_zero 0
		.amdhsa_exception_fp_ieee_overflow 0
		.amdhsa_exception_fp_ieee_underflow 0
		.amdhsa_exception_fp_ieee_inexact 0
		.amdhsa_exception_int_div_zero 0
	.end_amdhsa_kernel
	.section	.text._ZL33flash_attn_stream_k_fixup_uniformILi72ELi32ELi2EEvPfPK15HIP_vector_typeIfLj2EEiiiiiiS1_IjLj3EES5_S5_,"axG",@progbits,_ZL33flash_attn_stream_k_fixup_uniformILi72ELi32ELi2EEvPfPK15HIP_vector_typeIfLj2EEiiiiiiS1_IjLj3EES5_S5_,comdat
.Lfunc_end35:
	.size	_ZL33flash_attn_stream_k_fixup_uniformILi72ELi32ELi2EEvPfPK15HIP_vector_typeIfLj2EEiiiiiiS1_IjLj3EES5_S5_, .Lfunc_end35-_ZL33flash_attn_stream_k_fixup_uniformILi72ELi32ELi2EEvPfPK15HIP_vector_typeIfLj2EEiiiiiiS1_IjLj3EES5_S5_
                                        ; -- End function
	.set _ZL33flash_attn_stream_k_fixup_uniformILi72ELi32ELi2EEvPfPK15HIP_vector_typeIfLj2EEiiiiiiS1_IjLj3EES5_S5_.num_vgpr, 12
	.set _ZL33flash_attn_stream_k_fixup_uniformILi72ELi32ELi2EEvPfPK15HIP_vector_typeIfLj2EEiiiiiiS1_IjLj3EES5_S5_.num_agpr, 0
	.set _ZL33flash_attn_stream_k_fixup_uniformILi72ELi32ELi2EEvPfPK15HIP_vector_typeIfLj2EEiiiiiiS1_IjLj3EES5_S5_.numbered_sgpr, 21
	.set _ZL33flash_attn_stream_k_fixup_uniformILi72ELi32ELi2EEvPfPK15HIP_vector_typeIfLj2EEiiiiiiS1_IjLj3EES5_S5_.num_named_barrier, 0
	.set _ZL33flash_attn_stream_k_fixup_uniformILi72ELi32ELi2EEvPfPK15HIP_vector_typeIfLj2EEiiiiiiS1_IjLj3EES5_S5_.private_seg_size, 0
	.set _ZL33flash_attn_stream_k_fixup_uniformILi72ELi32ELi2EEvPfPK15HIP_vector_typeIfLj2EEiiiiiiS1_IjLj3EES5_S5_.uses_vcc, 1
	.set _ZL33flash_attn_stream_k_fixup_uniformILi72ELi32ELi2EEvPfPK15HIP_vector_typeIfLj2EEiiiiiiS1_IjLj3EES5_S5_.uses_flat_scratch, 0
	.set _ZL33flash_attn_stream_k_fixup_uniformILi72ELi32ELi2EEvPfPK15HIP_vector_typeIfLj2EEiiiiiiS1_IjLj3EES5_S5_.has_dyn_sized_stack, 0
	.set _ZL33flash_attn_stream_k_fixup_uniformILi72ELi32ELi2EEvPfPK15HIP_vector_typeIfLj2EEiiiiiiS1_IjLj3EES5_S5_.has_recursion, 0
	.set _ZL33flash_attn_stream_k_fixup_uniformILi72ELi32ELi2EEvPfPK15HIP_vector_typeIfLj2EEiiiiiiS1_IjLj3EES5_S5_.has_indirect_call, 0
	.section	.AMDGPU.csdata,"",@progbits
; Kernel info:
; codeLenInByte = 1084
; TotalNumSgprs: 23
; NumVgprs: 12
; ScratchSize: 0
; MemoryBound: 0
; FloatMode: 240
; IeeeMode: 1
; LDSByteSize: 0 bytes/workgroup (compile time only)
; SGPRBlocks: 0
; VGPRBlocks: 0
; NumSGPRsForWavesPerEU: 23
; NumVGPRsForWavesPerEU: 12
; NamedBarCnt: 0
; Occupancy: 16
; WaveLimiterHint : 0
; COMPUTE_PGM_RSRC2:SCRATCH_EN: 0
; COMPUTE_PGM_RSRC2:USER_SGPR: 2
; COMPUTE_PGM_RSRC2:TRAP_HANDLER: 0
; COMPUTE_PGM_RSRC2:TGID_X_EN: 1
; COMPUTE_PGM_RSRC2:TGID_Y_EN: 1
; COMPUTE_PGM_RSRC2:TGID_Z_EN: 1
; COMPUTE_PGM_RSRC2:TIDIG_COMP_CNT: 0
	.section	.text._ZL33flash_attn_stream_k_fixup_generalILi72ELi32ELi2EEvPfPK15HIP_vector_typeIfLj2EEiiiiS1_IjLj3EES5_S5_S5_,"axG",@progbits,_ZL33flash_attn_stream_k_fixup_generalILi72ELi32ELi2EEvPfPK15HIP_vector_typeIfLj2EEiiiiS1_IjLj3EES5_S5_S5_,comdat
	.globl	_ZL33flash_attn_stream_k_fixup_generalILi72ELi32ELi2EEvPfPK15HIP_vector_typeIfLj2EEiiiiS1_IjLj3EES5_S5_S5_ ; -- Begin function _ZL33flash_attn_stream_k_fixup_generalILi72ELi32ELi2EEvPfPK15HIP_vector_typeIfLj2EEiiiiS1_IjLj3EES5_S5_S5_
	.p2align	8
	.type	_ZL33flash_attn_stream_k_fixup_generalILi72ELi32ELi2EEvPfPK15HIP_vector_typeIfLj2EEiiiiS1_IjLj3EES5_S5_S5_,@function
_ZL33flash_attn_stream_k_fixup_generalILi72ELi32ELi2EEvPfPK15HIP_vector_typeIfLj2EEiiiiS1_IjLj3EES5_S5_S5_: ; @_ZL33flash_attn_stream_k_fixup_generalILi72ELi32ELi2EEvPfPK15HIP_vector_typeIfLj2EEiiiiS1_IjLj3EES5_S5_S5_
; %bb.0:
	s_clause 0x1
	s_load_b128 s[4:7], s[0:1], 0x10
	s_load_b32 s16, s[0:1], 0x50
	s_bfe_u32 s2, ttmp6, 0x4000c
	s_and_b32 s3, ttmp6, 15
	s_add_co_i32 s2, s2, 1
	s_getreg_b32 s15, hwreg(HW_REG_IB_STS2, 6, 4)
	s_mul_i32 s2, ttmp9, s2
	s_mov_b32 s17, 0
	s_add_co_i32 s3, s3, s2
	s_cmp_eq_u32 s15, 0
	s_cselect_b32 s2, ttmp9, s3
	s_delay_alu instid0(SALU_CYCLE_1) | instskip(SKIP_3) | instid1(SALU_CYCLE_1)
	s_ashr_i32 s3, s2, 31
	s_wait_kmcnt 0x0
	s_ashr_i32 s19, s7, 31
	s_mov_b32 s18, s7
	s_mul_u64 s[8:9], s[18:19], s[2:3]
	s_delay_alu instid0(SALU_CYCLE_1) | instskip(NEXT) | instid1(SALU_CYCLE_1)
	s_and_b64 s[10:11], s[8:9], 0xffffffff00000000
	s_cmp_lg_u64 s[10:11], 0
	s_cbranch_scc0 .LBB36_21
; %bb.1:
	s_add_nc_u64 s[10:11], s[16:17], 0
	s_mov_b32 s23, s17
	s_xor_b64 s[10:11], s[10:11], 0
	s_mov_b32 s27, s17
	s_cvt_f32_u32 s3, s10
	s_cvt_f32_u32 s7, s11
	s_sub_nc_u64 s[20:21], 0, s[10:11]
	s_delay_alu instid0(SALU_CYCLE_2) | instskip(NEXT) | instid1(SALU_CYCLE_3)
	s_fmamk_f32 s3, s7, 0x4f800000, s3
	v_s_rcp_f32 s3, s3
	s_delay_alu instid0(TRANS32_DEP_1) | instskip(NEXT) | instid1(SALU_CYCLE_3)
	s_mul_f32 s3, s3, 0x5f7ffffc
	s_mul_f32 s7, s3, 0x2f800000
	s_delay_alu instid0(SALU_CYCLE_3) | instskip(NEXT) | instid1(SALU_CYCLE_3)
	s_trunc_f32 s7, s7
	s_fmamk_f32 s3, s7, 0xcf800000, s3
	s_cvt_u32_f32 s13, s7
	s_delay_alu instid0(SALU_CYCLE_2) | instskip(NEXT) | instid1(SALU_CYCLE_3)
	s_cvt_u32_f32 s12, s3
	s_mul_u64 s[24:25], s[20:21], s[12:13]
	s_delay_alu instid0(SALU_CYCLE_1)
	s_mul_hi_u32 s29, s12, s25
	s_mul_i32 s28, s12, s25
	s_mul_hi_u32 s22, s12, s24
	s_mul_i32 s7, s13, s24
	s_add_nc_u64 s[22:23], s[22:23], s[28:29]
	s_mul_hi_u32 s3, s13, s24
	s_mul_hi_u32 s14, s13, s25
	s_add_co_u32 s7, s22, s7
	s_add_co_ci_u32 s26, s23, s3
	s_mul_i32 s24, s13, s25
	s_add_co_ci_u32 s25, s14, 0
	s_delay_alu instid0(SALU_CYCLE_1) | instskip(SKIP_3) | instid1(SALU_CYCLE_1)
	s_add_nc_u64 s[22:23], s[26:27], s[24:25]
	s_mov_b32 s25, s17
	s_add_co_u32 s12, s12, s22
	s_cselect_b32 s3, -1, 0
	s_cmp_lg_u32 s3, 0
	s_add_co_ci_u32 s13, s13, s23
	s_mov_b32 s23, s17
	s_mul_u64 s[20:21], s[20:21], s[12:13]
	s_delay_alu instid0(SALU_CYCLE_1)
	s_mul_hi_u32 s27, s12, s21
	s_mul_i32 s26, s12, s21
	s_mul_hi_u32 s22, s12, s20
	s_mul_i32 s7, s13, s20
	s_add_nc_u64 s[22:23], s[22:23], s[26:27]
	s_mul_hi_u32 s3, s13, s20
	s_mul_hi_u32 s14, s13, s21
	s_add_co_u32 s7, s22, s7
	s_add_co_ci_u32 s24, s23, s3
	s_mul_i32 s20, s13, s21
	s_add_co_ci_u32 s21, s14, 0
	s_mov_b32 s23, s17
	s_add_nc_u64 s[20:21], s[24:25], s[20:21]
	s_delay_alu instid0(SALU_CYCLE_1) | instskip(SKIP_1) | instid1(SALU_CYCLE_1)
	s_add_co_u32 s3, s12, s20
	s_cselect_b32 s7, -1, 0
	s_cmp_lg_u32 s7, 0
	s_add_co_ci_u32 s7, s13, s21
	s_ashr_i32 s12, s9, 31
	s_delay_alu instid0(SALU_CYCLE_1) | instskip(NEXT) | instid1(SALU_CYCLE_1)
	s_mov_b32 s13, s12
	s_add_nc_u64 s[20:21], s[8:9], s[12:13]
	s_delay_alu instid0(SALU_CYCLE_1) | instskip(NEXT) | instid1(SALU_CYCLE_1)
	s_xor_b64 s[20:21], s[20:21], s[12:13]
	s_mul_hi_u32 s27, s20, s7
	s_mul_i32 s26, s20, s7
	s_mul_hi_u32 s22, s20, s3
	s_mul_hi_u32 s14, s21, s3
	s_mul_i32 s3, s21, s3
	s_add_nc_u64 s[22:23], s[22:23], s[26:27]
	s_mul_hi_u32 s9, s21, s7
	s_add_co_u32 s3, s22, s3
	s_add_co_ci_u32 s24, s23, s14
	s_mul_i32 s26, s21, s7
	s_add_co_ci_u32 s27, s9, 0
	s_delay_alu instid0(SALU_CYCLE_1) | instskip(NEXT) | instid1(SALU_CYCLE_1)
	s_add_nc_u64 s[22:23], s[24:25], s[26:27]
	s_and_b64 s[24:25], s[22:23], 0xffffffff00000000
	s_delay_alu instid0(SALU_CYCLE_1) | instskip(NEXT) | instid1(SALU_CYCLE_1)
	s_or_b32 s24, s24, s22
	s_mul_u64 s[22:23], s[10:11], s[24:25]
	s_add_nc_u64 s[26:27], s[24:25], 1
	s_sub_co_u32 s3, s20, s22
	s_cselect_b32 s7, -1, 0
	s_sub_co_i32 s9, s21, s23
	s_cmp_lg_u32 s7, 0
	s_add_nc_u64 s[28:29], s[24:25], 2
	s_sub_co_ci_u32 s9, s9, s11
	s_sub_co_u32 s14, s3, s10
	s_cselect_b32 s20, -1, 0
	s_delay_alu instid0(SALU_CYCLE_1) | instskip(SKIP_1) | instid1(SALU_CYCLE_1)
	s_cmp_lg_u32 s20, 0
	s_sub_co_ci_u32 s9, s9, 0
	s_cmp_ge_u32 s9, s11
	s_cselect_b32 s20, -1, 0
	s_cmp_ge_u32 s14, s10
	s_cselect_b32 s14, -1, 0
	s_cmp_eq_u32 s9, s11
	s_cselect_b32 s9, s14, s20
	s_delay_alu instid0(SALU_CYCLE_1) | instskip(SKIP_4) | instid1(SALU_CYCLE_1)
	s_cmp_lg_u32 s9, 0
	s_cselect_b32 s9, s28, s26
	s_cselect_b32 s14, s29, s27
	s_cmp_lg_u32 s7, 0
	s_sub_co_ci_u32 s7, s21, s23
	s_cmp_ge_u32 s7, s11
	s_cselect_b32 s20, -1, 0
	s_cmp_ge_u32 s3, s10
	s_cselect_b32 s3, -1, 0
	s_cmp_eq_u32 s7, s11
	s_cselect_b32 s3, s3, s20
	s_delay_alu instid0(SALU_CYCLE_1) | instskip(SKIP_4) | instid1(SALU_CYCLE_1)
	s_cmp_lg_u32 s3, 0
	s_mov_b32 s3, s17
	s_cselect_b32 s11, s14, s25
	s_cselect_b32 s10, s9, s24
	s_xor_b64 s[12:13], s[12:13], 0
	s_xor_b64 s[10:11], s[10:11], s[12:13]
	s_delay_alu instid0(SALU_CYCLE_1)
	s_sub_nc_u64 s[20:21], s[10:11], s[12:13]
	s_and_not1_b32 vcc_lo, exec_lo, s3
	s_cbranch_vccnz .LBB36_3
.LBB36_2:
	v_cvt_f32_u32_e32 v1, s16
	s_sub_co_i32 s7, 0, s16
	s_mov_b32 s21, 0
	s_delay_alu instid0(VALU_DEP_1) | instskip(SKIP_1) | instid1(TRANS32_DEP_1)
	v_rcp_iflag_f32_e32 v1, v1
	v_nop
	v_mul_f32_e32 v1, 0x4f7ffffe, v1
	s_delay_alu instid0(VALU_DEP_1) | instskip(NEXT) | instid1(VALU_DEP_1)
	v_cvt_u32_f32_e32 v1, v1
	v_readfirstlane_b32 s3, v1
	s_mul_i32 s7, s7, s3
	s_delay_alu instid0(SALU_CYCLE_1) | instskip(NEXT) | instid1(SALU_CYCLE_1)
	s_mul_hi_u32 s7, s3, s7
	s_add_co_i32 s3, s3, s7
	s_delay_alu instid0(SALU_CYCLE_1) | instskip(NEXT) | instid1(SALU_CYCLE_1)
	s_mul_hi_u32 s3, s8, s3
	s_mul_i32 s7, s3, s16
	s_delay_alu instid0(SALU_CYCLE_1)
	s_sub_co_i32 s7, s8, s7
	s_add_co_i32 s8, s3, 1
	s_sub_co_i32 s9, s7, s16
	s_cmp_ge_u32 s7, s16
	s_cselect_b32 s3, s8, s3
	s_cselect_b32 s7, s9, s7
	s_add_co_i32 s8, s3, 1
	s_cmp_ge_u32 s7, s16
	s_cselect_b32 s20, s8, s3
.LBB36_3:
	s_add_co_i32 s8, s2, 1
	s_delay_alu instid0(SALU_CYCLE_1) | instskip(NEXT) | instid1(SALU_CYCLE_1)
	s_ashr_i32 s9, s8, 31
	s_mul_u64 s[8:9], s[18:19], s[8:9]
	s_delay_alu instid0(SALU_CYCLE_1) | instskip(NEXT) | instid1(SALU_CYCLE_1)
	s_and_b64 s[10:11], s[8:9], 0xffffffff00000000
	s_cmp_lg_u64 s[10:11], 0
	s_cbranch_scc0 .LBB36_22
; %bb.4:
	s_add_nc_u64 s[10:11], s[16:17], 0
	s_delay_alu instid0(SALU_CYCLE_1) | instskip(SKIP_4) | instid1(SALU_CYCLE_2)
	s_xor_b64 s[12:13], s[10:11], 0
	s_mov_b32 s11, 0
	s_cvt_f32_u32 s3, s12
	s_cvt_f32_u32 s7, s13
	s_sub_nc_u64 s[24:25], 0, s[12:13]
	s_fmamk_f32 s3, s7, 0x4f800000, s3
	s_delay_alu instid0(SALU_CYCLE_3) | instskip(NEXT) | instid1(TRANS32_DEP_1)
	v_s_rcp_f32 s3, s3
	s_mul_f32 s3, s3, 0x5f7ffffc
	s_delay_alu instid0(SALU_CYCLE_3) | instskip(NEXT) | instid1(SALU_CYCLE_3)
	s_mul_f32 s7, s3, 0x2f800000
	s_trunc_f32 s7, s7
	s_delay_alu instid0(SALU_CYCLE_3) | instskip(SKIP_1) | instid1(SALU_CYCLE_2)
	s_fmamk_f32 s3, s7, 0xcf800000, s3
	s_cvt_u32_f32 s23, s7
	s_cvt_u32_f32 s22, s3
	s_delay_alu instid0(SALU_CYCLE_3) | instskip(NEXT) | instid1(SALU_CYCLE_1)
	s_mul_u64 s[26:27], s[24:25], s[22:23]
	s_mul_hi_u32 s29, s22, s27
	s_mul_i32 s28, s22, s27
	s_mul_hi_u32 s10, s22, s26
	s_mul_i32 s7, s23, s26
	s_add_nc_u64 s[28:29], s[10:11], s[28:29]
	s_mul_hi_u32 s3, s23, s26
	s_mul_hi_u32 s14, s23, s27
	s_add_co_u32 s7, s28, s7
	s_add_co_ci_u32 s10, s29, s3
	s_mul_i32 s26, s23, s27
	s_add_co_ci_u32 s27, s14, 0
	s_delay_alu instid0(SALU_CYCLE_1) | instskip(NEXT) | instid1(SALU_CYCLE_1)
	s_add_nc_u64 s[26:27], s[10:11], s[26:27]
	s_add_co_u32 s22, s22, s26
	s_cselect_b32 s3, -1, 0
	s_delay_alu instid0(SALU_CYCLE_1) | instskip(SKIP_1) | instid1(SALU_CYCLE_1)
	s_cmp_lg_u32 s3, 0
	s_add_co_ci_u32 s23, s23, s27
	s_mul_u64 s[24:25], s[24:25], s[22:23]
	s_delay_alu instid0(SALU_CYCLE_1)
	s_mul_hi_u32 s27, s22, s25
	s_mul_i32 s26, s22, s25
	s_mul_hi_u32 s10, s22, s24
	s_mul_i32 s7, s23, s24
	s_add_nc_u64 s[26:27], s[10:11], s[26:27]
	s_mul_hi_u32 s3, s23, s24
	s_mul_hi_u32 s14, s23, s25
	s_add_co_u32 s7, s26, s7
	s_add_co_ci_u32 s10, s27, s3
	s_mul_i32 s24, s23, s25
	s_add_co_ci_u32 s25, s14, 0
	s_delay_alu instid0(SALU_CYCLE_1) | instskip(NEXT) | instid1(SALU_CYCLE_1)
	s_add_nc_u64 s[24:25], s[10:11], s[24:25]
	s_add_co_u32 s3, s22, s24
	s_cselect_b32 s7, -1, 0
	s_delay_alu instid0(SALU_CYCLE_1) | instskip(SKIP_2) | instid1(SALU_CYCLE_1)
	s_cmp_lg_u32 s7, 0
	s_add_co_ci_u32 s7, s23, s25
	s_ashr_i32 s22, s9, 31
	s_mov_b32 s23, s22
	s_delay_alu instid0(SALU_CYCLE_1) | instskip(NEXT) | instid1(SALU_CYCLE_1)
	s_add_nc_u64 s[24:25], s[8:9], s[22:23]
	s_xor_b64 s[24:25], s[24:25], s[22:23]
	s_delay_alu instid0(SALU_CYCLE_1)
	s_mul_hi_u32 s27, s24, s7
	s_mul_i32 s26, s24, s7
	s_mul_hi_u32 s10, s24, s3
	s_mul_hi_u32 s14, s25, s3
	s_mul_i32 s3, s25, s3
	s_add_nc_u64 s[26:27], s[10:11], s[26:27]
	s_mul_hi_u32 s9, s25, s7
	s_add_co_u32 s3, s26, s3
	s_add_co_ci_u32 s10, s27, s14
	s_mul_i32 s28, s25, s7
	s_add_co_ci_u32 s29, s9, 0
	s_delay_alu instid0(SALU_CYCLE_1) | instskip(NEXT) | instid1(SALU_CYCLE_1)
	s_add_nc_u64 s[26:27], s[10:11], s[28:29]
	s_and_b64 s[28:29], s[26:27], 0xffffffff00000000
	s_delay_alu instid0(SALU_CYCLE_1) | instskip(NEXT) | instid1(SALU_CYCLE_1)
	s_or_b32 s28, s28, s26
	s_mul_u64 s[26:27], s[12:13], s[28:29]
	s_add_nc_u64 s[30:31], s[28:29], 1
	s_sub_co_u32 s3, s24, s26
	s_cselect_b32 s7, -1, 0
	s_sub_co_i32 s9, s25, s27
	s_cmp_lg_u32 s7, 0
	s_add_nc_u64 s[34:35], s[28:29], 2
	s_sub_co_ci_u32 s9, s9, s13
	s_sub_co_u32 s10, s3, s12
	s_cselect_b32 s14, -1, 0
	s_delay_alu instid0(SALU_CYCLE_1) | instskip(SKIP_1) | instid1(SALU_CYCLE_1)
	s_cmp_lg_u32 s14, 0
	s_sub_co_ci_u32 s9, s9, 0
	s_cmp_ge_u32 s9, s13
	s_cselect_b32 s14, -1, 0
	s_cmp_ge_u32 s10, s12
	s_cselect_b32 s10, -1, 0
	s_cmp_eq_u32 s9, s13
	s_cselect_b32 s9, s10, s14
	s_delay_alu instid0(SALU_CYCLE_1) | instskip(SKIP_4) | instid1(SALU_CYCLE_1)
	s_cmp_lg_u32 s9, 0
	s_cselect_b32 s9, s34, s30
	s_cselect_b32 s10, s35, s31
	s_cmp_lg_u32 s7, 0
	s_sub_co_ci_u32 s7, s25, s27
	s_cmp_ge_u32 s7, s13
	s_cselect_b32 s14, -1, 0
	s_cmp_ge_u32 s3, s12
	s_cselect_b32 s3, -1, 0
	s_cmp_eq_u32 s7, s13
	s_cselect_b32 s3, s3, s14
	s_delay_alu instid0(SALU_CYCLE_1) | instskip(SKIP_3) | instid1(SALU_CYCLE_1)
	s_cmp_lg_u32 s3, 0
	s_cselect_b32 s13, s10, s29
	s_cselect_b32 s12, s9, s28
	s_xor_b64 s[22:23], s[22:23], 0
	s_xor_b64 s[12:13], s[12:13], s[22:23]
	s_delay_alu instid0(SALU_CYCLE_1)
	s_sub_nc_u64 s[24:25], s[12:13], s[22:23]
	s_load_b96 s[12:14], s[0:1], 0x44
	s_cbranch_execnz .LBB36_6
.LBB36_5:
	v_cvt_f32_u32_e32 v1, s16
	s_sub_co_i32 s7, 0, s16
	s_delay_alu instid0(VALU_DEP_1) | instskip(SKIP_1) | instid1(TRANS32_DEP_1)
	v_rcp_iflag_f32_e32 v1, v1
	v_nop
	v_mul_f32_e32 v1, 0x4f7ffffe, v1
	s_delay_alu instid0(VALU_DEP_1) | instskip(NEXT) | instid1(VALU_DEP_1)
	v_cvt_u32_f32_e32 v1, v1
	v_readfirstlane_b32 s3, v1
	s_mul_i32 s7, s7, s3
	s_delay_alu instid0(SALU_CYCLE_1) | instskip(NEXT) | instid1(SALU_CYCLE_1)
	s_mul_hi_u32 s7, s3, s7
	s_add_co_i32 s3, s3, s7
	s_delay_alu instid0(SALU_CYCLE_1) | instskip(NEXT) | instid1(SALU_CYCLE_1)
	s_mul_hi_u32 s3, s8, s3
	s_mul_i32 s7, s3, s16
	s_delay_alu instid0(SALU_CYCLE_1)
	s_sub_co_i32 s7, s8, s7
	s_add_co_i32 s8, s3, 1
	s_sub_co_i32 s9, s7, s16
	s_cmp_ge_u32 s7, s16
	s_cselect_b32 s3, s8, s3
	s_cselect_b32 s7, s9, s7
	s_add_co_i32 s8, s3, 1
	s_cmp_ge_u32 s7, s16
	s_cselect_b32 s24, s8, s3
.LBB36_6:
	s_delay_alu instid0(SALU_CYCLE_1)
	s_cmp_eq_u32 s20, s24
	s_mov_b64 s[8:9], 0xffffffff
	s_cselect_b32 s3, -1, 0
	s_and_b64 s[8:9], s[20:21], s[8:9]
	s_mov_b32 s23, 0
	s_wait_kmcnt 0x0
	s_mov_b32 s22, s12
	s_mov_b32 s25, s23
	s_mul_u64 s[10:11], s[8:9], s[22:23]
	s_delay_alu instid0(SALU_CYCLE_1) | instskip(SKIP_2) | instid1(SALU_CYCLE_1)
	s_add_co_i32 s7, s11, s20
	s_mul_u64 s[10:11], s[24:25], s[22:23]
	s_lshr_b32 s12, s7, s13
	s_mul_i32 s7, s12, s14
	s_delay_alu instid0(SALU_CYCLE_1) | instskip(SKIP_2) | instid1(SALU_CYCLE_1)
	s_cmp_eq_u32 s7, s20
	s_cselect_b32 s7, -1, 0
	s_add_co_i32 s10, s11, s24
	s_lshr_b32 s10, s10, s13
	s_delay_alu instid0(SALU_CYCLE_1)
	s_cmp_eq_u32 s12, s10
	s_mul_i32 s10, s10, s14
	s_cselect_b32 s11, -1, 0
	s_cmp_lg_u32 s10, s24
	s_cselect_b32 s10, -1, 0
	s_or_b32 s3, s3, s7
	s_and_b32 s10, s11, s10
	s_delay_alu instid0(SALU_CYCLE_1) | instskip(NEXT) | instid1(SALU_CYCLE_1)
	s_or_b32 s3, s3, s10
	s_and_b32 vcc_lo, exec_lo, s3
	s_cbranch_vccnz .LBB36_24
; %bb.7:
	s_load_b256 s[24:31], s[0:1], 0x20
	s_bfe_u32 s7, ttmp6, 0x40014
	s_bfe_u32 s33, ttmp6, 0x40010
	s_lshr_b32 s3, ttmp7, 16
	s_add_co_i32 s7, s7, 1
	s_and_b32 s21, ttmp7, 0xffff
	s_add_co_i32 s33, s33, 1
	s_bfe_u32 s10, ttmp6, 0x40008
	s_mul_i32 s7, s3, s7
	s_bfe_u32 s34, ttmp6, 0x40004
	s_mul_i32 s33, s21, s33
	s_mov_b32 s11, s23
	s_add_co_i32 s35, s10, s7
	s_add_co_i32 s34, s34, s33
	s_cmp_eq_u32 s15, 0
	s_cselect_b32 s7, s21, s34
	s_cselect_b32 s3, s3, s35
	s_wait_kmcnt 0x0
	s_mov_b32 s10, s24
	s_delay_alu instid0(SALU_CYCLE_1) | instskip(NEXT) | instid1(SALU_CYCLE_1)
	s_mul_u64 s[8:9], s[8:9], s[10:11]
	s_add_co_i32 s8, s9, s20
	s_delay_alu instid0(SALU_CYCLE_1) | instskip(SKIP_2) | instid1(SALU_CYCLE_1)
	s_lshr_b32 s15, s8, s25
	s_load_b32 s8, s[0:1], 0x40
	s_mul_i32 s9, s15, s26
	s_sub_co_i32 s9, s20, s9
	s_delay_alu instid0(SALU_CYCLE_1) | instskip(NEXT) | instid1(SALU_CYCLE_1)
	s_mul_hi_u32 s10, s9, s27
	s_add_co_i32 s10, s9, s10
	s_delay_alu instid0(SALU_CYCLE_1) | instskip(NEXT) | instid1(SALU_CYCLE_1)
	s_lshr_b32 s21, s10, s28
	s_mul_i32 s10, s21, s29
	s_delay_alu instid0(SALU_CYCLE_1) | instskip(NEXT) | instid1(SALU_CYCLE_1)
	s_sub_co_i32 s10, s9, s10
	s_mul_hi_u32 s9, s10, s30
	s_delay_alu instid0(SALU_CYCLE_1) | instskip(NEXT) | instid1(SALU_CYCLE_1)
	s_add_co_i32 s9, s10, s9
	s_lshr_b32 s25, s9, s31
	s_mov_b32 s9, s23
	s_wait_kmcnt 0x0
	s_mul_i32 s8, s25, s8
	s_lshl_b32 s25, s25, 1
	s_sub_co_i32 s8, s10, s8
	s_delay_alu instid0(SALU_CYCLE_1) | instskip(NEXT) | instid1(SALU_CYCLE_1)
	s_mul_u64 s[10:11], s[8:9], s[22:23]
	s_add_co_i32 s8, s8, s11
	s_delay_alu instid0(SALU_CYCLE_1) | instskip(NEXT) | instid1(SALU_CYCLE_1)
	s_lshr_b32 s24, s8, s13
	s_lshl_b32 s8, s24, 5
	s_delay_alu instid0(SALU_CYCLE_1) | instskip(NEXT) | instid1(SALU_CYCLE_1)
	s_add_co_i32 s8, s8, s7
	s_cmp_lt_i32 s8, s4
	s_cselect_b32 s8, -1, 0
	s_add_co_i32 s25, s25, s3
	s_delay_alu instid0(SALU_CYCLE_1) | instskip(SKIP_1) | instid1(SALU_CYCLE_1)
	s_cmp_lt_i32 s25, s6
	s_cselect_b32 s9, -1, 0
	s_and_b32 s8, s8, s9
	s_delay_alu instid0(SALU_CYCLE_1)
	s_and_not1_b32 vcc_lo, exec_lo, s8
	s_cbranch_vccnz .LBB36_24
; %bb.8:
	s_load_b128 s[8:11], s[0:1], 0x0
	s_wait_xcnt 0x0
	s_mul_i32 s0, s15, s4
	s_mul_i32 s21, s21, s6
	s_add_co_i32 s0, s0, s7
	s_add_co_i32 s1, s25, s21
	s_mul_i32 s0, s0, s5
	s_mul_i32 s4, s5, s24
	s_add_co_i32 s0, s1, s0
	s_mulk_i32 s4, 0x900
	s_mulk_i32 s0, 0x48
	s_lshl_b32 s15, s7, 1
	v_add3_u32 v2, s4, s0, v0
	s_add_nc_u64 s[0:1], s[16:17], 0
	s_add_co_i32 s15, s15, s3
	s_xor_b64 s[6:7], s[0:1], 0
	s_lshl_b32 s0, s2, 6
	s_cvt_f32_u32 s3, s6
	s_cvt_f32_u32 s4, s7
	s_add_co_i32 s0, s15, s0
	v_cvt_f32_u32_e32 v4, s16
	s_wait_kmcnt 0x0
	global_load_b32 v1, v2, s[8:9] scale_offset
	s_fmamk_f32 s3, s4, 0x4f800000, s3
	s_ashr_i32 s1, s0, 31
	s_lshl_b32 s24, s16, 8
	s_lshl_b64 s[0:1], s[0:1], 3
	v_s_rcp_f32 s3, s3
	s_add_nc_u64 s[0:1], s[10:11], s[0:1]
	v_rcp_iflag_f32_e32 v4, v4
	s_load_b64 s[28:29], s[0:1], 0x0
	s_mov_b32 s25, 0
	v_mad_u32 v6, 0x48, s15, v0
	v_ashrrev_i32_e32 v3, 31, v2
	s_wait_xcnt 0x0
	s_lshl_b64 s[0:1], s[24:25], 2
	s_mul_f32 s3, s3, 0x5f7ffffc
	v_mul_f32_e32 v4, 0x4f7ffffe, v4
	s_add_nc_u64 s[26:27], s[10:11], s[0:1]
	v_lshl_add_u64 v[2:3], v[2:3], 2, s[8:9]
	s_mul_f32 s4, s3, 0x2f800000
	s_mov_b64 s[8:9], 0xffffffff
	v_cvt_u32_f32_e32 v7, v4
	s_add_co_i32 s36, s2, -1
	s_trunc_f32 s4, s4
	s_sub_nc_u64 s[34:35], 0, s[6:7]
	s_delay_alu instid0(SALU_CYCLE_2)
	s_fmamk_f32 s0, s4, 0xcf800000, s3
	s_cvt_u32_f32 s31, s4
	s_wait_kmcnt 0x0
	v_mov_b32_e32 v0, s29
	s_cvt_u32_f32 s30, s0
.LBB36_9:                               ; =>This Inner Loop Header: Depth=1
	s_ashr_i32 s37, s36, 31
                                        ; implicit-def: $sgpr40_sgpr41
	s_delay_alu instid0(SALU_CYCLE_1) | instskip(NEXT) | instid1(SALU_CYCLE_1)
	s_mul_u64 s[0:1], s[36:37], s[18:19]
	s_and_b64 s[2:3], s[0:1], 0xffffffff00000000
	s_delay_alu instid0(SALU_CYCLE_1)
	s_cmp_lg_u64 s[2:3], 0
	s_mov_b32 s2, -1
	s_cbranch_scc0 .LBB36_11
; %bb.10:                               ;   in Loop: Header=BB36_9 Depth=1
	s_mul_u64 s[2:3], s[34:35], s[30:31]
	s_delay_alu instid0(SALU_CYCLE_1)
	s_mul_hi_u32 s5, s30, s3
	s_mul_i32 s4, s30, s3
	s_mul_hi_u32 s24, s30, s2
	s_mul_hi_u32 s17, s31, s2
	s_add_nc_u64 s[4:5], s[24:25], s[4:5]
	s_mul_i32 s2, s31, s2
	s_mul_hi_u32 s21, s31, s3
	s_add_co_u32 s2, s4, s2
	s_add_co_ci_u32 s24, s5, s17
	s_add_co_ci_u32 s5, s21, 0
	s_mul_i32 s4, s31, s3
	s_delay_alu instid0(SALU_CYCLE_1) | instskip(NEXT) | instid1(SALU_CYCLE_1)
	s_add_nc_u64 s[2:3], s[24:25], s[4:5]
	s_add_co_u32 s2, s30, s2
	s_cselect_b32 s4, -1, 0
	s_delay_alu instid0(SALU_CYCLE_1) | instskip(SKIP_1) | instid1(SALU_CYCLE_1)
	s_cmp_lg_u32 s4, 0
	s_add_co_ci_u32 s3, s31, s3
	s_mul_u64 s[4:5], s[34:35], s[2:3]
	s_delay_alu instid0(SALU_CYCLE_1)
	s_mul_hi_u32 s39, s2, s5
	s_mul_i32 s38, s2, s5
	s_mul_hi_u32 s24, s2, s4
	s_mul_hi_u32 s17, s3, s4
	s_mul_i32 s4, s3, s4
	s_add_nc_u64 s[38:39], s[24:25], s[38:39]
	s_mul_hi_u32 s21, s3, s5
	s_add_co_u32 s4, s38, s4
	s_add_co_ci_u32 s24, s39, s17
	s_mul_i32 s4, s3, s5
	s_add_co_ci_u32 s5, s21, 0
	s_delay_alu instid0(SALU_CYCLE_1) | instskip(NEXT) | instid1(SALU_CYCLE_1)
	s_add_nc_u64 s[4:5], s[24:25], s[4:5]
	s_add_co_u32 s17, s2, s4
	s_cselect_b32 s2, -1, 0
	s_delay_alu instid0(SALU_CYCLE_1) | instskip(SKIP_2) | instid1(SALU_CYCLE_1)
	s_cmp_lg_u32 s2, 0
	s_add_co_ci_u32 s21, s3, s5
	s_ashr_i32 s2, s1, 31
	s_mov_b32 s3, s2
	s_delay_alu instid0(SALU_CYCLE_1) | instskip(NEXT) | instid1(SALU_CYCLE_1)
	s_add_nc_u64 s[4:5], s[0:1], s[2:3]
	s_xor_b64 s[4:5], s[4:5], s[2:3]
	s_delay_alu instid0(SALU_CYCLE_1)
	s_mul_hi_u32 s39, s4, s21
	s_mul_i32 s38, s4, s21
	s_mul_hi_u32 s24, s4, s17
	s_mul_hi_u32 s29, s5, s17
	s_mul_i32 s17, s5, s17
	s_add_nc_u64 s[38:39], s[24:25], s[38:39]
	s_mul_hi_u32 s1, s5, s21
	s_add_co_u32 s17, s38, s17
	s_add_co_ci_u32 s24, s39, s29
	s_mul_i32 s40, s5, s21
	s_add_co_ci_u32 s41, s1, 0
	s_delay_alu instid0(SALU_CYCLE_1) | instskip(NEXT) | instid1(SALU_CYCLE_1)
	s_add_nc_u64 s[38:39], s[24:25], s[40:41]
	s_and_b64 s[40:41], s[38:39], 0xffffffff00000000
	s_delay_alu instid0(SALU_CYCLE_1) | instskip(NEXT) | instid1(SALU_CYCLE_1)
	s_or_b32 s40, s40, s38
	s_mul_u64 s[38:39], s[6:7], s[40:41]
	s_add_nc_u64 s[42:43], s[40:41], 1
	s_sub_co_u32 s1, s4, s38
	s_cselect_b32 s4, -1, 0
	s_sub_co_i32 s17, s5, s39
	s_cmp_lg_u32 s4, 0
	s_add_nc_u64 s[44:45], s[40:41], 2
	s_sub_co_ci_u32 s17, s17, s7
	s_sub_co_u32 s21, s1, s6
	s_cselect_b32 s24, -1, 0
	s_delay_alu instid0(SALU_CYCLE_1) | instskip(SKIP_1) | instid1(SALU_CYCLE_1)
	s_cmp_lg_u32 s24, 0
	s_sub_co_ci_u32 s17, s17, 0
	s_cmp_ge_u32 s17, s7
	s_cselect_b32 s24, -1, 0
	s_cmp_ge_u32 s21, s6
	s_cselect_b32 s21, -1, 0
	s_cmp_eq_u32 s17, s7
	s_cselect_b32 s17, s21, s24
	s_delay_alu instid0(SALU_CYCLE_1) | instskip(SKIP_4) | instid1(SALU_CYCLE_1)
	s_cmp_lg_u32 s17, 0
	s_cselect_b32 s17, s44, s42
	s_cselect_b32 s21, s45, s43
	s_cmp_lg_u32 s4, 0
	s_sub_co_ci_u32 s4, s5, s39
	s_cmp_ge_u32 s4, s7
	s_cselect_b32 s5, -1, 0
	s_cmp_ge_u32 s1, s6
	s_cselect_b32 s1, -1, 0
	s_cmp_eq_u32 s4, s7
	s_cselect_b32 s1, s1, s5
	s_delay_alu instid0(SALU_CYCLE_1) | instskip(SKIP_3) | instid1(SALU_CYCLE_1)
	s_cmp_lg_u32 s1, 0
	s_cselect_b32 s5, s21, s41
	s_cselect_b32 s4, s17, s40
	s_xor_b64 s[2:3], s[2:3], 0
	s_xor_b64 s[4:5], s[4:5], s[2:3]
	s_delay_alu instid0(SALU_CYCLE_1)
	s_sub_nc_u64 s[40:41], s[4:5], s[2:3]
	s_mov_b32 s2, 0
.LBB36_11:                              ;   in Loop: Header=BB36_9 Depth=1
	s_delay_alu instid0(SALU_CYCLE_1)
	s_and_not1_b32 vcc_lo, exec_lo, s2
	s_cbranch_vccnz .LBB36_13
; %bb.12:                               ;   in Loop: Header=BB36_9 Depth=1
	v_readfirstlane_b32 s1, v7
	s_sub_co_i32 s2, 0, s16
	s_delay_alu instid0(SALU_CYCLE_1) | instskip(NEXT) | instid1(SALU_CYCLE_1)
	s_mul_i32 s2, s2, s1
	s_mul_hi_u32 s2, s1, s2
	s_delay_alu instid0(SALU_CYCLE_1) | instskip(NEXT) | instid1(SALU_CYCLE_1)
	s_add_co_i32 s1, s1, s2
	s_mul_hi_u32 s1, s0, s1
	s_delay_alu instid0(SALU_CYCLE_1) | instskip(NEXT) | instid1(SALU_CYCLE_1)
	s_mul_i32 s2, s1, s16
	s_sub_co_i32 s0, s0, s2
	s_add_co_i32 s2, s1, 1
	s_sub_co_i32 s3, s0, s16
	s_cmp_ge_u32 s0, s16
	s_cselect_b32 s1, s2, s1
	s_cselect_b32 s0, s3, s0
	s_add_co_i32 s2, s1, 1
	s_cmp_ge_u32 s0, s16
	s_cselect_b32 s24, s2, s1
	s_delay_alu instid0(SALU_CYCLE_1)
	s_mov_b64 s[40:41], s[24:25]
.LBB36_13:                              ;   in Loop: Header=BB36_9 Depth=1
	s_delay_alu instid0(SALU_CYCLE_1)
	s_cmp_lg_u32 s20, s40
	s_mov_b32 s0, -1
                                        ; implicit-def: $vgpr4_vgpr5
                                        ; implicit-def: $sgpr24
                                        ; implicit-def: $sgpr17
                                        ; implicit-def: $sgpr21
                                        ; implicit-def: $sgpr29
	s_cbranch_scc0 .LBB36_18
; %bb.14:                               ;   in Loop: Header=BB36_9 Depth=1
	s_add_co_i32 s0, s36, s16
	v_max_num_f32_e64 v4, s28, s28
	s_lshl_b32 s0, s0, 6
	s_mov_b32 s29, s20
	s_add_co_i32 s0, s0, s15
	s_load_b64 s[38:39], s[10:11], s0 offset:0x0 scale_offset
	s_wait_xcnt 0x0
	v_readfirstlane_b32 s0, v4
	s_wait_kmcnt 0x0
	v_max_num_f32_e64 v5, s38, s38
	s_delay_alu instid0(VALU_DEP_1) | instskip(SKIP_1) | instid1(SALU_CYCLE_3)
	v_readfirstlane_b32 s1, v5
	s_max_num_f32 s17, s0, s1
	s_sub_f32 s33, s28, s17
	s_sub_f32 s37, s38, s17
	s_delay_alu instid0(SALU_CYCLE_2)
	s_cmp_nlt_f32 s33, 0xc2ce8ed0
	s_cselect_b32 s1, -1, 0
	s_cmp_ngt_f32 s33, 0x42b17218
	s_cselect_b32 s2, -1, 0
	s_cmp_ge_f32 s33, 0xc1a00000
	s_cselect_b32 s0, -1, 0
	s_cmp_nlt_f32 s37, 0xc2ce8ed0
	s_cselect_b32 s3, -1, 0
	s_cmp_ngt_f32 s37, 0x42b17218
	s_cselect_b32 s4, -1, 0
	s_cmp_ge_f32 s37, 0xc1a00000
	s_cselect_b32 s5, -1, 0
	s_and_b64 s[42:43], s[40:41], s[8:9]
	s_delay_alu instid0(SALU_CYCLE_1) | instskip(NEXT) | instid1(SALU_CYCLE_1)
	s_mul_u64 s[42:43], s[42:43], s[22:23]
	s_add_co_i32 s21, s43, s40
	s_delay_alu instid0(SALU_CYCLE_1) | instskip(NEXT) | instid1(SALU_CYCLE_1)
	s_lshr_b32 s21, s21, s13
	s_mul_i32 s24, s21, s14
	s_delay_alu instid0(SALU_CYCLE_1) | instskip(SKIP_3) | instid1(SALU_CYCLE_1)
	s_cmp_eq_u32 s24, s40
	s_cselect_b32 s24, -1, 0
	s_cmp_lt_u32 s21, s12
	s_cselect_b32 s21, -1, 0
	s_or_b32 s21, s21, s24
	s_mov_b32 s24, -1
	s_and_b32 vcc_lo, exec_lo, s21
	s_mov_b32 s21, s36
	s_cbranch_vccnz .LBB36_16
; %bb.15:                               ;   in Loop: Header=BB36_9 Depth=1
	s_add_co_i32 s21, s36, -1
	s_mov_b32 s24, 0
	s_mov_b32 s29, s40
.LBB36_16:                              ;   in Loop: Header=BB36_9 Depth=1
	v_mad_u32 v4, 0x1200, s36, v6
	s_mul_f32 s40, s33, 0x3fb8aa3b
	s_mul_f32 s38, s37, 0x3fb8aa3b
	s_delay_alu instid0(SALU_CYCLE_2)
	s_xor_b32 s42, s40, 0x80000000
	s_rndne_f32 s44, s40
	s_fmamk_f32 s42, s33, 0x3fb8aa3b, s42
	s_xor_b32 s41, s38, 0x80000000
	s_rndne_f32 s43, s38
	s_sub_f32 s40, s40, s44
	global_load_b32 v5, v4, s[26:27] scale_offset
	s_fmamk_f32 s33, s33, 0x32a5705f, s42
	s_fmamk_f32 s41, s37, 0x3fb8aa3b, s41
	s_sub_f32 s38, s38, s43
	s_delay_alu instid0(SALU_CYCLE_1) | instskip(NEXT) | instid1(SALU_CYCLE_1)
	s_add_f32 s33, s40, s33
	s_fmamk_f32 s37, s37, 0x32a5705f, s41
	s_cvt_i32_f32 s40, s44
	s_delay_alu instid0(SALU_CYCLE_1) | instskip(NEXT) | instid1(SALU_CYCLE_1)
	v_s_exp_f32 s33, s33
	s_add_f32 s37, s38, s37
	s_cvt_i32_f32 s38, s43
	s_delay_alu instid0(SALU_CYCLE_2) | instskip(NEXT) | instid1(TRANS32_DEP_2)
	v_s_exp_f32 s37, s37
	v_ldexp_f32 v8, s33, s40
	s_wait_xcnt 0x0
	s_delay_alu instid0(TRANS32_DEP_1) | instskip(NEXT) | instid1(VALU_DEP_2)
	v_ldexp_f32 v4, s37, s38
	v_cndmask_b32_e64 v8, 0, v8, s1
	s_delay_alu instid0(VALU_DEP_1) | instskip(NEXT) | instid1(VALU_DEP_1)
	v_cndmask_b32_e64 v9, 0x7f800000, v8, s2
	v_dual_cndmask_b32 v4, 0, v4, s3 :: v_dual_cndmask_b32 v10, 0, v9, s0
	s_delay_alu instid0(VALU_DEP_1) | instskip(NEXT) | instid1(VALU_DEP_1)
	v_cndmask_b32_e64 v4, 0x7f800000, v4, s4
	v_dual_cndmask_b32 v8, 0, v4, s5 :: v_dual_mov_b32 v4, s39
	s_wait_loadcnt 0x0
	s_delay_alu instid0(VALU_DEP_1) | instskip(NEXT) | instid1(VALU_DEP_1)
	v_pk_mul_f32 v[4:5], v[4:5], v[8:9] op_sel_hi:[1,0]
	v_pk_fma_f32 v[4:5], v[0:1], v[10:11], v[4:5] op_sel_hi:[1,0,1]
	s_cbranch_execz .LBB36_19
.LBB36_17:                              ;   in Loop: Header=BB36_9 Depth=1
	s_and_not1_b32 vcc_lo, exec_lo, s24
	s_cbranch_vccnz .LBB36_20
	s_branch .LBB36_23
.LBB36_18:                              ;   in Loop: Header=BB36_9 Depth=1
	s_and_not1_b32 vcc_lo, exec_lo, s0
	s_cbranch_vccnz .LBB36_17
.LBB36_19:                              ;   in Loop: Header=BB36_9 Depth=1
	s_wait_loadcnt 0x0
	v_mov_b64_e32 v[4:5], v[0:1]
	s_add_co_i32 s21, s36, -1
	s_mov_b32 s29, s20
	s_mov_b32 s17, s28
	s_cbranch_execz .LBB36_23
.LBB36_20:                              ;   in Loop: Header=BB36_9 Depth=1
	s_wait_loadcnt 0x0
	s_delay_alu instid0(VALU_DEP_1)
	v_mov_b64_e32 v[0:1], v[4:5]
	s_mov_b32 s20, s29
	s_mov_b32 s36, s21
	;; [unrolled: 1-line block ×3, first 2 shown]
	s_branch .LBB36_9
.LBB36_21:
                                        ; implicit-def: $sgpr20_sgpr21
	s_branch .LBB36_2
.LBB36_22:
                                        ; implicit-def: $sgpr24_sgpr25
	s_load_b96 s[12:14], s[0:1], 0x44
	s_branch .LBB36_5
.LBB36_23:
	s_delay_alu instid0(VALU_DEP_1) | instskip(SKIP_1) | instid1(VALU_DEP_1)
	v_div_scale_f32 v0, null, v4, v4, v5
	s_wait_loadcnt 0x0
	v_rcp_f32_e32 v1, v0
	v_nop
	s_delay_alu instid0(TRANS32_DEP_1) | instskip(NEXT) | instid1(VALU_DEP_1)
	v_fma_f32 v6, -v0, v1, 1.0
	v_fmac_f32_e32 v1, v6, v1
	v_div_scale_f32 v6, vcc_lo, v5, v4, v5
	s_delay_alu instid0(VALU_DEP_1) | instskip(NEXT) | instid1(VALU_DEP_1)
	v_mul_f32_e32 v7, v6, v1
	v_fma_f32 v8, -v0, v7, v6
	s_delay_alu instid0(VALU_DEP_1) | instskip(NEXT) | instid1(VALU_DEP_1)
	v_fmac_f32_e32 v7, v8, v1
	v_fma_f32 v0, -v0, v7, v6
	s_delay_alu instid0(VALU_DEP_1) | instskip(NEXT) | instid1(VALU_DEP_1)
	v_div_fmas_f32 v0, v0, v1, v7
	v_div_fixup_f32 v0, v0, v4, v5
	global_store_b32 v[2:3], v0, off
.LBB36_24:
	s_endpgm
	.section	.rodata,"a",@progbits
	.p2align	6, 0x0
	.amdhsa_kernel _ZL33flash_attn_stream_k_fixup_generalILi72ELi32ELi2EEvPfPK15HIP_vector_typeIfLj2EEiiiiS1_IjLj3EES5_S5_S5_
		.amdhsa_group_segment_fixed_size 0
		.amdhsa_private_segment_fixed_size 0
		.amdhsa_kernarg_size 336
		.amdhsa_user_sgpr_count 2
		.amdhsa_user_sgpr_dispatch_ptr 0
		.amdhsa_user_sgpr_queue_ptr 0
		.amdhsa_user_sgpr_kernarg_segment_ptr 1
		.amdhsa_user_sgpr_dispatch_id 0
		.amdhsa_user_sgpr_kernarg_preload_length 0
		.amdhsa_user_sgpr_kernarg_preload_offset 0
		.amdhsa_user_sgpr_private_segment_size 0
		.amdhsa_wavefront_size32 1
		.amdhsa_uses_dynamic_stack 0
		.amdhsa_enable_private_segment 0
		.amdhsa_system_sgpr_workgroup_id_x 1
		.amdhsa_system_sgpr_workgroup_id_y 1
		.amdhsa_system_sgpr_workgroup_id_z 1
		.amdhsa_system_sgpr_workgroup_info 0
		.amdhsa_system_vgpr_workitem_id 0
		.amdhsa_next_free_vgpr 12
		.amdhsa_next_free_sgpr 46
		.amdhsa_named_barrier_count 0
		.amdhsa_reserve_vcc 1
		.amdhsa_float_round_mode_32 0
		.amdhsa_float_round_mode_16_64 0
		.amdhsa_float_denorm_mode_32 3
		.amdhsa_float_denorm_mode_16_64 3
		.amdhsa_fp16_overflow 0
		.amdhsa_memory_ordered 1
		.amdhsa_forward_progress 1
		.amdhsa_inst_pref_size 27
		.amdhsa_round_robin_scheduling 0
		.amdhsa_exception_fp_ieee_invalid_op 0
		.amdhsa_exception_fp_denorm_src 0
		.amdhsa_exception_fp_ieee_div_zero 0
		.amdhsa_exception_fp_ieee_overflow 0
		.amdhsa_exception_fp_ieee_underflow 0
		.amdhsa_exception_fp_ieee_inexact 0
		.amdhsa_exception_int_div_zero 0
	.end_amdhsa_kernel
	.section	.text._ZL33flash_attn_stream_k_fixup_generalILi72ELi32ELi2EEvPfPK15HIP_vector_typeIfLj2EEiiiiS1_IjLj3EES5_S5_S5_,"axG",@progbits,_ZL33flash_attn_stream_k_fixup_generalILi72ELi32ELi2EEvPfPK15HIP_vector_typeIfLj2EEiiiiS1_IjLj3EES5_S5_S5_,comdat
.Lfunc_end36:
	.size	_ZL33flash_attn_stream_k_fixup_generalILi72ELi32ELi2EEvPfPK15HIP_vector_typeIfLj2EEiiiiS1_IjLj3EES5_S5_S5_, .Lfunc_end36-_ZL33flash_attn_stream_k_fixup_generalILi72ELi32ELi2EEvPfPK15HIP_vector_typeIfLj2EEiiiiS1_IjLj3EES5_S5_S5_
                                        ; -- End function
	.set _ZL33flash_attn_stream_k_fixup_generalILi72ELi32ELi2EEvPfPK15HIP_vector_typeIfLj2EEiiiiS1_IjLj3EES5_S5_S5_.num_vgpr, 12
	.set _ZL33flash_attn_stream_k_fixup_generalILi72ELi32ELi2EEvPfPK15HIP_vector_typeIfLj2EEiiiiS1_IjLj3EES5_S5_S5_.num_agpr, 0
	.set _ZL33flash_attn_stream_k_fixup_generalILi72ELi32ELi2EEvPfPK15HIP_vector_typeIfLj2EEiiiiS1_IjLj3EES5_S5_S5_.numbered_sgpr, 46
	.set _ZL33flash_attn_stream_k_fixup_generalILi72ELi32ELi2EEvPfPK15HIP_vector_typeIfLj2EEiiiiS1_IjLj3EES5_S5_S5_.num_named_barrier, 0
	.set _ZL33flash_attn_stream_k_fixup_generalILi72ELi32ELi2EEvPfPK15HIP_vector_typeIfLj2EEiiiiS1_IjLj3EES5_S5_S5_.private_seg_size, 0
	.set _ZL33flash_attn_stream_k_fixup_generalILi72ELi32ELi2EEvPfPK15HIP_vector_typeIfLj2EEiiiiS1_IjLj3EES5_S5_S5_.uses_vcc, 1
	.set _ZL33flash_attn_stream_k_fixup_generalILi72ELi32ELi2EEvPfPK15HIP_vector_typeIfLj2EEiiiiS1_IjLj3EES5_S5_S5_.uses_flat_scratch, 0
	.set _ZL33flash_attn_stream_k_fixup_generalILi72ELi32ELi2EEvPfPK15HIP_vector_typeIfLj2EEiiiiS1_IjLj3EES5_S5_S5_.has_dyn_sized_stack, 0
	.set _ZL33flash_attn_stream_k_fixup_generalILi72ELi32ELi2EEvPfPK15HIP_vector_typeIfLj2EEiiiiS1_IjLj3EES5_S5_S5_.has_recursion, 0
	.set _ZL33flash_attn_stream_k_fixup_generalILi72ELi32ELi2EEvPfPK15HIP_vector_typeIfLj2EEiiiiS1_IjLj3EES5_S5_S5_.has_indirect_call, 0
	.section	.AMDGPU.csdata,"",@progbits
; Kernel info:
; codeLenInByte = 3352
; TotalNumSgprs: 48
; NumVgprs: 12
; ScratchSize: 0
; MemoryBound: 0
; FloatMode: 240
; IeeeMode: 1
; LDSByteSize: 0 bytes/workgroup (compile time only)
; SGPRBlocks: 0
; VGPRBlocks: 0
; NumSGPRsForWavesPerEU: 48
; NumVGPRsForWavesPerEU: 12
; NamedBarCnt: 0
; Occupancy: 16
; WaveLimiterHint : 0
; COMPUTE_PGM_RSRC2:SCRATCH_EN: 0
; COMPUTE_PGM_RSRC2:USER_SGPR: 2
; COMPUTE_PGM_RSRC2:TRAP_HANDLER: 0
; COMPUTE_PGM_RSRC2:TGID_X_EN: 1
; COMPUTE_PGM_RSRC2:TGID_Y_EN: 1
; COMPUTE_PGM_RSRC2:TGID_Z_EN: 1
; COMPUTE_PGM_RSRC2:TIDIG_COMP_CNT: 0
	.section	.text._ZL15flash_attn_tileILi72ELi72ELi16ELi2ELb0EEvPKcS1_S1_S1_S1_PKiPfP15HIP_vector_typeIfLj2EEffffjfiS5_IjLj3EEiiiiiiiiiiiliiliiiiil,"axG",@progbits,_ZL15flash_attn_tileILi72ELi72ELi16ELi2ELb0EEvPKcS1_S1_S1_S1_PKiPfP15HIP_vector_typeIfLj2EEffffjfiS5_IjLj3EEiiiiiiiiiiiliiliiiiil,comdat
	.globl	_ZL15flash_attn_tileILi72ELi72ELi16ELi2ELb0EEvPKcS1_S1_S1_S1_PKiPfP15HIP_vector_typeIfLj2EEffffjfiS5_IjLj3EEiiiiiiiiiiiliiliiiiil ; -- Begin function _ZL15flash_attn_tileILi72ELi72ELi16ELi2ELb0EEvPKcS1_S1_S1_S1_PKiPfP15HIP_vector_typeIfLj2EEffffjfiS5_IjLj3EEiiiiiiiiiiiliiliiiiil
	.p2align	8
	.type	_ZL15flash_attn_tileILi72ELi72ELi16ELi2ELb0EEvPKcS1_S1_S1_S1_PKiPfP15HIP_vector_typeIfLj2EEffffjfiS5_IjLj3EEiiiiiiiiiiiliiliiiiil,@function
_ZL15flash_attn_tileILi72ELi72ELi16ELi2ELb0EEvPKcS1_S1_S1_S1_PKiPfP15HIP_vector_typeIfLj2EEffffjfiS5_IjLj3EEiiiiiiiiiiiliiliiiiil: ; @_ZL15flash_attn_tileILi72ELi72ELi16ELi2ELb0EEvPKcS1_S1_S1_S1_PKiPfP15HIP_vector_typeIfLj2EEffffjfiS5_IjLj3EEiiiiiiiiiiiliiliiiiil
; %bb.0:
	s_clause 0x1
	s_load_b128 s[20:23], s[0:1], 0x5c
	s_load_b64 s[34:35], s[0:1], 0x80
	s_bfe_u32 s5, ttmp6, 0x40014
	s_lshr_b32 s4, ttmp7, 16
	s_add_co_i32 s5, s5, 1
	s_bfe_u32 s6, ttmp6, 0x40008
	s_mul_i32 s5, s4, s5
	s_getreg_b32 s41, hwreg(HW_REG_IB_STS2, 6, 4)
	s_add_co_i32 s6, s6, s5
	s_mov_b32 s39, 0
	s_mov_b64 s[36:37], 0
	s_wait_kmcnt 0x0
	s_lshr_b32 s2, s23, 31
	s_delay_alu instid0(SALU_CYCLE_1) | instskip(NEXT) | instid1(SALU_CYCLE_1)
	s_add_co_i32 s2, s23, s2
	s_ashr_i32 s2, s2, 1
	s_delay_alu instid0(SALU_CYCLE_1) | instskip(SKIP_1) | instid1(SALU_CYCLE_2)
	s_cvt_f32_u32 s3, s2
	s_sub_co_i32 s7, 0, s2
	v_rcp_iflag_f32_e32 v1, s3
	v_nop
	s_delay_alu instid0(TRANS32_DEP_1) | instskip(SKIP_1) | instid1(SALU_CYCLE_3)
	v_readfirstlane_b32 s3, v1
	s_mul_f32 s3, s3, 0x4f7ffffe
	s_cvt_u32_f32 s3, s3
	s_delay_alu instid0(SALU_CYCLE_3) | instskip(NEXT) | instid1(SALU_CYCLE_1)
	s_mul_i32 s7, s7, s3
	s_mul_hi_u32 s7, s3, s7
	s_delay_alu instid0(SALU_CYCLE_1) | instskip(SKIP_2) | instid1(SALU_CYCLE_1)
	s_add_co_i32 s3, s3, s7
	s_cmp_eq_u32 s41, 0
	s_cselect_b32 s4, s4, s6
	s_mul_hi_u32 s3, s4, s3
	s_delay_alu instid0(SALU_CYCLE_1) | instskip(SKIP_2) | instid1(SALU_CYCLE_1)
	s_mul_i32 s5, s3, s2
	s_add_co_i32 s6, s3, 1
	s_sub_co_i32 s5, s4, s5
	s_sub_co_i32 s7, s5, s2
	s_cmp_ge_u32 s5, s2
	s_cselect_b32 s3, s6, s3
	s_cselect_b32 s5, s7, s5
	s_add_co_i32 s6, s3, 1
	s_cmp_ge_u32 s5, s2
	s_cselect_b32 s30, s6, s3
	s_abs_i32 s2, s35
	s_abs_i32 s7, s23
	s_cvt_f32_u32 s3, s2
	s_sub_co_i32 s5, 0, s2
	s_lshl_b32 s4, s4, 1
	s_mul_i32 s6, s30, s23
	v_rcp_iflag_f32_e32 v1, s3
	s_sub_co_i32 s28, s4, s6
	s_xor_b32 s4, s23, s35
	s_delay_alu instid0(SALU_CYCLE_1) | instskip(SKIP_1) | instid1(TRANS32_DEP_1)
	s_ashr_i32 s24, s4, 31
	v_nop
	v_readfirstlane_b32 s3, v1
	s_mul_f32 s3, s3, 0x4f7ffffe
	s_delay_alu instid0(SALU_CYCLE_3) | instskip(NEXT) | instid1(SALU_CYCLE_3)
	s_cvt_u32_f32 s3, s3
	s_mul_i32 s5, s5, s3
	s_delay_alu instid0(SALU_CYCLE_1) | instskip(NEXT) | instid1(SALU_CYCLE_1)
	s_mul_hi_u32 s5, s3, s5
	s_add_co_i32 s3, s3, s5
	s_delay_alu instid0(SALU_CYCLE_1) | instskip(NEXT) | instid1(SALU_CYCLE_1)
	s_mul_hi_u32 s3, s7, s3
	s_mul_i32 s5, s3, s2
	s_delay_alu instid0(SALU_CYCLE_1)
	s_sub_co_i32 s4, s7, s5
	s_add_co_i32 s5, s3, 1
	s_sub_co_i32 s6, s4, s2
	s_cmp_ge_u32 s4, s2
	s_cselect_b32 s3, s5, s3
	s_cselect_b32 s4, s6, s4
	s_add_co_i32 s5, s3, 1
	s_cmp_ge_u32 s4, s2
	s_cselect_b32 s2, s5, s3
	s_load_b512 s[4:19], s[0:1], 0x0
	s_xor_b32 s25, s2, s24
	s_load_b64 s[2:3], s[0:1], 0xb8
	s_sub_co_i32 s31, s25, s24
	s_delay_alu instid0(SALU_CYCLE_1) | instskip(NEXT) | instid1(SALU_CYCLE_1)
	s_abs_i32 s29, s31
	s_cvt_f32_u32 s24, s29
	s_delay_alu instid0(SALU_CYCLE_3) | instskip(SKIP_1) | instid1(TRANS32_DEP_1)
	v_rcp_iflag_f32_e32 v1, s24
	v_nop
	v_readfirstlane_b32 s40, v1
	s_wait_kmcnt 0x0
	s_cmp_eq_u64 s[10:11], 0
	s_cbranch_scc1 .LBB37_2
; %bb.1:
	s_abs_i32 s2, s2
	s_abs_i32 s26, s30
	s_cvt_f32_u32 s24, s2
	s_sub_co_i32 s25, 0, s2
	s_delay_alu instid0(SALU_CYCLE_2) | instskip(SKIP_1) | instid1(TRANS32_DEP_1)
	v_rcp_iflag_f32_e32 v1, s24
	v_nop
	v_readfirstlane_b32 s24, v1
	s_mul_f32 s24, s24, 0x4f7ffffe
	s_delay_alu instid0(SALU_CYCLE_3) | instskip(NEXT) | instid1(SALU_CYCLE_3)
	s_cvt_u32_f32 s24, s24
	s_mul_i32 s25, s25, s24
	s_delay_alu instid0(SALU_CYCLE_1) | instskip(NEXT) | instid1(SALU_CYCLE_1)
	s_mul_hi_u32 s25, s24, s25
	s_add_co_i32 s24, s24, s25
	s_delay_alu instid0(SALU_CYCLE_1) | instskip(SKIP_2) | instid1(SALU_CYCLE_1)
	s_mul_hi_u32 s27, s26, s24
	s_load_b64 s[24:25], s[0:1], 0xc8
	s_mul_i32 s27, s27, s2
	s_sub_co_i32 s26, s26, s27
	s_ashr_i32 s27, s30, 31
	s_sub_co_i32 s33, s26, s2
	s_cmp_ge_u32 s26, s2
	s_cselect_b32 s26, s33, s26
	s_delay_alu instid0(SALU_CYCLE_1) | instskip(SKIP_2) | instid1(SALU_CYCLE_1)
	s_sub_co_i32 s33, s26, s2
	s_cmp_ge_u32 s26, s2
	s_cselect_b32 s2, s33, s26
	s_xor_b32 s2, s2, s27
	s_delay_alu instid0(SALU_CYCLE_1) | instskip(NEXT) | instid1(SALU_CYCLE_1)
	s_sub_co_i32 s26, s2, s27
	s_ashr_i32 s27, s26, 31
	s_wait_kmcnt 0x0
	s_mul_u64 s[24:25], s[24:25], s[26:27]
	s_delay_alu instid0(SALU_CYCLE_1)
	s_add_nc_u64 s[36:37], s[10:11], s[24:25]
.LBB37_2:
	s_clause 0x1
	s_load_b96 s[24:26], s[0:1], 0x70
	s_load_b32 s10, s[0:1], 0x40
	s_bfe_u32 s11, ttmp6, 0x4000c
	v_and_b32_e32 v37, 0x3ff, v0
	s_add_co_i32 s11, s11, 1
	s_and_b32 s2, ttmp6, 15
	s_mul_i32 s11, ttmp9, s11
	v_bfe_u32 v38, v0, 10, 10
	s_add_co_i32 s11, s2, s11
	s_cmp_eq_u32 s41, 0
	v_dual_mov_b32 v21, 0 :: v_dual_lshlrev_b32 v39, 3, v37
	v_lshlrev_b32_e32 v34, 2, v37
	s_cselect_b32 s11, ttmp9, s11
	v_cmp_gt_u32_e64 s2, 18, v37
	s_lshl_b32 s33, s11, 4
	v_add_nc_u32_e32 v3, 0x14e0, v39
	v_lshl_add_u32 v20, v38, 1, s33
	v_lshlrev_b32_e32 v0, 2, v34
	s_mov_b32 s38, s20
	s_wait_kmcnt 0x0
	s_mul_i32 s26, s30, s26
	s_mul_i32 s42, s28, s25
	s_ashr_i32 s27, s26, 31
	s_ashr_i32 s45, s25, 31
	s_mov_b32 s44, s25
	s_ashr_i32 s43, s42, 31
	s_add_nc_u64 s[4:5], s[4:5], s[26:27]
	s_ashr_i32 s25, s24, 31
	s_lshr_b64 s[26:27], s[44:45], 2
	s_add_nc_u64 s[4:5], s[4:5], s[42:43]
	s_lshr_b64 s[24:25], s[24:25], 2
	s_and_saveexec_b32 s20, s2
	s_cbranch_execz .LBB37_4
; %bb.3:
	v_mul_u64_e32 v[4:5], s[38:39], v[20:21]
	s_lshl_b64 s[42:43], s[26:27], 2
	s_delay_alu instid0(SALU_CYCLE_1) | instskip(NEXT) | instid1(VALU_DEP_1)
	s_add_nc_u64 s[42:43], s[4:5], s[42:43]
	v_dual_add_nc_u32 v1, v20, v5 :: v_dual_mov_b32 v5, v21
	s_delay_alu instid0(VALU_DEP_1) | instskip(NEXT) | instid1(VALU_DEP_1)
	v_lshrrev_b32_e32 v1, s21, v1
	v_mul_lo_u32 v1, v1, s22
	s_delay_alu instid0(VALU_DEP_1) | instskip(NEXT) | instid1(VALU_DEP_1)
	v_dual_mov_b32 v1, v21 :: v_dual_sub_nc_u32 v4, v20, v1
	v_mul_u64_e32 v[4:5], s[24:25], v[4:5]
	s_delay_alu instid0(VALU_DEP_1) | instskip(NEXT) | instid1(VALU_DEP_1)
	v_lshlrev_b64_e32 v[4:5], 2, v[4:5]
	v_add_nc_u64_e32 v[6:7], s[4:5], v[4:5]
	v_add_nc_u64_e32 v[4:5], s[42:43], v[4:5]
	s_delay_alu instid0(VALU_DEP_2) | instskip(NEXT) | instid1(VALU_DEP_2)
	v_add_nc_u64_e32 v[12:13], v[6:7], v[0:1]
	v_add_nc_u64_e32 v[14:15], v[4:5], v[0:1]
	s_clause 0x1
	global_load_b128 v[4:7], v[12:13], off
	global_load_b128 v[8:11], v[14:15], off
	s_wait_loadcnt 0x1
	v_fma_mixlo_f16 v1, s10, v4, 0
	v_fma_mixlo_f16 v2, s10, v5, 0
	v_fma_mixlo_f16 v4, s10, v6, 0
	v_fma_mixlo_f16 v5, s10, v7, 0
	s_wait_loadcnt 0x0
	v_fma_mixlo_f16 v6, s10, v8, 0
	v_fma_mixlo_f16 v7, s10, v9, 0
	;; [unrolled: 1-line block ×4, first 2 shown]
	v_lshlrev_b32_e32 v2, 16, v2
	v_and_b32_e32 v1, 0xffff, v1
	v_dual_lshlrev_b32 v5, 16, v5 :: v_dual_lshlrev_b32 v7, 16, v7
	v_and_b32_e32 v6, 0xffff, v6
	v_and_b32_e32 v4, 0xffff, v4
	v_lshlrev_b32_e32 v9, 16, v9
	v_and_b32_e32 v8, 0xffff, v8
	v_or_b32_e32 v1, v2, v1
	v_or_b32_e32 v2, v7, v6
	v_mad_u32_u24 v10, 0x240, v38, v3
	v_or3_b32 v5, v5, v4, 0
	v_or3_b32 v7, v9, v8, 0
	v_or3_b32 v4, 0, 0, v1
	v_or3_b32 v6, 0, 0, v2
	ds_store_2addr_b64 v10, v[4:5], v[6:7] offset1:18
.LBB37_4:
	s_or_b32 exec_lo, exec_lo, s20
	v_lshlrev_b32_e32 v2, 2, v38
	s_delay_alu instid0(VALU_DEP_1) | instskip(NEXT) | instid1(VALU_DEP_1)
	v_or_b32_e32 v4, 2, v2
	v_lshrrev_b32_e32 v36, 1, v4
	s_and_saveexec_b32 s20, s2
	s_cbranch_execz .LBB37_6
; %bb.5:
	s_delay_alu instid0(VALU_DEP_1) | instskip(NEXT) | instid1(VALU_DEP_1)
	v_dual_mov_b32 v7, 0 :: v_dual_add_nc_u32 v6, s33, v36
	v_mul_u64_e32 v[8:9], s[38:39], v[6:7]
	s_delay_alu instid0(VALU_DEP_1) | instskip(NEXT) | instid1(VALU_DEP_1)
	v_add_nc_u32_e32 v1, v6, v9
	v_lshrrev_b32_e32 v1, s21, v1
	s_delay_alu instid0(VALU_DEP_1) | instskip(NEXT) | instid1(VALU_DEP_1)
	v_mul_lo_u32 v1, v1, s22
	v_dual_mov_b32 v1, v7 :: v_dual_sub_nc_u32 v6, v6, v1
	s_delay_alu instid0(VALU_DEP_1) | instskip(NEXT) | instid1(VALU_DEP_1)
	v_mul_u64_e32 v[8:9], s[24:25], v[6:7]
	v_lshl_add_u64 v[6:7], v[8:9], 2, s[4:5]
	s_delay_alu instid0(VALU_DEP_1) | instskip(SKIP_4) | instid1(VALU_DEP_2)
	v_add_nc_u64_e32 v[6:7], v[6:7], v[0:1]
	global_load_b128 v[6:9], v[6:7], off
	s_wait_loadcnt 0x0
	v_fma_mixlo_f16 v1, s10, v6, 0
	v_mov_b32_e32 v6, v9
	v_and_b32_e32 v1, 0xffff, v1
	s_delay_alu instid0(VALU_DEP_2) | instskip(NEXT) | instid1(VALU_DEP_1)
	v_pk_mul_f32 v[6:7], s[10:11], v[6:7] op_sel_hi:[0,1]
	v_cvt_pk_f16_f32 v5, v6, v7
	v_fma_mixlo_f16 v6, s10, v8, 0
	s_delay_alu instid0(VALU_DEP_2) | instskip(NEXT) | instid1(VALU_DEP_2)
	v_and_b32_e32 v7, 0xffff0000, v5
	v_and_b32_e32 v6, 0xffff, v6
	v_lshlrev_b32_e32 v5, 16, v5
	s_delay_alu instid0(VALU_DEP_3) | instskip(SKIP_1) | instid1(VALU_DEP_3)
	v_or_b32_e32 v1, v7, v1
	v_mad_u32_u24 v7, 0x90, v4, v3
	v_or3_b32 v5, v5, v6, 0
	s_delay_alu instid0(VALU_DEP_3)
	v_or3_b32 v4, 0, 0, v1
	ds_store_b64 v7, v[4:5]
.LBB37_6:
	s_or_b32 exec_lo, exec_lo, s20
	v_or_b32_e32 v35, 3, v2
	s_and_saveexec_b32 s20, s2
	s_cbranch_execz .LBB37_8
; %bb.7:
	s_delay_alu instid0(VALU_DEP_1) | instskip(SKIP_1) | instid1(VALU_DEP_2)
	v_dual_lshrrev_b32 v1, 1, v35 :: v_dual_mov_b32 v5, 0
	v_mad_u32_u24 v3, 0x90, v35, v3
	v_add_nc_u32_e32 v4, s33, v1
	s_delay_alu instid0(VALU_DEP_1) | instskip(NEXT) | instid1(VALU_DEP_1)
	v_mul_u64_e32 v[6:7], s[38:39], v[4:5]
	v_add_nc_u32_e32 v1, v4, v7
	s_delay_alu instid0(VALU_DEP_1) | instskip(NEXT) | instid1(VALU_DEP_1)
	v_lshrrev_b32_e32 v1, s21, v1
	v_mul_lo_u32 v1, v1, s22
	s_delay_alu instid0(VALU_DEP_1) | instskip(NEXT) | instid1(VALU_DEP_1)
	v_dual_mov_b32 v1, v5 :: v_dual_sub_nc_u32 v4, v4, v1
	v_mul_u64_e32 v[6:7], s[24:25], v[4:5]
	s_lshl_b64 s[24:25], s[26:27], 2
	s_delay_alu instid0(SALU_CYCLE_1)
	s_add_nc_u64 s[4:5], s[4:5], s[24:25]
	s_delay_alu instid0(VALU_DEP_1) | instid1(SALU_CYCLE_1)
	v_lshl_add_u64 v[4:5], v[6:7], 2, s[4:5]
	s_delay_alu instid0(VALU_DEP_1) | instskip(SKIP_4) | instid1(VALU_DEP_1)
	v_add_nc_u64_e32 v[0:1], v[4:5], v[0:1]
	global_load_b128 v[4:7], v[0:1], off
	s_wait_loadcnt 0x0
	v_fma_mixlo_f16 v8, s10, v4, 0
	v_mov_b32_e32 v4, v7
	v_pk_mul_f32 v[0:1], s[10:11], v[4:5] op_sel_hi:[0,1]
	s_delay_alu instid0(VALU_DEP_3) | instskip(NEXT) | instid1(VALU_DEP_2)
	v_and_b32_e32 v4, 0xffff, v8
	v_cvt_pk_f16_f32 v0, v0, v1
	v_fma_mixlo_f16 v1, s10, v6, 0
	s_delay_alu instid0(VALU_DEP_2) | instskip(NEXT) | instid1(VALU_DEP_2)
	v_and_b32_e32 v5, 0xffff0000, v0
	v_and_b32_e32 v1, 0xffff, v1
	v_lshlrev_b32_e32 v0, 16, v0
	s_delay_alu instid0(VALU_DEP_3) | instskip(NEXT) | instid1(VALU_DEP_2)
	v_or_b32_e32 v4, v5, v4
	v_or3_b32 v1, v0, v1, 0
	s_delay_alu instid0(VALU_DEP_2)
	v_or3_b32 v0, 0, 0, v4
	ds_store_b64 v3, v[0:1]
.LBB37_8:
	s_or_b32 exec_lo, exec_lo, s20
	s_cmp_eq_u64 s[14:15], 0
	s_wait_dscnt 0x0
	s_barrier_signal -1
	s_barrier_wait -1
	s_cbranch_scc1 .LBB37_10
; %bb.9:
	s_load_b32 s4, s[0:1], 0xd0
	s_wait_kmcnt 0x0
	s_mul_i32 s4, s4, s30
	s_delay_alu instid0(SALU_CYCLE_1)
	s_add_co_i32 s4, s4, s11
	s_load_b32 s34, s[14:15], s4 offset:0x0 scale_offset
.LBB37_10:
	s_wait_xcnt 0x0
	s_bfe_u32 s4, ttmp6, 0x40010
	s_and_b32 s5, ttmp7, 0xffff
	s_add_co_i32 s4, s4, 1
	s_bfe_u32 s10, ttmp6, 0x40004
	s_mul_i32 s4, s5, s4
	v_mbcnt_lo_u32_b32 v40, -1, 0
	s_add_co_i32 s10, s10, s4
	s_cmp_eq_u32 s41, 0
	s_cselect_b32 s35, s5, s10
	s_mov_b32 s5, 0
	s_lshl_b32 s4, s35, 5
	s_wait_kmcnt 0x0
	s_cmp_lt_i32 s4, s34
	s_cbranch_scc1 .LBB37_13
; %bb.11:
	v_mbcnt_lo_u32_b32 v4, -1, 0
	s_delay_alu instid0(VALU_DEP_1)
	v_dual_mov_b32 v41, 32 :: v_dual_bitop2_b32 v46, 16, v4 bitop3:0x14
	v_xor_b32_e32 v45, 8, v4
	v_xor_b32_e32 v44, 4, v4
	;; [unrolled: 1-line block ×4, first 2 shown]
	s_and_not1_b32 vcc_lo, exec_lo, s5
	s_cbranch_vccz .LBB37_14
; %bb.12:
	v_dual_mov_b32 v59, 0 :: v_dual_mov_b32 v23, 0
	v_dual_mov_b32 v3, 0xfeffffff :: v_dual_mov_b32 v2, 0xfeffffff
	;; [unrolled: 1-line block ×3, first 2 shown]
	s_delay_alu instid0(VALU_DEP_3)
	v_dual_mov_b32 v22, v23 :: v_dual_mov_b32 v25, v23
	v_dual_mov_b32 v24, v23 :: v_dual_mov_b32 v13, 0
	;; [unrolled: 1-line block ×5, first 2 shown]
	s_branch .LBB37_22
.LBB37_13:
                                        ; implicit-def: $vgpr4
                                        ; implicit-def: $vgpr41
                                        ; implicit-def: $vgpr46
                                        ; implicit-def: $vgpr45
                                        ; implicit-def: $vgpr44
                                        ; implicit-def: $vgpr43
                                        ; implicit-def: $vgpr42
.LBB37_14:
	v_mov_b32_e32 v21, 0
	s_clause 0x1
	s_load_b64 s[14:15], s[0:1], 0x8c
	s_load_b128 s[24:27], s[0:1], 0x98
	s_mul_f32 s5, s40, 0x4f7ffffe
	s_sub_co_i32 s20, 0, s29
	s_ashr_i32 s40, s28, 31
	v_mul_u64_e32 v[0:1], s[38:39], v[20:21]
	s_cvt_u32_f32 s5, s5
	s_ashr_i32 s44, s31, 31
	s_abs_i32 s10, s28
	s_mov_b32 s11, s39
	s_mul_i32 s20, s20, s5
	s_mov_b32 s41, s39
	s_mul_hi_u32 s20, s5, s20
	s_xor_b32 s44, s40, s44
	s_add_co_i32 s40, s5, s20
	s_movk_i32 s45, 0x80
	s_movk_i32 s47, 0x90
	s_load_b64 s[42:43], s[0:1], 0xa8
	s_ashr_i32 s3, s3, 1
	s_ashr_i32 s31, s30, 31
	s_wait_kmcnt 0x0
	s_ashr_i32 s14, s14, 2
	v_lshl_add_u32 v48, v38, 8, 0x26e0
	s_mul_u64 s[24:25], s[24:25], s[30:31]
	s_movk_i32 s46, 0x240
	s_add_nc_u64 s[6:7], s[6:7], s[24:25]
	v_mul_u32_u24_e32 v47, 0xa0, v37
	v_dual_add_nc_u32 v52, v48, v39 :: v_dual_bitop2_b32 v45, 8, v40 bitop3:0x14
	v_mad_u32_u24 v49, v38, s46, 0x14e0
	v_dual_lshrrev_b32 v6, 3, v37 :: v_dual_bitop2_b32 v46, 16, v40 bitop3:0x14
	v_mov_b32_e32 v41, 32
	s_delay_alu instid0(VALU_DEP_2) | instskip(SKIP_2) | instid1(VALU_DEP_3)
	v_dual_mov_b32 v15, 0xfeffffff :: v_dual_add_nc_u32 v2, v6, v2
	v_dual_mov_b32 v57, v21 :: v_dual_add_nc_u32 v0, v20, v1
	v_lshl_add_u32 v1, v38, 5, v37
	v_mul_lo_u32 v26, s14, v2
	v_dual_mov_b32 v10, v21 :: v_dual_bitop2_b32 v44, 4, v40 bitop3:0x14
	s_delay_alu instid0(VALU_DEP_4) | instskip(NEXT) | instid1(VALU_DEP_4)
	v_lshrrev_b32_e32 v3, s21, v0
	v_cmp_gt_u32_e32 vcc_lo, 32, v1
	v_mad_u32_u24 v50, 0xa0, v1, s45
	v_mad_u32_u24 v51, v1, s47, 0x80
	v_mul_lo_u32 v28, s14, v1
	v_mul_lo_u32 v3, v3, s22
	v_mov_b32_e32 v8, 0xfeffffff
	v_and_b32_e32 v0, 28, v34
	v_dual_ashrrev_i32 v27, 31, v26 :: v_dual_bitop2_b32 v43, 2, v40 bitop3:0x14
	v_dual_mov_b32 v9, v21 :: v_dual_bitop2_b32 v42, 1, v40 bitop3:0x14
	v_dual_mov_b32 v11, v21 :: v_dual_mov_b32 v12, v21
	v_dual_mov_b32 v58, v21 :: v_dual_mov_b32 v13, v21
	v_dual_sub_nc_u32 v3, v20, v3 :: v_dual_add_nc_u32 v20, 1, v20
	v_dual_mov_b32 v14, 0xfeffffff :: v_dual_mov_b32 v25, v21
	v_dual_mov_b32 v16, 0xfeffffff :: v_dual_mov_b32 v23, v21
	s_delay_alu instid0(VALU_DEP_3)
	v_mul_u64_e32 v[4:5], s[38:39], v[20:21]
	s_mul_u64 s[38:39], s[10:11], s[40:41]
	v_mov_b32_e32 v59, v21
	s_mul_i32 s5, s39, s29
	s_add_co_i32 s11, s39, 1
	s_sub_co_i32 s5, s10, s5
	s_ashr_i32 s10, s26, 2
	s_sub_co_i32 s20, s5, s29
	v_mul_lo_u32 v30, s10, v1
	v_mul_lo_u32 v32, s10, v2
	s_cmp_ge_u32 s5, s29
	v_mul_lo_u32 v55, v3, s3
	s_cselect_b32 s11, s11, s39
	s_cselect_b32 s5, s20, s5
	s_add_co_i32 s26, s11, 1
	s_cmp_ge_u32 s5, s29
	v_lshlrev_b32_e32 v4, 2, v0
	s_cselect_b32 s5, s26, s11
	s_delay_alu instid0(VALU_DEP_4) | instskip(SKIP_1) | instid1(VALU_DEP_2)
	v_dual_ashrrev_i32 v29, 31, v28 :: v_dual_ashrrev_i32 v31, 31, v30
	s_xor_b32 s5, s5, s44
	v_mad_u32_u24 v53, 0xa0, v2, v4
	s_sub_co_i32 s5, s5, s44
	v_mad_u32_u24 v54, 0x90, v2, v4
	s_mul_i32 s24, s5, s27
	v_dual_mov_b32 v24, v21 :: v_dual_mov_b32 v22, v21
	s_ashr_i32 s25, s24, 31
	s_ashr_i32 s11, s10, 31
	v_add_nc_u32_e32 v1, v20, v5
	s_delay_alu instid0(VALU_DEP_1) | instskip(SKIP_1) | instid1(SALU_CYCLE_1)
	v_lshrrev_b32_e32 v1, s21, v1
	s_mul_u64 s[20:21], s[42:43], s[30:31]
	s_add_nc_u64 s[8:9], s[8:9], s[20:21]
	s_mul_i32 s20, s5, s15
	s_delay_alu instid0(VALU_DEP_1)
	v_mul_lo_u32 v1, v1, s22
	v_ashrrev_i32_e32 v33, 31, v32
	s_ashr_i32 s21, s20, 31
	s_add_nc_u64 s[8:9], s[8:9], s[24:25]
	s_add_nc_u64 s[6:7], s[6:7], s[20:21]
	s_ashr_i32 s15, s14, 31
	s_add_nc_u64 s[20:21], s[0:1], 0xd0
	s_delay_alu instid0(VALU_DEP_2) | instskip(NEXT) | instid1(VALU_DEP_1)
	v_dual_sub_nc_u32 v1, v20, v1 :: v_dual_lshlrev_b32 v20, 2, v0
	v_mul_lo_u32 v56, v1, s3
.LBB37_15:                              ; =>This Inner Loop Header: Depth=1
	s_ashr_i32 s5, s4, 31
	s_delay_alu instid0(SALU_CYCLE_1) | instskip(NEXT) | instid1(SALU_CYCLE_1)
	s_mul_u64 s[24:25], s[4:5], s[14:15]
	s_lshl_b64 s[24:25], s[24:25], 2
	s_delay_alu instid0(SALU_CYCLE_1)
	s_add_nc_u64 s[24:25], s[6:7], s[24:25]
	s_and_saveexec_b32 s3, vcc_lo
	s_cbranch_execz .LBB37_17
; %bb.16:                               ;   in Loop: Header=BB37_15 Depth=1
	v_lshl_add_u64 v[0:1], v[28:29], 2, s[24:25]
	global_load_b128 v[0:3], v[0:1], off offset:128
	s_wait_loadcnt 0x0
	ds_store_b128 v50, v[0:3]
.LBB37_17:                              ;   in Loop: Header=BB37_15 Depth=1
	s_or_b32 exec_lo, exec_lo, s3
	v_lshl_add_u64 v[0:1], v[26:27], 2, s[24:25]
	v_cmp_gt_i32_e64 s3, 32, v46
	v_add_nc_u32_e32 v17, s4, v37
	s_mul_u64 s[24:25], s[4:5], s[10:11]
	s_delay_alu instid0(SALU_CYCLE_1)
	s_lshl_b64 s[24:25], s[24:25], 2
	v_add_nc_u64_e32 v[0:1], v[0:1], v[20:21]
	s_add_nc_u64 s[24:25], s[8:9], s[24:25]
	global_load_b128 v[0:3], v[0:1], off
	s_wait_loadcnt 0x0
	ds_store_b128 v53, v[0:3]
	s_wait_dscnt 0x0
	s_barrier_signal -1
	s_barrier_wait -1
	ds_load_b128 v[4:7], v47
	ds_load_b128 v[60:63], v49
	ds_load_b128 v[64:67], v49 offset:144
	ds_load_b128 v[68:71], v49 offset:288
	;; [unrolled: 1-line block ×3, first 2 shown]
	v_dual_mov_b32 v1, 0 :: v_dual_mov_b32 v0, 0
	v_dual_mov_b32 v2, 0 :: v_dual_mov_b32 v3, 0
	s_wait_dscnt 0x3
	;;#ASMSTART
	v_dot2_f32_f16 v1, v4, v60, v1
	;;#ASMEND
	;;#ASMSTART
	v_dot2_f32_f16 v1, v5, v61, v1
	;;#ASMEND
	;;#ASMSTART
	v_dot2_f32_f16 v1, v6, v62, v1
	;;#ASMEND
	;;#ASMSTART
	v_dot2_f32_f16 v1, v7, v63, v1
	;;#ASMEND
	s_wait_dscnt 0x2
	;;#ASMSTART
	v_dot2_f32_f16 v0, v4, v64, v0
	;;#ASMEND
	;;#ASMSTART
	v_dot2_f32_f16 v0, v5, v65, v0
	;;#ASMEND
	;;#ASMSTART
	v_dot2_f32_f16 v0, v6, v66, v0
	;;#ASMEND
	;;#ASMSTART
	v_dot2_f32_f16 v0, v7, v67, v0
	;;#ASMEND
	s_wait_dscnt 0x1
	;;#ASMSTART
	v_dot2_f32_f16 v2, v4, v68, v2
	;;#ASMEND
	;;#ASMSTART
	v_dot2_f32_f16 v2, v5, v69, v2
	;;#ASMEND
	;;#ASMSTART
	v_dot2_f32_f16 v2, v6, v70, v2
	;;#ASMEND
	;;#ASMSTART
	v_dot2_f32_f16 v2, v7, v71, v2
	;;#ASMEND
	s_wait_dscnt 0x0
	;;#ASMSTART
	v_dot2_f32_f16 v3, v4, v72, v3
	;;#ASMEND
	;;#ASMSTART
	v_dot2_f32_f16 v3, v5, v73, v3
	;;#ASMEND
	;;#ASMSTART
	v_dot2_f32_f16 v3, v6, v74, v3
	;;#ASMEND
	;;#ASMSTART
	v_dot2_f32_f16 v3, v7, v75, v3
	;;#ASMEND
	ds_load_b128 v[4:7], v47 offset:16
	ds_load_b128 v[60:63], v49 offset:16
	ds_load_b128 v[64:67], v49 offset:160
	ds_load_b128 v[68:71], v49 offset:304
	ds_load_b128 v[72:75], v49 offset:448
	s_wait_dscnt 0x3
	;;#ASMSTART
	v_dot2_f32_f16 v1, v4, v60, v1
	;;#ASMEND
	;;#ASMSTART
	v_dot2_f32_f16 v1, v5, v61, v1
	;;#ASMEND
	;;#ASMSTART
	v_dot2_f32_f16 v1, v6, v62, v1
	;;#ASMEND
	;;#ASMSTART
	v_dot2_f32_f16 v1, v7, v63, v1
	;;#ASMEND
	s_wait_dscnt 0x2
	;;#ASMSTART
	v_dot2_f32_f16 v0, v4, v64, v0
	;;#ASMEND
	;;#ASMSTART
	v_dot2_f32_f16 v0, v5, v65, v0
	;;#ASMEND
	;;#ASMSTART
	v_dot2_f32_f16 v0, v6, v66, v0
	;;#ASMEND
	;;#ASMSTART
	v_dot2_f32_f16 v0, v7, v67, v0
	;;#ASMEND
	s_wait_dscnt 0x1
	;;#ASMSTART
	v_dot2_f32_f16 v2, v4, v68, v2
	;;#ASMEND
	;;#ASMSTART
	v_dot2_f32_f16 v2, v5, v69, v2
	;;#ASMEND
	;;#ASMSTART
	v_dot2_f32_f16 v2, v6, v70, v2
	;;#ASMEND
	;;#ASMSTART
	v_dot2_f32_f16 v2, v7, v71, v2
	;;#ASMEND
	s_wait_dscnt 0x0
	;;#ASMSTART
	v_dot2_f32_f16 v3, v4, v72, v3
	;;#ASMEND
	;;#ASMSTART
	v_dot2_f32_f16 v3, v5, v73, v3
	;;#ASMEND
	;;#ASMSTART
	v_dot2_f32_f16 v3, v6, v74, v3
	;;#ASMEND
	;;#ASMSTART
	v_dot2_f32_f16 v3, v7, v75, v3
	;;#ASMEND
	ds_load_b128 v[4:7], v47 offset:32
	ds_load_b128 v[60:63], v49 offset:32
	ds_load_b128 v[64:67], v49 offset:176
	ds_load_b128 v[68:71], v49 offset:320
	ds_load_b128 v[72:75], v49 offset:464
	s_wait_dscnt 0x3
	;;#ASMSTART
	v_dot2_f32_f16 v1, v4, v60, v1
	;;#ASMEND
	;;#ASMSTART
	v_dot2_f32_f16 v1, v5, v61, v1
	;;#ASMEND
	;;#ASMSTART
	v_dot2_f32_f16 v1, v6, v62, v1
	;;#ASMEND
	;;#ASMSTART
	v_dot2_f32_f16 v1, v7, v63, v1
	;;#ASMEND
	s_wait_dscnt 0x2
	;;#ASMSTART
	v_dot2_f32_f16 v0, v4, v64, v0
	;;#ASMEND
	;;#ASMSTART
	v_dot2_f32_f16 v0, v5, v65, v0
	;;#ASMEND
	;;#ASMSTART
	v_dot2_f32_f16 v0, v6, v66, v0
	;;#ASMEND
	;;#ASMSTART
	v_dot2_f32_f16 v0, v7, v67, v0
	;;#ASMEND
	s_wait_dscnt 0x1
	;;#ASMSTART
	v_dot2_f32_f16 v2, v4, v68, v2
	;;#ASMEND
	;;#ASMSTART
	v_dot2_f32_f16 v2, v5, v69, v2
	;;#ASMEND
	;;#ASMSTART
	v_dot2_f32_f16 v2, v6, v70, v2
	;;#ASMEND
	;;#ASMSTART
	v_dot2_f32_f16 v2, v7, v71, v2
	;;#ASMEND
	s_wait_dscnt 0x0
	;;#ASMSTART
	v_dot2_f32_f16 v3, v4, v72, v3
	;;#ASMEND
	;;#ASMSTART
	v_dot2_f32_f16 v3, v5, v73, v3
	;;#ASMEND
	;;#ASMSTART
	v_dot2_f32_f16 v3, v6, v74, v3
	;;#ASMEND
	;;#ASMSTART
	v_dot2_f32_f16 v3, v7, v75, v3
	;;#ASMEND
	ds_load_b128 v[4:7], v47 offset:48
	ds_load_b128 v[60:63], v49 offset:48
	ds_load_b128 v[64:67], v49 offset:192
	ds_load_b128 v[68:71], v49 offset:336
	ds_load_b128 v[72:75], v49 offset:480
	s_wait_dscnt 0x3
	;;#ASMSTART
	v_dot2_f32_f16 v1, v4, v60, v1
	;;#ASMEND
	;;#ASMSTART
	v_dot2_f32_f16 v1, v5, v61, v1
	;;#ASMEND
	;;#ASMSTART
	v_dot2_f32_f16 v1, v6, v62, v1
	;;#ASMEND
	;;#ASMSTART
	v_dot2_f32_f16 v1, v7, v63, v1
	;;#ASMEND
	s_wait_dscnt 0x2
	;;#ASMSTART
	v_dot2_f32_f16 v0, v4, v64, v0
	;;#ASMEND
	;;#ASMSTART
	v_dot2_f32_f16 v0, v5, v65, v0
	;;#ASMEND
	;;#ASMSTART
	v_dot2_f32_f16 v0, v6, v66, v0
	;;#ASMEND
	;;#ASMSTART
	v_dot2_f32_f16 v0, v7, v67, v0
	;;#ASMEND
	s_wait_dscnt 0x1
	;;#ASMSTART
	v_dot2_f32_f16 v2, v4, v68, v2
	;;#ASMEND
	;;#ASMSTART
	v_dot2_f32_f16 v2, v5, v69, v2
	;;#ASMEND
	;;#ASMSTART
	v_dot2_f32_f16 v2, v6, v70, v2
	;;#ASMEND
	;;#ASMSTART
	v_dot2_f32_f16 v2, v7, v71, v2
	;;#ASMEND
	s_wait_dscnt 0x0
	;;#ASMSTART
	v_dot2_f32_f16 v3, v4, v72, v3
	;;#ASMEND
	;;#ASMSTART
	v_dot2_f32_f16 v3, v5, v73, v3
	;;#ASMEND
	;;#ASMSTART
	v_dot2_f32_f16 v3, v6, v74, v3
	;;#ASMEND
	;;#ASMSTART
	v_dot2_f32_f16 v3, v7, v75, v3
	;;#ASMEND
	ds_load_b128 v[4:7], v47 offset:64
	ds_load_b128 v[60:63], v49 offset:64
	ds_load_b128 v[64:67], v49 offset:208
	ds_load_b128 v[68:71], v49 offset:352
	ds_load_b128 v[72:75], v49 offset:496
	s_wait_dscnt 0x3
	;;#ASMSTART
	v_dot2_f32_f16 v1, v4, v60, v1
	;;#ASMEND
	;;#ASMSTART
	v_dot2_f32_f16 v1, v5, v61, v1
	;;#ASMEND
	;;#ASMSTART
	v_dot2_f32_f16 v1, v6, v62, v1
	;;#ASMEND
	;;#ASMSTART
	v_dot2_f32_f16 v1, v7, v63, v1
	;;#ASMEND
	s_wait_dscnt 0x2
	;;#ASMSTART
	v_dot2_f32_f16 v0, v4, v64, v0
	;;#ASMEND
	;;#ASMSTART
	v_dot2_f32_f16 v0, v5, v65, v0
	;;#ASMEND
	;;#ASMSTART
	v_dot2_f32_f16 v0, v6, v66, v0
	;;#ASMEND
	;;#ASMSTART
	v_dot2_f32_f16 v0, v7, v67, v0
	;;#ASMEND
	s_wait_dscnt 0x1
	;;#ASMSTART
	v_dot2_f32_f16 v2, v4, v68, v2
	;;#ASMEND
	;;#ASMSTART
	v_dot2_f32_f16 v2, v5, v69, v2
	;;#ASMEND
	;;#ASMSTART
	v_dot2_f32_f16 v2, v6, v70, v2
	;;#ASMEND
	;;#ASMSTART
	v_dot2_f32_f16 v2, v7, v71, v2
	;;#ASMEND
	s_wait_dscnt 0x0
	;;#ASMSTART
	v_dot2_f32_f16 v3, v4, v72, v3
	;;#ASMEND
	;;#ASMSTART
	v_dot2_f32_f16 v3, v5, v73, v3
	;;#ASMEND
	;;#ASMSTART
	v_dot2_f32_f16 v3, v6, v74, v3
	;;#ASMEND
	;;#ASMSTART
	v_dot2_f32_f16 v3, v7, v75, v3
	;;#ASMEND
	ds_load_b128 v[4:7], v47 offset:80
	ds_load_b128 v[60:63], v49 offset:80
	ds_load_b128 v[64:67], v49 offset:224
	ds_load_b128 v[68:71], v49 offset:368
	ds_load_b128 v[72:75], v49 offset:512
	s_wait_dscnt 0x3
	;;#ASMSTART
	v_dot2_f32_f16 v1, v4, v60, v1
	;;#ASMEND
	;;#ASMSTART
	v_dot2_f32_f16 v1, v5, v61, v1
	;;#ASMEND
	;;#ASMSTART
	v_dot2_f32_f16 v1, v6, v62, v1
	;;#ASMEND
	;;#ASMSTART
	v_dot2_f32_f16 v1, v7, v63, v1
	;;#ASMEND
	s_wait_dscnt 0x2
	;;#ASMSTART
	v_dot2_f32_f16 v0, v4, v64, v0
	;;#ASMEND
	;;#ASMSTART
	v_dot2_f32_f16 v0, v5, v65, v0
	;;#ASMEND
	;;#ASMSTART
	v_dot2_f32_f16 v0, v6, v66, v0
	;;#ASMEND
	;;#ASMSTART
	v_dot2_f32_f16 v0, v7, v67, v0
	;;#ASMEND
	s_wait_dscnt 0x1
	;;#ASMSTART
	v_dot2_f32_f16 v2, v4, v68, v2
	;;#ASMEND
	;;#ASMSTART
	v_dot2_f32_f16 v2, v5, v69, v2
	;;#ASMEND
	;;#ASMSTART
	v_dot2_f32_f16 v2, v6, v70, v2
	;;#ASMEND
	;;#ASMSTART
	v_dot2_f32_f16 v2, v7, v71, v2
	;;#ASMEND
	s_wait_dscnt 0x0
	;;#ASMSTART
	v_dot2_f32_f16 v3, v4, v72, v3
	;;#ASMEND
	;;#ASMSTART
	v_dot2_f32_f16 v3, v5, v73, v3
	;;#ASMEND
	;;#ASMSTART
	v_dot2_f32_f16 v3, v6, v74, v3
	;;#ASMEND
	;;#ASMSTART
	v_dot2_f32_f16 v3, v7, v75, v3
	;;#ASMEND
	ds_load_b128 v[4:7], v47 offset:96
	ds_load_b128 v[60:63], v49 offset:96
	ds_load_b128 v[64:67], v49 offset:240
	ds_load_b128 v[68:71], v49 offset:384
	ds_load_b128 v[72:75], v49 offset:528
	s_wait_dscnt 0x3
	;;#ASMSTART
	v_dot2_f32_f16 v1, v4, v60, v1
	;;#ASMEND
	;;#ASMSTART
	v_dot2_f32_f16 v1, v5, v61, v1
	;;#ASMEND
	;;#ASMSTART
	v_dot2_f32_f16 v1, v6, v62, v1
	;;#ASMEND
	;;#ASMSTART
	v_dot2_f32_f16 v1, v7, v63, v1
	;;#ASMEND
	s_wait_dscnt 0x2
	;;#ASMSTART
	v_dot2_f32_f16 v0, v4, v64, v0
	;;#ASMEND
	;;#ASMSTART
	v_dot2_f32_f16 v0, v5, v65, v0
	;;#ASMEND
	;;#ASMSTART
	v_dot2_f32_f16 v0, v6, v66, v0
	;;#ASMEND
	;;#ASMSTART
	v_dot2_f32_f16 v0, v7, v67, v0
	;;#ASMEND
	s_wait_dscnt 0x1
	;;#ASMSTART
	v_dot2_f32_f16 v2, v4, v68, v2
	;;#ASMEND
	;;#ASMSTART
	v_dot2_f32_f16 v2, v5, v69, v2
	;;#ASMEND
	;;#ASMSTART
	v_dot2_f32_f16 v2, v6, v70, v2
	;;#ASMEND
	;;#ASMSTART
	v_dot2_f32_f16 v2, v7, v71, v2
	;;#ASMEND
	s_wait_dscnt 0x0
	;;#ASMSTART
	v_dot2_f32_f16 v3, v4, v72, v3
	;;#ASMEND
	;;#ASMSTART
	v_dot2_f32_f16 v3, v5, v73, v3
	;;#ASMEND
	;;#ASMSTART
	v_dot2_f32_f16 v3, v6, v74, v3
	;;#ASMEND
	;;#ASMSTART
	v_dot2_f32_f16 v3, v7, v75, v3
	;;#ASMEND
	ds_load_b128 v[4:7], v47 offset:112
	ds_load_b128 v[60:63], v49 offset:112
	ds_load_b128 v[64:67], v49 offset:256
	ds_load_b128 v[68:71], v49 offset:400
	ds_load_b128 v[72:75], v49 offset:544
	s_wait_dscnt 0x3
	;;#ASMSTART
	v_dot2_f32_f16 v1, v4, v60, v1
	;;#ASMEND
	;;#ASMSTART
	v_dot2_f32_f16 v1, v5, v61, v1
	;;#ASMEND
	;;#ASMSTART
	v_dot2_f32_f16 v1, v6, v62, v1
	;;#ASMEND
	;;#ASMSTART
	v_dot2_f32_f16 v1, v7, v63, v1
	;;#ASMEND
	s_wait_dscnt 0x2
	;;#ASMSTART
	v_dot2_f32_f16 v0, v4, v64, v0
	;;#ASMEND
	;;#ASMSTART
	v_dot2_f32_f16 v0, v5, v65, v0
	;;#ASMEND
	;;#ASMSTART
	v_dot2_f32_f16 v0, v6, v66, v0
	;;#ASMEND
	;;#ASMSTART
	v_dot2_f32_f16 v0, v7, v67, v0
	;;#ASMEND
	s_wait_dscnt 0x1
	;;#ASMSTART
	v_dot2_f32_f16 v2, v4, v68, v2
	;;#ASMEND
	;;#ASMSTART
	v_dot2_f32_f16 v2, v5, v69, v2
	;;#ASMEND
	;;#ASMSTART
	v_dot2_f32_f16 v2, v6, v70, v2
	;;#ASMEND
	;;#ASMSTART
	v_dot2_f32_f16 v2, v7, v71, v2
	;;#ASMEND
	s_wait_dscnt 0x0
	;;#ASMSTART
	v_dot2_f32_f16 v3, v4, v72, v3
	;;#ASMEND
	;;#ASMSTART
	v_dot2_f32_f16 v3, v5, v73, v3
	;;#ASMEND
	;;#ASMSTART
	v_dot2_f32_f16 v3, v6, v74, v3
	;;#ASMEND
	;;#ASMSTART
	v_dot2_f32_f16 v3, v7, v75, v3
	;;#ASMEND
	ds_load_b128 v[4:7], v47 offset:128
	ds_load_b128 v[60:63], v49 offset:128
	ds_load_b128 v[64:67], v49 offset:272
	ds_load_b128 v[68:71], v49 offset:416
	ds_load_b128 v[72:75], v49 offset:560
	s_wait_dscnt 0x3
	;;#ASMSTART
	v_dot2_f32_f16 v1, v4, v60, v1
	;;#ASMEND
	;;#ASMSTART
	v_dot2_f32_f16 v1, v5, v61, v1
	;;#ASMEND
	;;#ASMSTART
	v_dot2_f32_f16 v1, v6, v62, v1
	;;#ASMEND
	;;#ASMSTART
	v_dot2_f32_f16 v1, v7, v63, v1
	;;#ASMEND
	s_wait_dscnt 0x2
	;;#ASMSTART
	v_dot2_f32_f16 v0, v4, v64, v0
	;;#ASMEND
	;;#ASMSTART
	v_dot2_f32_f16 v0, v5, v65, v0
	;;#ASMEND
	;;#ASMSTART
	v_dot2_f32_f16 v0, v6, v66, v0
	;;#ASMEND
	;;#ASMSTART
	v_dot2_f32_f16 v0, v7, v67, v0
	;;#ASMEND
	;; [unrolled: 13-line block ×3, first 2 shown]
	s_wait_dscnt 0x0
	;;#ASMSTART
	v_dot2_f32_f16 v3, v4, v72, v3
	;;#ASMEND
	;;#ASMSTART
	v_dot2_f32_f16 v3, v5, v73, v3
	;;#ASMEND
	;; [unrolled: 3-line block ×3, first 2 shown]
	v_dual_cndmask_b32 v6, v40, v46, s3 :: v_dual_add_nc_u32 v18, v17, v55
	v_add_nc_u32_e32 v17, v17, v56
	;;#ASMSTART
	v_dot2_f32_f16 v3, v7, v75, v3
	;;#ASMEND
	s_clause 0x1
	global_load_u16 v4, v18, s[36:37] scale_offset
	global_load_u16 v5, v17, s[36:37] scale_offset
	s_wait_xcnt 0x0
	v_dual_max_num_f32 v7, v8, v8 :: v_dual_max_num_f32 v17, v14, v14
	v_cmp_gt_i32_e64 s3, 32, v45
	s_wait_loadcnt 0x0
	s_barrier_signal -1
	s_barrier_wait -1
	v_cvt_f32_f16_e32 v4, v4
	v_cvt_f32_f16_e32 v5, v5
	s_delay_alu instid0(VALU_DEP_2) | instskip(SKIP_1) | instid1(VALU_DEP_3)
	v_dual_max_num_f32 v18, v15, v15 :: v_dual_add_f32 v19, v1, v4
	v_add_f32_e32 v4, v0, v4
	v_dual_max_num_f32 v1, v16, v16 :: v_dual_add_f32 v60, v2, v5
	s_delay_alu instid0(VALU_DEP_3) | instskip(NEXT) | instid1(VALU_DEP_3)
	v_dual_add_f32 v5, v3, v5 :: v_dual_add_f32 v0, 0x40051340, v19
	v_dual_add_f32 v3, 0x40051340, v4 :: v_dual_lshlrev_b32 v2, 2, v6
	s_delay_alu instid0(VALU_DEP_2) | instskip(NEXT) | instid1(VALU_DEP_2)
	v_dual_add_f32 v6, 0x40051340, v60 :: v_dual_add_f32 v61, 0x40051340, v5
	v_dual_max_num_f32 v3, v17, v3 :: v_dual_max_num_f32 v0, v7, v0
	s_delay_alu instid0(VALU_DEP_2)
	v_max_num_f32_e32 v6, v18, v6
	ds_bpermute_b32 v17, v2, v3
	ds_bpermute_b32 v7, v2, v0
	v_max_num_f32_e32 v1, v1, v61
	ds_bpermute_b32 v18, v2, v6
	v_cndmask_b32_e64 v61, v40, v45, s3
	v_cmp_gt_i32_e64 s3, 32, v44
	s_wait_dscnt 0x1
	v_max_num_f32_e32 v7, v7, v7
	ds_bpermute_b32 v2, v2, v1
	s_wait_dscnt 0x1
	v_dual_max_num_f32 v17, v17, v17 :: v_dual_max_num_f32 v18, v18, v18
	v_dual_max_num_f32 v0, v0, v7 :: v_dual_lshlrev_b32 v61, 2, v61
	s_delay_alu instid0(VALU_DEP_2)
	v_dual_max_num_f32 v3, v3, v17 :: v_dual_max_num_f32 v6, v6, v18
	s_wait_dscnt 0x0
	v_max_num_f32_e32 v2, v2, v2
	ds_bpermute_b32 v7, v61, v3
	ds_bpermute_b32 v17, v61, v6
	v_max_num_f32_e32 v1, v1, v2
	ds_bpermute_b32 v2, v61, v0
	ds_bpermute_b32 v18, v61, v1
	v_cndmask_b32_e64 v61, v40, v44, s3
	v_cmp_gt_i32_e64 s3, 32, v43
	s_wait_dscnt 0x3
	s_delay_alu instid0(VALU_DEP_2) | instskip(SKIP_4) | instid1(VALU_DEP_2)
	v_dual_lshlrev_b32 v61, 2, v61 :: v_dual_max_num_f32 v7, v7, v7
	s_wait_dscnt 0x1
	v_dual_max_num_f32 v17, v17, v17 :: v_dual_max_num_f32 v2, v2, v2
	s_wait_dscnt 0x0
	v_max_num_f32_e32 v18, v18, v18
	v_dual_max_num_f32 v0, v0, v2 :: v_dual_max_num_f32 v2, v3, v7
	s_delay_alu instid0(VALU_DEP_2)
	v_dual_max_num_f32 v3, v6, v17 :: v_dual_max_num_f32 v1, v1, v18
	ds_bpermute_b32 v6, v61, v0
	ds_bpermute_b32 v7, v61, v2
	;; [unrolled: 1-line block ×4, first 2 shown]
	v_cndmask_b32_e64 v61, v40, v43, s3
	v_cmp_gt_i32_e64 s3, 32, v42
	s_wait_dscnt 0x3
	s_delay_alu instid0(VALU_DEP_2) | instskip(SKIP_4) | instid1(VALU_DEP_2)
	v_dual_max_num_f32 v6, v6, v6 :: v_dual_lshlrev_b32 v61, 2, v61
	s_wait_dscnt 0x1
	v_dual_max_num_f32 v7, v7, v7 :: v_dual_max_num_f32 v17, v17, v17
	s_wait_dscnt 0x0
	v_max_num_f32_e32 v18, v18, v18
	v_dual_max_num_f32 v0, v0, v6 :: v_dual_max_num_f32 v2, v2, v7
	s_delay_alu instid0(VALU_DEP_2)
	v_dual_max_num_f32 v3, v3, v17 :: v_dual_max_num_f32 v1, v1, v18
	ds_bpermute_b32 v6, v61, v0
	ds_bpermute_b32 v7, v61, v2
	;; [unrolled: 1-line block ×4, first 2 shown]
	v_cndmask_b32_e64 v61, v40, v42, s3
	s_wait_dscnt 0x2
	v_dual_max_num_f32 v6, v6, v6 :: v_dual_max_num_f32 v7, v7, v7
	s_delay_alu instid0(VALU_DEP_2) | instskip(SKIP_2) | instid1(VALU_DEP_3)
	v_lshlrev_b32_e32 v61, 2, v61
	s_wait_dscnt 0x0
	v_dual_max_num_f32 v17, v17, v17 :: v_dual_max_num_f32 v18, v18, v18
	v_dual_max_num_f32 v0, v0, v6 :: v_dual_max_num_f32 v2, v2, v7
	s_delay_alu instid0(VALU_DEP_2)
	v_dual_max_num_f32 v3, v3, v17 :: v_dual_max_num_f32 v6, v1, v18
	ds_bpermute_b32 v1, v61, v0
	ds_bpermute_b32 v7, v61, v2
	ds_bpermute_b32 v17, v61, v3
	s_wait_dscnt 0x2
	v_max_num_f32_e32 v1, v1, v1
	ds_bpermute_b32 v18, v61, v6
	s_wait_dscnt 0x1
	v_dual_max_num_f32 v7, v7, v7 :: v_dual_max_num_f32 v17, v17, v17
	s_delay_alu instid0(VALU_DEP_1) | instskip(SKIP_1) | instid1(VALU_DEP_2)
	v_dual_max_num_f32 v0, v0, v1 :: v_dual_max_num_f32 v1, v2, v7
	s_wait_dscnt 0x0
	v_dual_max_num_f32 v2, v3, v17 :: v_dual_max_num_f32 v18, v18, v18
	s_delay_alu instid0(VALU_DEP_1) | instskip(NEXT) | instid1(VALU_DEP_1)
	v_dual_max_num_f32 v3, v6, v18 :: v_dual_sub_f32 v6, v19, v0
	v_dual_sub_f32 v17, v4, v1 :: v_dual_sub_f32 v5, v5, v3
	s_delay_alu instid0(VALU_DEP_1) | instskip(NEXT) | instid1(VALU_DEP_3)
	v_dual_sub_f32 v7, v60, v2 :: v_dual_mul_f32 v18, 0x3fb8aa3b, v17
	v_mul_f32_e32 v4, 0x3fb8aa3b, v6
	v_cmp_ngt_f32_e64 s3, 0xc2ce8ed0, v6
	s_delay_alu instid0(VALU_DEP_3) | instskip(NEXT) | instid1(VALU_DEP_4)
	v_mul_f32_e32 v19, 0x3fb8aa3b, v7
	v_fma_f32 v63, 0x3fb8aa3b, v17, -v18
	s_delay_alu instid0(VALU_DEP_4)
	v_fma_f32 v61, 0x3fb8aa3b, v6, -v4
	v_rndne_f32_e32 v62, v4
	v_rndne_f32_e32 v64, v18
	v_fma_f32 v65, 0x3fb8aa3b, v7, -v19
	v_rndne_f32_e32 v66, v19
	v_mul_f32_e32 v60, 0x3fb8aa3b, v5
	s_delay_alu instid0(VALU_DEP_4) | instskip(SKIP_1) | instid1(VALU_DEP_4)
	v_dual_fmac_f32 v61, 0x32a5705f, v6 :: v_dual_sub_f32 v18, v18, v64
	v_dual_sub_f32 v4, v4, v62 :: v_dual_fmac_f32 v63, 0x32a5705f, v17
	v_sub_f32_e32 v19, v19, v66
	s_delay_alu instid0(VALU_DEP_4) | instskip(SKIP_1) | instid1(VALU_DEP_4)
	v_fma_f32 v67, 0x3fb8aa3b, v5, -v60
	v_rndne_f32_e32 v68, v60
	v_dual_fmac_f32 v65, 0x32a5705f, v7 :: v_dual_add_f32 v4, v4, v61
	s_delay_alu instid0(VALU_DEP_3) | instskip(NEXT) | instid1(VALU_DEP_2)
	v_dual_add_f32 v18, v18, v63 :: v_dual_fmac_f32 v67, 0x32a5705f, v5
	v_dual_sub_f32 v60, v60, v68 :: v_dual_add_f32 v19, v19, v65
	s_delay_alu instid0(VALU_DEP_3) | instskip(SKIP_1) | instid1(VALU_DEP_3)
	v_exp_f32_e32 v4, v4
	v_cvt_i32_f32_e32 v62, v62
	v_exp_f32_e32 v18, v18
	s_delay_alu instid0(VALU_DEP_2)
	v_add_f32_e32 v60, v60, v67
	v_exp_f32_e32 v19, v19
	v_cvt_i32_f32_e32 v61, v64
	v_cvt_i32_f32_e32 v63, v66
	v_ldexp_f32 v4, v4, v62
	v_exp_f32_e32 v60, v60
	v_cvt_i32_f32_e32 v64, v68
	v_ldexp_f32 v18, v18, v61
	v_ldexp_f32 v19, v19, v63
	v_cndmask_b32_e64 v4, 0, v4, s3
	v_cmp_ngt_f32_e64 s3, 0xc2ce8ed0, v17
	s_delay_alu instid0(TRANS32_DEP_1) | instskip(NEXT) | instid1(VALU_DEP_2)
	v_ldexp_f32 v60, v60, v64
	v_cndmask_b32_e64 v18, 0, v18, s3
	v_cmp_ngt_f32_e64 s3, 0xc2ce8ed0, v7
	s_delay_alu instid0(VALU_DEP_1) | instskip(SKIP_1) | instid1(VALU_DEP_1)
	v_cndmask_b32_e64 v19, 0, v19, s3
	v_cmp_ngt_f32_e64 s3, 0xc2ce8ed0, v5
	v_cndmask_b32_e64 v60, 0, v60, s3
	v_cmp_nlt_f32_e64 s3, 0x42b17218, v6
	s_delay_alu instid0(VALU_DEP_1) | instskip(SKIP_1) | instid1(VALU_DEP_1)
	v_cndmask_b32_e64 v4, 0x7f800000, v4, s3
	v_cmp_nlt_f32_e64 s3, 0x42b17218, v7
	v_cndmask_b32_e64 v6, 0x7f800000, v19, s3
	v_cmp_nlt_f32_e64 s3, 0x42b17218, v5
	s_delay_alu instid0(VALU_DEP_1) | instskip(SKIP_1) | instid1(VALU_DEP_2)
	v_cndmask_b32_e64 v7, 0x7f800000, v60, s3
	v_cmp_nlt_f32_e64 s3, 0x42b17218, v17
	v_cvt_pk_f16_f32 v19, v6, v7
	s_delay_alu instid0(VALU_DEP_2) | instskip(NEXT) | instid1(VALU_DEP_1)
	v_cndmask_b32_e64 v5, 0x7f800000, v18, s3
	v_cvt_pk_f16_f32 v18, v4, v5
	ds_store_b64 v52, v[18:19]
	s_and_saveexec_b32 s3, vcc_lo
	s_cbranch_execz .LBB37_19
; %bb.18:                               ;   in Loop: Header=BB37_15 Depth=1
	v_lshl_add_u64 v[18:19], v[30:31], 2, s[24:25]
	global_load_b128 v[60:63], v[18:19], off offset:128
	s_wait_loadcnt 0x0
	ds_store_b128 v51, v[60:63]
.LBB37_19:                              ;   in Loop: Header=BB37_15 Depth=1
	s_or_b32 exec_lo, exec_lo, s3
	v_lshl_add_u64 v[18:19], v[32:33], 2, s[24:25]
	v_dual_sub_f32 v8, v8, v0 :: v_dual_sub_f32 v17, v14, v1
	v_add_nc_u32_e32 v94, 0x400, v39
	s_delay_alu instid0(VALU_DEP_3) | instskip(NEXT) | instid1(VALU_DEP_3)
	v_add_nc_u64_e32 v[18:19], v[18:19], v[20:21]
	v_mul_f32_e32 v14, 0x3fb8aa3b, v8
	v_cmp_ngt_f32_e64 s3, 0xc2ce8ed0, v8
	global_load_b128 v[62:65], v[18:19], off
	s_wait_xcnt 0x0
	v_dual_sub_f32 v18, v15, v2 :: v_dual_sub_f32 v19, v16, v3
	v_mul_f32_e32 v15, 0x3fb8aa3b, v17
	v_fma_f32 v61, 0x3fb8aa3b, v8, -v14
	v_rndne_f32_e32 v66, v14
	s_delay_alu instid0(VALU_DEP_3) | instskip(SKIP_2) | instid1(VALU_DEP_4)
	v_fma_f32 v67, 0x3fb8aa3b, v17, -v15
	v_rndne_f32_e32 v68, v15
	v_mul_f32_e32 v16, 0x3fb8aa3b, v18
	v_dual_fmac_f32 v61, 0x32a5705f, v8 :: v_dual_sub_f32 v14, v14, v66
	v_cvt_i32_f32_e32 v66, v66
	s_delay_alu instid0(VALU_DEP_4) | instskip(NEXT) | instid1(VALU_DEP_4)
	v_sub_f32_e32 v15, v15, v68
	v_fma_f32 v69, 0x3fb8aa3b, v18, -v16
	v_rndne_f32_e32 v70, v16
	v_fmac_f32_e32 v67, 0x32a5705f, v17
	v_add_f32_e32 v14, v14, v61
	v_cvt_i32_f32_e32 v61, v68
	s_delay_alu instid0(VALU_DEP_4) | instskip(NEXT) | instid1(VALU_DEP_3)
	v_sub_f32_e32 v16, v16, v70
	v_exp_f32_e32 v14, v14
	v_nop
	s_delay_alu instid0(TRANS32_DEP_1) | instskip(NEXT) | instid1(VALU_DEP_1)
	v_ldexp_f32 v14, v14, v66
	v_cndmask_b32_e64 v14, 0, v14, s3
	v_cmp_ngt_f32_e64 s3, 0xc2ce8ed0, v17
	s_wait_loadcnt 0x0
	ds_store_b128 v54, v[62:65]
	s_wait_dscnt 0x0
	s_barrier_signal -1
	s_barrier_wait -1
	ds_load_b128 v[62:65], v48
	v_mul_f32_e32 v60, 0x3fb8aa3b, v19
	s_delay_alu instid0(VALU_DEP_1) | instskip(SKIP_2) | instid1(VALU_DEP_2)
	v_fma_f32 v71, 0x3fb8aa3b, v19, -v60
	v_rndne_f32_e32 v72, v60
	v_fmac_f32_e32 v69, 0x32a5705f, v18
	v_dual_fmac_f32 v71, 0x32a5705f, v19 :: v_dual_sub_f32 v60, v60, v72
	s_delay_alu instid0(VALU_DEP_2) | instskip(SKIP_2) | instid1(VALU_DEP_4)
	v_dual_add_f32 v15, v15, v67 :: v_dual_add_f32 v16, v16, v69
	v_cvt_i32_f32_e32 v67, v70
	v_cvt_i32_f32_e32 v68, v72
	v_add_f32_e32 v60, v60, v71
	s_delay_alu instid0(VALU_DEP_4) | instskip(SKIP_1) | instid1(VALU_DEP_1)
	v_exp_f32_e32 v15, v15
	v_exp_f32_e32 v16, v16
	;; [unrolled: 1-line block ×3, first 2 shown]
	s_delay_alu instid0(TRANS32_DEP_3) | instskip(NEXT) | instid1(TRANS32_DEP_2)
	v_ldexp_f32 v15, v15, v61
	v_ldexp_f32 v16, v16, v67
	s_delay_alu instid0(TRANS32_DEP_1) | instskip(NEXT) | instid1(VALU_DEP_3)
	v_ldexp_f32 v60, v60, v68
	v_cndmask_b32_e64 v15, 0, v15, s3
	v_cmp_ngt_f32_e64 s3, 0xc2ce8ed0, v18
	ds_load_b128 v[66:69], v48 offset:16
	s_wait_dscnt 0x1
	v_dual_lshrrev_b32 v103, 16, v63 :: v_dual_lshrrev_b32 v106, 16, v64
	v_and_b32_e32 v104, 0xffff, v62
	v_cndmask_b32_e64 v16, 0, v16, s3
	v_cmp_ngt_f32_e64 s3, 0xc2ce8ed0, v19
	v_lshrrev_b32_e32 v102, 16, v62
	v_and_b32_e32 v105, 0xffff, v63
	v_lshrrev_b32_e32 v107, 16, v65
	v_and_b32_e32 v108, 0xffff, v64
	v_cndmask_b32_e64 v60, 0, v60, s3
	v_cmp_nlt_f32_e64 s3, 0x42b17218, v8
	v_and_b32_e32 v109, 0xffff, v65
	s_delay_alu instid0(VALU_DEP_2) | instskip(SKIP_3) | instid1(VALU_DEP_2)
	v_cndmask_b32_e64 v14, 0x7f800000, v14, s3
	v_cmp_nlt_f32_e64 s3, 0x42b17218, v17
	s_wait_dscnt 0x0
	v_dual_lshrrev_b32 v110, 16, v66 :: v_dual_lshrrev_b32 v111, 16, v67
	v_cndmask_b32_e64 v15, 0x7f800000, v15, s3
	v_cmp_nlt_f32_e64 s3, 0x42b17218, v18
	v_cvt_f16_f32_e32 v8, v14
	v_and_b32_e32 v112, 0xffff, v66
	v_and_b32_e32 v113, 0xffff, v67
	v_cvt_f16_f32_e32 v18, v15
	v_cndmask_b32_e64 v16, 0x7f800000, v16, s3
	v_cmp_nlt_f32_e64 s3, 0x42b17218, v19
	v_and_b32_e32 v8, 0xffff, v8
	v_pk_fma_f32 v[24:25], v[24:25], v[14:15], v[4:5]
	v_and_b32_e32 v18, 0xffff, v18
	v_cvt_f16_f32_e32 v19, v16
	v_cndmask_b32_e64 v17, 0x7f800000, v60, s3
	v_dual_lshrrev_b32 v114, 16, v68 :: v_dual_lshrrev_b32 v115, 16, v69
	s_delay_alu instid0(VALU_DEP_4) | instskip(SKIP_1) | instid1(VALU_DEP_4)
	v_mul_u32_u24_e32 v95, 0x10001, v18
	v_and_b32_e32 v116, 0xffff, v68
	v_cvt_f16_f32_e32 v61, v17
	v_pk_fma_f32 v[22:23], v[22:23], v[16:17], v[6:7]
	v_and_b32_e32 v6, 0xffff, v19
	v_pk_mul_f16 v98, v12, v95
	v_and_b32_e32 v117, 0xffff, v69
	v_and_b32_e32 v7, 0xffff, v61
	v_mul_u32_u24_e32 v61, 0x10001, v8
	v_mul_u32_u24_e32 v96, 0x10001, v6
	v_add_nc_u32_e32 v60, 0x800, v39
	s_delay_alu instid0(VALU_DEP_4) | instskip(NEXT) | instid1(VALU_DEP_4)
	v_mul_u32_u24_e32 v6, 0x10001, v7
	v_pk_mul_f16 v97, v13, v61
	s_delay_alu instid0(VALU_DEP_4) | instskip(NEXT) | instid1(VALU_DEP_3)
	v_pk_mul_f16 v99, v11, v96
	v_pk_mul_f16 v100, v9, v6
	;; [unrolled: 1-line block ×3, first 2 shown]
	ds_load_2addr_b64 v[4:7], v39 offset1:18
	ds_load_b128 v[70:73], v48 offset:32
	ds_load_b128 v[74:77], v48 offset:48
	;; [unrolled: 1-line block ×4, first 2 shown]
	ds_load_2addr_b64 v[16:19], v39 offset0:36 offset1:54
	ds_load_b128 v[86:89], v48 offset:96
	ds_load_b128 v[12:15], v48 offset:112
	ds_load_2addr_b64 v[8:11], v39 offset0:72 offset1:90
	ds_load_2addr_b64 v[90:93], v39 offset0:108 offset1:126
	ds_load_b128 v[62:65], v48 offset:128
	ds_load_b128 v[66:69], v48 offset:144
	s_wait_dscnt 0xa
	v_dual_lshrrev_b32 v118, 16, v70 :: v_dual_lshrrev_b32 v119, 16, v71
	v_and_b32_e32 v120, 0xffff, v70
	v_and_b32_e32 v121, 0xffff, v71
	v_dual_lshrrev_b32 v122, 16, v72 :: v_dual_lshrrev_b32 v123, 16, v73
	v_and_b32_e32 v124, 0xffff, v72
	s_wait_dscnt 0x9
	v_dual_lshrrev_b32 v126, 16, v74 :: v_dual_lshrrev_b32 v127, 16, v75
	v_and_b32_e32 v128, 0xffff, v74
	v_mul_u32_u24_e32 v70, 0x10001, v104
	v_mul_u32_u24_e32 v71, 0x10001, v102
	;; [unrolled: 1-line block ×4, first 2 shown]
	v_dual_lshrrev_b32 v130, 16, v76 :: v_dual_lshrrev_b32 v131, 16, v77
	v_and_b32_e32 v132, 0xffff, v76
	s_wait_dscnt 0x8
	v_dual_lshrrev_b32 v134, 16, v78 :: v_dual_lshrrev_b32 v135, 16, v79
	v_and_b32_e32 v136, 0xffff, v78
	v_and_b32_e32 v137, 0xffff, v79
	v_pk_fma_f16 v78, v5, v70, v97
	v_pk_mul_f16 v70, v4, v70
	v_pk_fma_f16 v79, v5, v71, v98
	v_pk_mul_f16 v71, v4, v71
	;; [unrolled: 2-line block ×3, first 2 shown]
	v_and_b32_e32 v129, 0xffff, v75
	v_and_b32_e32 v133, 0xffff, v77
	v_dual_lshrrev_b32 v138, 16, v80 :: v_dual_lshrrev_b32 v139, 16, v81
	v_and_b32_e32 v141, 0xffff, v81
	s_wait_dscnt 0x7
	v_dual_lshrrev_b32 v142, 16, v82 :: v_dual_lshrrev_b32 v143, 16, v83
	v_and_b32_e32 v144, 0xffff, v82
	v_mul_u32_u24_e32 v75, 0x10001, v107
	v_pk_fma_f16 v77, v5, v72, v101
	v_pk_fma_f16 v59, v59, v61, v70
	;; [unrolled: 1-line block ×3, first 2 shown]
	v_mul_u32_u24_e32 v61, 0x10001, v108
	v_pk_fma_f16 v5, v5, v74, v99
	v_pk_fma_f16 v4, v57, v96, v4
	v_mul_u32_u24_e32 v81, 0x10001, v106
	v_mul_u32_u24_e32 v82, 0x10001, v109
	v_and_b32_e32 v140, 0xffff, v80
	v_and_b32_e32 v145, 0xffff, v83
	v_dual_lshrrev_b32 v146, 16, v84 :: v_dual_lshrrev_b32 v147, 16, v85
	v_and_b32_e32 v148, 0xffff, v84
	v_and_b32_e32 v149, 0xffff, v85
	v_pk_fma_f16 v57, v6, v75, v76
	v_pk_fma_f16 v80, v7, v75, v77
	;; [unrolled: 1-line block ×8, first 2 shown]
	v_mul_u32_u24_e32 v4, 0x10001, v111
	v_mul_u32_u24_e32 v83, 0x10001, v112
	;; [unrolled: 1-line block ×5, first 2 shown]
	s_wait_dscnt 0x6
	v_pk_fma_f16 v57, v16, v4, v57
	v_pk_fma_f16 v98, v17, v4, v80
	;; [unrolled: 1-line block ×8, first 2 shown]
	v_mul_u32_u24_e32 v82, 0x10001, v116
	v_mul_u32_u24_e32 v84, 0x10001, v114
	;; [unrolled: 1-line block ×3, first 2 shown]
	v_and_b32_e32 v125, 0xffff, v73
	v_pk_fma_f16 v57, v18, v99, v57
	v_pk_fma_f16 v83, v19, v99, v98
	;; [unrolled: 1-line block ×8, first 2 shown]
	v_mul_u32_u24_e32 v18, 0x10001, v119
	v_mul_u32_u24_e32 v19, 0x10001, v120
	;; [unrolled: 1-line block ×5, first 2 shown]
	s_wait_dscnt 0x3
	v_pk_fma_f16 v57, v8, v18, v57
	v_pk_fma_f16 v83, v9, v18, v83
	v_pk_fma_f16 v98, v9, v19, v98
	v_pk_fma_f16 v82, v9, v84, v82
	v_pk_fma_f16 v9, v9, v85, v17
	v_pk_fma_f16 v59, v8, v19, v59
	v_pk_fma_f16 v58, v8, v84, v58
	v_pk_fma_f16 v8, v8, v85, v16
	v_mul_u32_u24_e32 v84, 0x10001, v124
	v_mul_u32_u24_e32 v85, 0x10001, v122
	;; [unrolled: 1-line block ×3, first 2 shown]
	ds_load_2addr_b64 v[70:73], v39 offset0:144 offset1:162
	v_pk_fma_f16 v57, v10, v106, v57
	v_pk_fma_f16 v83, v11, v106, v83
	;; [unrolled: 1-line block ×5, first 2 shown]
	v_mul_u32_u24_e32 v10, 0x10001, v127
	s_wait_dscnt 0x2
	v_dual_lshrrev_b32 v106, 16, v62 :: v_dual_lshrrev_b32 v108, 16, v63
	v_pk_fma_f16 v98, v11, v84, v98
	v_pk_fma_f16 v82, v11, v85, v82
	v_and_b32_e32 v109, 0xffff, v62
	v_pk_fma_f16 v9, v11, v107, v9
	v_and_b32_e32 v107, 0xffff, v63
	v_mul_u32_u24_e32 v11, 0x10001, v128
	v_mul_u32_u24_e32 v62, 0x10001, v126
	;; [unrolled: 1-line block ×4, first 2 shown]
	v_pk_fma_f16 v57, v90, v10, v57
	v_pk_fma_f16 v83, v91, v10, v83
	ds_load_2addr_b64 v[74:77], v39 offset0:180 offset1:198
	v_pk_fma_f16 v85, v91, v11, v98
	v_pk_fma_f16 v82, v91, v62, v82
	;; [unrolled: 1-line block ×6, first 2 shown]
	v_mul_u32_u24_e32 v91, 0x10001, v132
	v_pk_fma_f16 v57, v92, v84, v57
	v_pk_fma_f16 v83, v93, v84, v83
	v_mul_u32_u24_e32 v84, 0x10001, v130
	v_mul_u32_u24_e32 v115, 0x10001, v133
	v_pk_fma_f16 v85, v93, v91, v85
	v_pk_fma_f16 v59, v92, v91, v59
	v_mul_u32_u24_e32 v118, 0x10001, v135
	v_pk_fma_f16 v82, v93, v84, v82
	v_pk_fma_f16 v58, v92, v84, v58
	;; [unrolled: 1-line block ×4, first 2 shown]
	v_mul_u32_u24_e32 v119, 0x10001, v136
	v_mul_u32_u24_e32 v120, 0x10001, v134
	;; [unrolled: 1-line block ×3, first 2 shown]
	ds_load_2addr_b64 v[4:7], v39 offset0:216 offset1:234
	v_mul_u32_u24_e32 v122, 0x10001, v139
	s_wait_dscnt 0x2
	v_pk_fma_f16 v57, v70, v118, v57
	v_pk_fma_f16 v123, v71, v119, v85
	;; [unrolled: 1-line block ×8, first 2 shown]
	v_mul_u32_u24_e32 v90, 0x10001, v140
	v_mul_u32_u24_e32 v119, 0x10001, v138
	;; [unrolled: 1-line block ×3, first 2 shown]
	v_pk_fma_f16 v57, v72, v122, v57
	v_pk_fma_f16 v71, v73, v122, v71
	v_pk_fma_f16 v121, v73, v90, v123
	v_pk_fma_f16 v59, v72, v90, v59
	v_pk_fma_f16 v122, v73, v119, v124
	v_pk_fma_f16 v58, v72, v119, v58
	v_pk_fma_f16 v73, v73, v120, v125
	v_pk_fma_f16 v70, v72, v120, v70
	v_mul_u32_u24_e32 v124, 0x10001, v143
	v_mul_u32_u24_e32 v127, 0x10001, v144
	;; [unrolled: 1-line block ×4, first 2 shown]
	v_dual_lshrrev_b32 v61, 16, v86 :: v_dual_lshrrev_b32 v95, 16, v87
	v_and_b32_e32 v86, 0xffff, v86
	v_and_b32_e32 v87, 0xffff, v87
	ds_load_2addr_b64 v[78:81], v94 offset0:124 offset1:142
	s_wait_dscnt 0x2
	v_pk_fma_f16 v57, v74, v124, v57
	v_pk_fma_f16 v71, v75, v124, v71
	v_pk_fma_f16 v121, v75, v127, v121
	v_pk_fma_f16 v59, v74, v127, v59
	v_pk_fma_f16 v122, v75, v128, v122
	v_pk_fma_f16 v58, v74, v128, v58
	v_pk_fma_f16 v73, v75, v129, v73
	v_pk_fma_f16 v70, v74, v129, v70
	v_mul_u32_u24_e32 v74, 0x10001, v147
	v_mul_u32_u24_e32 v75, 0x10001, v148
	;; [unrolled: 1-line block ×4, first 2 shown]
	v_dual_lshrrev_b32 v96, 16, v88 :: v_dual_lshrrev_b32 v97, 16, v89
	v_and_b32_e32 v88, 0xffff, v88
	v_and_b32_e32 v89, 0xffff, v89
	v_mul_u32_u24_e32 v95, 0x10001, v95
	v_mul_u32_u24_e32 v86, 0x10001, v86
	;; [unrolled: 1-line block ×4, first 2 shown]
	v_pk_fma_f16 v57, v76, v74, v57
	v_pk_fma_f16 v71, v77, v74, v71
	;; [unrolled: 1-line block ×8, first 2 shown]
	v_dual_lshrrev_b32 v94, 16, v12 :: v_dual_lshrrev_b32 v99, 16, v13
	v_and_b32_e32 v100, 0xffff, v12
	v_and_b32_e32 v101, 0xffff, v13
	v_dual_lshrrev_b32 v102, 16, v14 :: v_dual_lshrrev_b32 v103, 16, v15
	v_and_b32_e32 v104, 0xffff, v14
	v_and_b32_e32 v105, 0xffff, v15
	ds_load_2addr_b64 v[12:15], v60 offset0:32 offset1:50
	v_mul_u32_u24_e32 v97, 0x10001, v97
	v_mul_u32_u24_e32 v88, 0x10001, v88
	;; [unrolled: 1-line block ×4, first 2 shown]
	s_wait_dscnt 0x2
	v_pk_fma_f16 v57, v4, v95, v57
	v_pk_fma_f16 v74, v5, v86, v74
	;; [unrolled: 1-line block ×8, first 2 shown]
	v_mul_u32_u24_e32 v99, 0x10001, v99
	v_mul_u32_u24_e32 v100, 0x10001, v100
	;; [unrolled: 1-line block ×3, first 2 shown]
	v_pk_fma_f16 v57, v6, v97, v57
	v_pk_fma_f16 v61, v7, v97, v71
	;; [unrolled: 1-line block ×7, first 2 shown]
	ds_load_2addr_b64 v[16:19], v60 offset0:68 offset1:86
	v_mul_u32_u24_e32 v103, 0x10001, v103
	v_mul_u32_u24_e32 v104, 0x10001, v104
	;; [unrolled: 1-line block ×3, first 2 shown]
	v_pk_fma_f16 v58, v6, v96, v58
	s_wait_dscnt 0x2
	v_pk_fma_f16 v6, v78, v99, v57
	v_pk_fma_f16 v7, v78, v100, v7
	;; [unrolled: 1-line block ×3, first 2 shown]
	v_dual_lshrrev_b32 v110, 16, v64 :: v_dual_lshrrev_b32 v111, 16, v65
	v_and_b32_e32 v112, 0xffff, v64
	v_and_b32_e32 v113, 0xffff, v65
	ds_load_b128 v[8:11], v48 offset:160
	ds_load_b128 v[62:65], v48 offset:176
	v_mul_u32_u24_e32 v94, 0x10001, v94
	v_mul_u32_u24_e32 v109, 0x10001, v109
	;; [unrolled: 1-line block ×4, first 2 shown]
	v_pk_fma_f16 v5, v79, v101, v5
	v_pk_fma_f16 v6, v80, v103, v6
	;; [unrolled: 1-line block ×4, first 2 shown]
	v_dual_lshrrev_b32 v114, 16, v66 :: v_dual_lshrrev_b32 v91, 16, v67
	v_and_b32_e32 v116, 0xffff, v66
	v_and_b32_e32 v92, 0xffff, v67
	v_dual_lshrrev_b32 v93, 16, v68 :: v_dual_lshrrev_b32 v98, 16, v69
	v_and_b32_e32 v115, 0xffff, v68
	v_and_b32_e32 v117, 0xffff, v69
	ds_load_2addr_b64 v[66:69], v60 offset0:104 offset1:122
	v_mul_u32_u24_e32 v102, 0x10001, v102
	v_mul_u32_u24_e32 v112, 0x10001, v112
	;; [unrolled: 1-line block ×4, first 2 shown]
	v_pk_fma_f16 v57, v79, v99, v61
	v_pk_fma_f16 v59, v79, v100, v70
	;; [unrolled: 1-line block ×5, first 2 shown]
	s_wait_dscnt 0x4
	v_pk_fma_f16 v6, v12, v108, v6
	v_pk_fma_f16 v7, v12, v109, v7
	;; [unrolled: 1-line block ×3, first 2 shown]
	v_mul_u32_u24_e32 v106, 0x10001, v106
	v_mul_u32_u24_e32 v116, 0x10001, v116
	v_mul_u32_u24_e32 v92, 0x10001, v92
	v_mul_u32_u24_e32 v91, 0x10001, v91
	v_pk_fma_f16 v57, v81, v103, v57
	v_pk_fma_f16 v59, v81, v104, v59
	;; [unrolled: 1-line block ×8, first 2 shown]
	ds_load_2addr_b64 v[82:85], v60 offset0:140 offset1:158
	s_wait_dscnt 0x3
	v_dual_lshrrev_b32 v118, 16, v8 :: v_dual_lshrrev_b32 v90, 16, v9
	v_and_b32_e32 v119, 0xffff, v8
	v_and_b32_e32 v72, 0xffff, v9
	v_mul_u32_u24_e32 v110, 0x10001, v110
	v_mul_u32_u24_e32 v115, 0x10001, v115
	;; [unrolled: 1-line block ×4, first 2 shown]
	v_pk_fma_f16 v59, v13, v109, v59
	v_pk_fma_f16 v61, v13, v106, v61
	;; [unrolled: 1-line block ×8, first 2 shown]
	v_dual_lshrrev_b32 v120, 16, v10 :: v_dual_lshrrev_b32 v123, 16, v11
	v_and_b32_e32 v125, 0xffff, v10
	v_and_b32_e32 v126, 0xffff, v11
	v_mul_u32_u24_e32 v114, 0x10001, v114
	v_mul_u32_u24_e32 v119, 0x10001, v119
	;; [unrolled: 1-line block ×4, first 2 shown]
	v_pk_fma_f16 v12, v15, v112, v59
	v_pk_fma_f16 v58, v15, v110, v61
	;; [unrolled: 1-line block ×8, first 2 shown]
	s_wait_dscnt 0x2
	v_dual_lshrrev_b32 v124, 16, v62 :: v_dual_lshrrev_b32 v127, 16, v63
	v_and_b32_e32 v62, 0xffff, v62
	v_and_b32_e32 v63, 0xffff, v63
	v_mul_u32_u24_e32 v93, 0x10001, v93
	v_mul_u32_u24_e32 v125, 0x10001, v125
	v_mul_u32_u24_e32 v126, 0x10001, v126
	v_mul_u32_u24_e32 v123, 0x10001, v123
	v_pk_fma_f16 v12, v17, v116, v12
	v_pk_fma_f16 v14, v17, v114, v58
	;; [unrolled: 1-line block ×4, first 2 shown]
	s_wait_dscnt 0x1
	v_pk_fma_f16 v6, v66, v90, v6
	v_pk_fma_f16 v7, v66, v119, v7
	;; [unrolled: 1-line block ×3, first 2 shown]
	ds_load_b128 v[8:11], v48 offset:192
	v_mul_u32_u24_e32 v118, 0x10001, v118
	v_mul_u32_u24_e32 v62, 0x10001, v62
	;; [unrolled: 1-line block ×4, first 2 shown]
	v_pk_fma_f16 v13, v17, v91, v13
	v_pk_fma_f16 v12, v19, v115, v12
	;; [unrolled: 1-line block ×8, first 2 shown]
	v_mul_u32_u24_e32 v120, 0x10001, v120
	v_pk_fma_f16 v13, v19, v98, v13
	v_pk_fma_f16 v12, v67, v119, v12
	;; [unrolled: 1-line block ×5, first 2 shown]
	s_wait_dscnt 0x1
	v_pk_fma_f16 v16, v82, v127, v6
	v_pk_fma_f16 v17, v82, v62, v7
	;; [unrolled: 1-line block ×3, first 2 shown]
	v_and_b32_e32 v4, 0xffff, v64
	v_dual_lshrrev_b32 v6, 16, v64 :: v_dual_lshrrev_b32 v57, 16, v65
	v_and_b32_e32 v7, 0xffff, v65
	v_mul_u32_u24_e32 v124, 0x10001, v124
	v_pk_fma_f16 v13, v67, v90, v13
	v_pk_fma_f16 v12, v69, v125, v12
	;; [unrolled: 1-line block ×5, first 2 shown]
	v_mul_u32_u24_e32 v58, 0x10001, v4
	v_mul_u32_u24_e32 v59, 0x10001, v6
	;; [unrolled: 1-line block ×3, first 2 shown]
	ds_load_2addr_b64 v[4:7], v60 offset0:176 offset1:194
	v_pk_fma_f16 v13, v69, v123, v13
	v_pk_fma_f16 v12, v83, v62, v12
	;; [unrolled: 1-line block ×4, first 2 shown]
	v_mul_u32_u24_e32 v57, 0x10001, v57
	v_pk_fma_f16 v62, v83, v127, v13
	v_pk_fma_f16 v17, v84, v58, v17
	v_pk_fma_f16 v63, v84, v59, v15
	v_pk_fma_f16 v58, v85, v58, v12
	v_pk_fma_f16 v59, v85, v59, v14
	ds_load_b128 v[12:15], v48 offset:208
	s_wait_dscnt 0x2
	v_and_b32_e32 v64, 0xffff, v8
	v_lshrrev_b32_e32 v8, 16, v8
	v_and_b32_e32 v65, 0xffff, v9
	v_lshrrev_b32_e32 v9, 16, v9
	v_pk_fma_f16 v18, v84, v61, v18
	v_pk_fma_f16 v16, v84, v57, v16
	;; [unrolled: 1-line block ×3, first 2 shown]
	v_mul_u32_u24_e32 v61, 0x10001, v64
	v_mul_u32_u24_e32 v8, 0x10001, v8
	v_mul_u32_u24_e32 v64, 0x10001, v65
	v_mul_u32_u24_e32 v65, 0x10001, v9
	v_pk_fma_f16 v57, v85, v57, v62
	s_wait_dscnt 0x1
	v_pk_fma_f16 v17, v4, v61, v17
	v_pk_fma_f16 v62, v4, v8, v63
	;; [unrolled: 1-line block ×6, first 2 shown]
	v_and_b32_e32 v8, 0xffff, v10
	v_dual_lshrrev_b32 v9, 16, v10 :: v_dual_lshrrev_b32 v61, 16, v11
	v_pk_fma_f16 v19, v5, v64, v19
	v_and_b32_e32 v59, 0xffff, v11
	s_delay_alu instid0(VALU_DEP_4) | instskip(NEXT) | instid1(VALU_DEP_4)
	v_mul_u32_u24_e32 v63, 0x10001, v8
	v_mul_u32_u24_e32 v64, 0x10001, v9
	ds_load_2addr_b64 v[8:11], v60 offset0:212 offset1:230
	v_mul_u32_u24_e32 v60, 0x10001, v61
	v_mul_u32_u24_e32 v59, 0x10001, v59
	v_pk_fma_f16 v5, v5, v65, v57
	v_pk_fma_f16 v17, v6, v63, v17
	;; [unrolled: 1-line block ×7, first 2 shown]
	s_wait_dscnt 0x1
	v_and_b32_e32 v58, 0xffff, v12
	v_lshrrev_b32_e32 v12, 16, v12
	v_and_b32_e32 v61, 0xffff, v13
	v_lshrrev_b32_e32 v13, 16, v13
	v_pk_fma_f16 v19, v7, v59, v19
	v_mul_u32_u24_e32 v58, 0x10001, v58
	v_mul_u32_u24_e32 v12, 0x10001, v12
	v_mul_u32_u24_e32 v59, 0x10001, v61
	v_mul_u32_u24_e32 v61, 0x10001, v13
	v_pk_fma_f16 v60, v7, v60, v5
	s_wait_dscnt 0x0
	v_pk_fma_f16 v17, v8, v58, v17
	v_pk_fma_f16 v57, v8, v12, v57
	;; [unrolled: 1-line block ×5, first 2 shown]
	ds_load_b128 v[4:7], v48 offset:224
	v_pk_fma_f16 v16, v9, v12, v16
	v_pk_fma_f16 v59, v9, v59, v19
	v_and_b32_e32 v12, 0xffff, v14
	v_dual_lshrrev_b32 v13, 16, v14 :: v_dual_lshrrev_b32 v62, 16, v15
	v_and_b32_e32 v14, 0xffff, v15
	v_add_nc_u32_e32 v19, 0xc00, v39
	s_delay_alu instid0(VALU_DEP_4) | instskip(NEXT) | instid1(VALU_DEP_4)
	v_mul_u32_u24_e32 v63, 0x10001, v12
	v_mul_u32_u24_e32 v64, 0x10001, v13
	;; [unrolled: 1-line block ×4, first 2 shown]
	ds_load_2addr_b64 v[12:15], v19 offset0:120 offset1:138
	v_pk_fma_f16 v9, v9, v61, v60
	v_pk_fma_f16 v60, v10, v63, v17
	;; [unrolled: 1-line block ×7, first 2 shown]
	ds_load_b128 v[16:19], v48 offset:240
	s_wait_dscnt 0x2
	v_and_b32_e32 v63, 0xffff, v4
	v_lshrrev_b32_e32 v4, 16, v4
	v_and_b32_e32 v64, 0xffff, v5
	v_lshrrev_b32_e32 v5, 16, v5
	v_pk_fma_f16 v59, v11, v65, v59
	v_mul_u32_u24_e32 v63, 0x10001, v63
	v_mul_u32_u24_e32 v4, 0x10001, v4
	;; [unrolled: 1-line block ×4, first 2 shown]
	v_pk_fma_f16 v9, v11, v62, v9
	v_lshrrev_b32_e32 v5, 16, v6
	s_wait_dscnt 0x1
	v_pk_fma_f16 v11, v12, v63, v60
	v_pk_fma_f16 v57, v12, v4, v57
	;; [unrolled: 1-line block ×5, first 2 shown]
	v_and_b32_e32 v4, 0xffff, v6
	v_add_nc_u32_e32 v6, 0x1000, v39
	v_pk_fma_f16 v10, v13, v63, v10
	v_pk_fma_f16 v58, v13, v64, v59
	v_and_b32_e32 v59, 0xffff, v7
	v_lshrrev_b32_e32 v61, 16, v7
	v_mul_u32_u24_e32 v62, 0x10001, v4
	v_mul_u32_u24_e32 v63, 0x10001, v5
	ds_load_2addr_b64 v[4:7], v6 offset0:28 offset1:46
	v_mul_u32_u24_e32 v59, 0x10001, v59
	v_mul_u32_u24_e32 v61, 0x10001, v61
	s_wait_dscnt 0x0
	s_barrier_signal -1
	s_barrier_wait -1
	s_load_b32 s3, s[20:21], 0x4
	v_pk_fma_f16 v9, v13, v65, v9
	v_pk_fma_f16 v11, v14, v62, v11
	;; [unrolled: 1-line block ×5, first 2 shown]
	v_and_b32_e32 v14, 0xffff, v16
	v_lshrrev_b32_e32 v16, 16, v16
	v_and_b32_e32 v60, 0xffff, v17
	v_lshrrev_b32_e32 v17, 16, v17
	v_pk_fma_f16 v10, v15, v62, v10
	v_pk_fma_f16 v12, v15, v63, v12
	;; [unrolled: 1-line block ×3, first 2 shown]
	v_mul_u32_u24_e32 v14, 0x10001, v14
	v_mul_u32_u24_e32 v16, 0x10001, v16
	v_mul_u32_u24_e32 v59, 0x10001, v60
	v_mul_u32_u24_e32 v17, 0x10001, v17
	v_pk_fma_f16 v9, v15, v61, v9
	v_pk_fma_f16 v11, v4, v14, v11
	v_pk_fma_f16 v13, v4, v16, v13
	v_pk_fma_f16 v15, v4, v59, v57
	v_pk_fma_f16 v4, v4, v17, v8
	v_pk_fma_f16 v8, v5, v14, v10
	v_pk_fma_f16 v10, v5, v16, v12
	v_and_b32_e32 v12, 0xffff, v18
	v_dual_lshrrev_b32 v14, 16, v18 :: v_dual_lshrrev_b32 v18, 16, v19
	v_and_b32_e32 v16, 0xffff, v19
	v_pk_fma_f16 v19, v5, v59, v58
	s_delay_alu instid0(VALU_DEP_4) | instskip(NEXT) | instid1(VALU_DEP_4)
	v_mul_u32_u24_e32 v12, 0x10001, v12
	v_mul_u32_u24_e32 v14, 0x10001, v14
	;; [unrolled: 1-line block ×4, first 2 shown]
	v_pk_fma_f16 v5, v5, v17, v9
	s_wait_kmcnt 0x0
	s_lshl_b32 s3, s3, 5
	v_pk_fma_f16 v59, v6, v12, v11
	v_pk_fma_f16 v58, v6, v14, v13
	;; [unrolled: 1-line block ×8, first 2 shown]
	s_add_co_i32 s4, s3, s4
	s_delay_alu instid0(SALU_CYCLE_1)
	s_cmp_ge_i32 s4, s34
	s_cbranch_scc1 .LBB37_21
; %bb.20:                               ;   in Loop: Header=BB37_15 Depth=1
	v_dual_mov_b32 v8, v0 :: v_dual_mov_b32 v14, v1
	v_dual_mov_b32 v15, v2 :: v_dual_mov_b32 v16, v3
	s_branch .LBB37_15
.LBB37_21:
	v_mov_b32_e32 v4, v40
.LBB37_22:
	v_cmp_lt_i32_e32 vcc_lo, v46, v41
	s_cmp_lg_u64 s[12:13], 0
	s_cselect_b32 s3, -1, 0
	s_cmp_eq_u32 s35, 0
	v_cndmask_b32_e32 v5, v4, v46, vcc_lo
	v_cmp_lt_i32_e32 vcc_lo, v45, v41
	s_cselect_b32 s4, -1, 0
	s_delay_alu instid0(SALU_CYCLE_1) | instskip(NEXT) | instid1(VALU_DEP_2)
	s_and_b32 s3, s4, s3
	v_lshlrev_b32_e32 v5, 2, v5
	ds_bpermute_b32 v6, v5, v24
	ds_bpermute_b32 v7, v5, v25
	;; [unrolled: 1-line block ×4, first 2 shown]
	v_cndmask_b32_e32 v5, v4, v45, vcc_lo
	v_cmp_lt_i32_e32 vcc_lo, v44, v41
	s_delay_alu instid0(VALU_DEP_2)
	v_lshlrev_b32_e32 v5, 2, v5
	s_wait_dscnt 0x2
	v_pk_add_f32 v[6:7], v[24:25], v[6:7]
	s_wait_dscnt 0x0
	v_pk_add_f32 v[14:15], v[22:23], v[14:15]
	ds_bpermute_b32 v16, v5, v6
	ds_bpermute_b32 v17, v5, v7
	;; [unrolled: 1-line block ×4, first 2 shown]
	v_cndmask_b32_e32 v5, v4, v44, vcc_lo
	v_cmp_lt_i32_e32 vcc_lo, v43, v41
	s_delay_alu instid0(VALU_DEP_2)
	v_lshlrev_b32_e32 v5, 2, v5
	s_wait_dscnt 0x2
	v_pk_add_f32 v[6:7], v[6:7], v[16:17]
	s_wait_dscnt 0x0
	v_pk_add_f32 v[14:15], v[14:15], v[18:19]
	ds_bpermute_b32 v16, v5, v6
	ds_bpermute_b32 v17, v5, v7
	;; [unrolled: 1-line block ×4, first 2 shown]
	v_cndmask_b32_e32 v5, v4, v43, vcc_lo
	v_cmp_lt_i32_e32 vcc_lo, v42, v41
	s_delay_alu instid0(VALU_DEP_2) | instskip(SKIP_1) | instid1(VALU_DEP_1)
	v_dual_cndmask_b32 v4, v4, v42 :: v_dual_lshlrev_b32 v5, 2, v5
	s_and_b32 vcc_lo, exec_lo, s3
	v_lshlrev_b32_e32 v8, 2, v4
	s_wait_dscnt 0x2
	v_pk_add_f32 v[6:7], v[6:7], v[16:17]
	s_wait_dscnt 0x0
	v_pk_add_f32 v[14:15], v[14:15], v[18:19]
	ds_bpermute_b32 v16, v5, v6
	ds_bpermute_b32 v17, v5, v7
	;; [unrolled: 1-line block ×4, first 2 shown]
	s_wait_dscnt 0x2
	v_pk_add_f32 v[4:5], v[6:7], v[16:17]
	s_wait_dscnt 0x0
	v_pk_add_f32 v[14:15], v[14:15], v[18:19]
	ds_bpermute_b32 v6, v8, v4
	ds_bpermute_b32 v7, v8, v5
	;; [unrolled: 1-line block ×4, first 2 shown]
	s_wait_dscnt 0x2
	v_pk_add_f32 v[6:7], v[4:5], v[6:7]
	s_wait_dscnt 0x0
	v_pk_add_f32 v[4:5], v[14:15], v[16:17]
	s_cbranch_vccz .LBB37_24
; %bb.23:
	s_ashr_i32 s29, s28, 31
	v_mov_b32_e32 v8, 0
	s_lshl_b64 s[4:5], s[28:29], 2
	v_max_num_f32_e32 v15, v1, v1
	s_add_nc_u64 s[4:5], s[12:13], s[4:5]
	v_max_num_f32_e32 v20, v2, v2
	global_load_b64 v[18:19], v8, s[4:5]
	s_wait_loadcnt 0x0
	v_dual_max_num_f32 v8, v0, v0 :: v_dual_max_num_f32 v16, v18, v18
	v_max_num_f32_e32 v17, v19, v19
	s_delay_alu instid0(VALU_DEP_2) | instskip(NEXT) | instid1(VALU_DEP_2)
	v_dual_max_num_f32 v21, v3, v3 :: v_dual_max_num_f32 v14, v8, v16
	v_dual_max_num_f32 v15, v15, v17 :: v_dual_max_num_f32 v16, v20, v16
	s_delay_alu instid0(VALU_DEP_2) | instskip(NEXT) | instid1(VALU_DEP_2)
	v_dual_max_num_f32 v17, v21, v17 :: v_dual_sub_f32 v0, v0, v14
	v_dual_sub_f32 v8, v18, v14 :: v_dual_sub_f32 v1, v1, v15
	s_delay_alu instid0(VALU_DEP_3) | instskip(NEXT) | instid1(VALU_DEP_3)
	v_dual_sub_f32 v20, v19, v15 :: v_dual_sub_f32 v21, v2, v16
	v_dual_sub_f32 v22, v18, v16 :: v_dual_sub_f32 v23, v3, v17
	s_delay_alu instid0(VALU_DEP_3) | instskip(NEXT) | instid1(VALU_DEP_3)
	v_dual_sub_f32 v24, v19, v17 :: v_dual_mul_f32 v3, 0x3fb8aa3b, v8
	v_dual_mul_f32 v2, 0x3fb8aa3b, v0 :: v_dual_mul_f32 v25, 0x3fb8aa3b, v21
	s_delay_alu instid0(VALU_DEP_4) | instskip(NEXT) | instid1(VALU_DEP_4)
	v_dual_mul_f32 v18, 0x3fb8aa3b, v1 :: v_dual_mul_f32 v19, 0x3fb8aa3b, v20
	v_dual_mul_f32 v26, 0x3fb8aa3b, v22 :: v_dual_mul_f32 v27, 0x3fb8aa3b, v23
	s_delay_alu instid0(VALU_DEP_3) | instskip(SKIP_1) | instid1(VALU_DEP_4)
	v_fma_f32 v29, 0x3fb8aa3b, v0, -v2
	v_rndne_f32_e32 v30, v2
	v_fma_f32 v33, 0x3fb8aa3b, v1, -v18
	v_fma_f32 v40, 0x3fb8aa3b, v20, -v19
	v_rndne_f32_e32 v41, v19
	v_mul_f32_e32 v28, 0x3fb8aa3b, v24
	v_fma_f32 v31, 0x3fb8aa3b, v8, -v3
	v_rndne_f32_e32 v32, v3
	v_rndne_f32_e32 v45, v26
	v_fma_f32 v46, 0x3fb8aa3b, v23, -v27
	v_rndne_f32_e32 v47, v27
	v_dual_fmac_f32 v29, 0x32a5705f, v0 :: v_dual_sub_f32 v2, v2, v30
	v_dual_fmac_f32 v33, 0x32a5705f, v1 :: v_dual_fmac_f32 v40, 0x32a5705f, v20
	v_sub_f32_e32 v19, v19, v41
	v_rndne_f32_e32 v39, v18
	v_fma_f32 v42, 0x3fb8aa3b, v21, -v25
	v_rndne_f32_e32 v43, v25
	v_fma_f32 v44, 0x3fb8aa3b, v22, -v26
	v_fma_f32 v48, 0x3fb8aa3b, v24, -v28
	v_dual_fmac_f32 v31, 0x32a5705f, v8 :: v_dual_sub_f32 v18, v18, v39
	v_dual_sub_f32 v3, v3, v32 :: v_dual_fmac_f32 v42, 0x32a5705f, v21
	v_dual_sub_f32 v26, v26, v45 :: v_dual_sub_f32 v27, v27, v47
	v_dual_fmac_f32 v46, 0x32a5705f, v23 :: v_dual_add_f32 v19, v19, v40
	v_add_f32_e32 v2, v2, v29
	v_rndne_f32_e32 v49, v28
	v_dual_sub_f32 v25, v25, v43 :: v_dual_fmac_f32 v44, 0x32a5705f, v22
	v_dual_fmac_f32 v48, 0x32a5705f, v24 :: v_dual_add_f32 v3, v3, v31
	v_add_f32_e32 v27, v27, v46
	v_exp_f32_e32 v2, v2
	v_cvt_i32_f32_e32 v30, v30
	v_dual_sub_f32 v28, v28, v49 :: v_dual_add_f32 v25, v25, v42
	v_add_f32_e32 v18, v18, v33
	v_exp_f32_e32 v3, v3
	v_cvt_i32_f32_e32 v32, v32
	s_delay_alu instid0(TRANS32_DEP_2)
	v_ldexp_f32 v2, v2, v30
	v_cmp_ngt_f32_e32 vcc_lo, 0xc2ce8ed0, v0
	v_add_f32_e32 v28, v28, v48
	v_exp_f32_e32 v18, v18
	v_cvt_i32_f32_e32 v39, v39
	v_dual_add_f32 v26, v26, v44 :: v_dual_cndmask_b32 v2, 0, v2, vcc_lo
	v_ldexp_f32 v3, v3, v32
	v_cmp_ngt_f32_e32 vcc_lo, 0xc2ce8ed0, v8
	v_exp_f32_e32 v19, v19
	v_cvt_i32_f32_e32 v41, v41
	v_ldexp_f32 v18, v18, v39
	v_exp_f32_e32 v25, v25
	v_cndmask_b32_e32 v3, 0, v3, vcc_lo
	v_cmp_ngt_f32_e32 vcc_lo, 0xc2ce8ed0, v1
	v_cvt_i32_f32_e32 v43, v43
	v_ldexp_f32 v19, v19, v41
	v_exp_f32_e32 v26, v26
	v_cvt_i32_f32_e32 v45, v45
	v_cndmask_b32_e32 v18, 0, v18, vcc_lo
	v_cmp_ngt_f32_e32 vcc_lo, 0xc2ce8ed0, v20
	v_ldexp_f32 v25, v25, v43
	v_exp_f32_e32 v27, v27
	v_cvt_i32_f32_e32 v47, v47
	v_ldexp_f32 v26, v26, v45
	v_cndmask_b32_e32 v19, 0, v19, vcc_lo
	v_cmp_ngt_f32_e32 vcc_lo, 0xc2ce8ed0, v21
	v_exp_f32_e32 v28, v28
	v_cvt_i32_f32_e32 v49, v49
	v_ldexp_f32 v27, v27, v47
	v_cndmask_b32_e32 v25, 0, v25, vcc_lo
	v_cmp_ngt_f32_e32 vcc_lo, 0xc2ce8ed0, v22
	s_delay_alu instid0(TRANS32_DEP_1) | instid1(VALU_DEP_4)
	v_ldexp_f32 v28, v28, v49
	v_cndmask_b32_e32 v26, 0, v26, vcc_lo
	v_cmp_ngt_f32_e32 vcc_lo, 0xc2ce8ed0, v23
	v_cndmask_b32_e32 v27, 0, v27, vcc_lo
	v_cmp_ngt_f32_e32 vcc_lo, 0xc2ce8ed0, v24
	v_cndmask_b32_e32 v28, 0, v28, vcc_lo
	v_cmp_nlt_f32_e32 vcc_lo, 0x42b17218, v0
	v_cndmask_b32_e32 v0, 0x7f800000, v2, vcc_lo
	v_cmp_nlt_f32_e32 vcc_lo, 0x42b17218, v8
	s_delay_alu instid0(VALU_DEP_2) | instskip(SKIP_2) | instid1(VALU_DEP_3)
	v_cvt_f16_f32_e32 v8, v0
	v_cndmask_b32_e32 v2, 0x7f800000, v3, vcc_lo
	v_cmp_nlt_f32_e32 vcc_lo, 0x42b17218, v1
	v_and_b32_e32 v8, 0xffff, v8
	v_cndmask_b32_e32 v1, 0x7f800000, v18, vcc_lo
	v_cmp_nlt_f32_e32 vcc_lo, 0x42b17218, v20
	v_cndmask_b32_e32 v3, 0x7f800000, v19, vcc_lo
	v_cmp_nlt_f32_e32 vcc_lo, 0x42b17218, v21
	s_delay_alu instid0(VALU_DEP_2)
	v_pk_fma_f32 v[6:7], v[6:7], v[0:1], v[2:3]
	v_cndmask_b32_e32 v18, 0x7f800000, v25, vcc_lo
	v_cmp_nlt_f32_e32 vcc_lo, 0x42b17218, v22
	v_cvt_f16_f32_e32 v22, v1
	v_mul_u32_u24_e32 v3, 0x10001, v8
	v_cndmask_b32_e32 v20, 0x7f800000, v26, vcc_lo
	v_cmp_nlt_f32_e32 vcc_lo, 0x42b17218, v23
	v_cvt_f16_f32_e32 v23, v18
	v_and_b32_e32 v0, 0xffff, v22
	v_pk_mul_f16 v59, v59, v3
	v_pk_mul_f16 v13, v13, v3
	v_cndmask_b32_e32 v19, 0x7f800000, v27, vcc_lo
	v_cmp_nlt_f32_e32 vcc_lo, 0x42b17218, v24
	v_and_b32_e32 v1, 0xffff, v23
	v_mul_u32_u24_e32 v0, 0x10001, v0
	s_delay_alu instid0(VALU_DEP_4) | instskip(SKIP_1) | instid1(VALU_DEP_4)
	v_cvt_f16_f32_e32 v24, v19
	v_cndmask_b32_e32 v21, 0x7f800000, v28, vcc_lo
	v_mul_u32_u24_e32 v1, 0x10001, v1
	s_delay_alu instid0(VALU_DEP_4)
	v_pk_mul_f16 v58, v58, v0
	v_pk_mul_f16 v12, v12, v0
	v_and_b32_e32 v2, 0xffff, v24
	v_pk_fma_f32 v[4:5], v[4:5], v[18:19], v[20:21]
	v_pk_mul_f16 v57, v57, v1
	v_pk_mul_f16 v11, v11, v1
	s_delay_alu instid0(VALU_DEP_4) | instskip(NEXT) | instid1(VALU_DEP_1)
	v_mul_u32_u24_e32 v2, 0x10001, v2
	v_pk_mul_f16 v9, v9, v2
	v_pk_mul_f16 v10, v10, v2
	v_mov_b64_e32 v[0:1], v[14:15]
	v_mov_b64_e32 v[2:3], v[16:17]
.LBB37_24:
	v_lshlrev_b32_e32 v14, 1, v38
	s_mov_b32 s3, exec_lo
	s_delay_alu instid0(VALU_DEP_1) | instskip(NEXT) | instid1(VALU_DEP_1)
	v_add_nc_u32_e32 v8, s33, v14
	v_cmpx_gt_i32_e64 s22, v8
	s_cbranch_execz .LBB37_51
; %bb.25:
	s_load_b32 s0, s[0:1], 0xd4
	v_mov_b32_e32 v8, 1.0
	s_wait_kmcnt 0x0
	s_cmp_lg_u32 s0, 1
	s_cselect_b32 s3, -1, 0
	s_cmp_eq_u32 s0, 1
	s_cselect_b32 s4, -1, 0
	s_and_b32 vcc_lo, exec_lo, s3
	s_cbranch_vccnz .LBB37_27
; %bb.26:
	v_div_scale_f32 v8, null, v6, v6, 1.0
	s_delay_alu instid0(VALU_DEP_1) | instskip(SKIP_1) | instid1(TRANS32_DEP_1)
	v_rcp_f32_e32 v15, v8
	v_nop
	v_fma_f32 v16, -v8, v15, 1.0
	s_delay_alu instid0(VALU_DEP_1) | instskip(SKIP_1) | instid1(VALU_DEP_1)
	v_fmac_f32_e32 v15, v16, v15
	v_div_scale_f32 v16, vcc_lo, 1.0, v6, 1.0
	v_mul_f32_e32 v17, v16, v15
	s_delay_alu instid0(VALU_DEP_1) | instskip(NEXT) | instid1(VALU_DEP_1)
	v_fma_f32 v18, -v8, v17, v16
	v_fmac_f32_e32 v17, v18, v15
	s_delay_alu instid0(VALU_DEP_1) | instskip(NEXT) | instid1(VALU_DEP_1)
	v_fma_f32 v8, -v8, v17, v16
	v_div_fmas_f32 v8, v8, v15, v17
	s_delay_alu instid0(VALU_DEP_1)
	v_div_fixup_f32 v8, v8, v6, 1.0
.LBB37_27:
	s_mul_i32 s1, s30, s22
	s_delay_alu instid0(SALU_CYCLE_1) | instskip(NEXT) | instid1(SALU_CYCLE_1)
	s_add_co_i32 s1, s1, s33
	v_add_nc_u32_e32 v14, s1, v14
	s_delay_alu instid0(VALU_DEP_1) | instskip(NEXT) | instid1(VALU_DEP_1)
	v_mul_lo_u32 v14, v14, s23
	v_add_nc_u32_e32 v15, s28, v14
	s_delay_alu instid0(VALU_DEP_1)
	v_mad_u32 v15, s0, v15, s35
	s_and_saveexec_b32 s5, s2
	s_cbranch_execz .LBB37_29
; %bb.28:
	s_delay_alu instid0(VALU_DEP_1) | instskip(SKIP_4) | instid1(VALU_DEP_4)
	v_mad_u32 v18, 0x48, v15, v34
	v_dual_lshrrev_b32 v17, 16, v59 :: v_dual_lshrrev_b32 v21, 16, v13
	v_mov_b32_e32 v19, 0
	v_cvt_f32_f16_e32 v16, v59
	v_cvt_f32_f16_e32 v20, v13
	;; [unrolled: 1-line block ×4, first 2 shown]
	s_delay_alu instid0(VALU_DEP_2) | instskip(SKIP_1) | instid1(VALU_DEP_3)
	v_pk_mul_f32 v[16:17], v[8:9], v[16:17] op_sel_hi:[0,1]
	v_lshl_add_u64 v[22:23], v[18:19], 2, s[16:17]
	v_pk_mul_f32 v[18:19], v[8:9], v[20:21] op_sel_hi:[0,1]
	global_store_b128 v[22:23], v[16:19], off
.LBB37_29:
	s_wait_xcnt 0x0
	s_or_b32 exec_lo, exec_lo, s5
	v_cmp_eq_u32_e32 vcc_lo, 0, v37
	s_and_b32 s3, vcc_lo, s3
	s_delay_alu instid0(SALU_CYCLE_1)
	s_and_saveexec_b32 s5, s3
	s_cbranch_execz .LBB37_31
; %bb.30:
	v_dual_mov_b32 v16, v0 :: v_dual_mov_b32 v17, v6
	global_store_b64 v15, v[16:17], s[18:19] scale_offset
.LBB37_31:
	s_wait_xcnt 0x0
	s_or_b32 exec_lo, exec_lo, s5
	v_cndmask_b32_e64 v8, 0, 1, s4
	v_mov_b32_e32 v0, 1.0
	s_and_not1_b32 vcc_lo, exec_lo, s4
	s_cbranch_vccnz .LBB37_33
; %bb.32:
	v_div_scale_f32 v0, null, v7, v7, 1.0
	s_delay_alu instid0(VALU_DEP_1) | instskip(SKIP_1) | instid1(TRANS32_DEP_1)
	v_rcp_f32_e32 v6, v0
	v_nop
	v_fma_f32 v13, -v0, v6, 1.0
	s_delay_alu instid0(VALU_DEP_1) | instskip(SKIP_1) | instid1(VALU_DEP_1)
	v_fmac_f32_e32 v6, v13, v6
	v_div_scale_f32 v13, vcc_lo, 1.0, v7, 1.0
	v_mul_f32_e32 v15, v13, v6
	s_delay_alu instid0(VALU_DEP_1) | instskip(NEXT) | instid1(VALU_DEP_1)
	v_fma_f32 v16, -v0, v15, v13
	v_fmac_f32_e32 v15, v16, v6
	s_delay_alu instid0(VALU_DEP_1) | instskip(NEXT) | instid1(VALU_DEP_1)
	v_fma_f32 v0, -v0, v15, v13
	v_div_fmas_f32 v0, v0, v6, v15
	s_delay_alu instid0(VALU_DEP_1)
	v_div_fixup_f32 v0, v0, v7, 1.0
.LBB37_33:
	s_add_co_i32 s4, s28, 1
	s_delay_alu instid0(SALU_CYCLE_1) | instskip(NEXT) | instid1(VALU_DEP_1)
	v_add_nc_u32_e32 v6, s4, v14
	v_mad_u32 v13, s0, v6, s35
	s_and_saveexec_b32 s5, s2
	s_cbranch_execz .LBB37_35
; %bb.34:
	s_delay_alu instid0(VALU_DEP_1) | instskip(SKIP_4) | instid1(VALU_DEP_4)
	v_mad_u32 v16, 0x48, v13, v34
	v_dual_lshrrev_b32 v6, 16, v58 :: v_dual_lshrrev_b32 v19, 16, v12
	v_mov_b32_e32 v17, 0
	v_cvt_f32_f16_e32 v14, v58
	v_cvt_f32_f16_e32 v18, v12
	;; [unrolled: 1-line block ×4, first 2 shown]
	s_delay_alu instid0(VALU_DEP_2) | instskip(SKIP_1) | instid1(VALU_DEP_3)
	v_pk_mul_f32 v[14:15], v[0:1], v[14:15] op_sel_hi:[0,1]
	v_lshl_add_u64 v[20:21], v[16:17], 2, s[16:17]
	v_pk_mul_f32 v[16:17], v[0:1], v[18:19] op_sel_hi:[0,1]
	global_store_b128 v[20:21], v[14:17], off
.LBB37_35:
	s_wait_xcnt 0x0
	s_or_b32 exec_lo, exec_lo, s5
	s_and_saveexec_b32 s5, s3
	s_cbranch_execz .LBB37_37
; %bb.36:
	v_mov_b32_e32 v6, v1
	global_store_b64 v13, v[6:7], s[18:19] scale_offset
.LBB37_37:
	s_wait_xcnt 0x0
	s_or_b32 exec_lo, exec_lo, s5
	v_add_nc_u32_e32 v0, s33, v36
	s_delay_alu instid0(VALU_DEP_1)
	v_cmp_gt_i32_e32 vcc_lo, s22, v0
	s_and_b32 exec_lo, exec_lo, vcc_lo
	s_cbranch_execz .LBB37_51
; %bb.38:
	v_cmp_ne_u32_e32 vcc_lo, 1, v8
	v_mov_b32_e32 v0, 1.0
	s_cbranch_vccnz .LBB37_40
; %bb.39:
	v_div_scale_f32 v0, null, v4, v4, 1.0
	s_delay_alu instid0(VALU_DEP_1) | instskip(SKIP_1) | instid1(TRANS32_DEP_1)
	v_rcp_f32_e32 v1, v0
	v_nop
	v_fma_f32 v6, -v0, v1, 1.0
	s_delay_alu instid0(VALU_DEP_1) | instskip(SKIP_1) | instid1(VALU_DEP_1)
	v_fmac_f32_e32 v1, v6, v1
	v_div_scale_f32 v6, vcc_lo, 1.0, v4, 1.0
	v_mul_f32_e32 v7, v6, v1
	s_delay_alu instid0(VALU_DEP_1) | instskip(NEXT) | instid1(VALU_DEP_1)
	v_fma_f32 v12, -v0, v7, v6
	v_fmac_f32_e32 v7, v12, v1
	s_delay_alu instid0(VALU_DEP_1) | instskip(NEXT) | instid1(VALU_DEP_1)
	v_fma_f32 v0, -v0, v7, v6
	v_div_fmas_f32 v0, v0, v1, v7
	s_delay_alu instid0(VALU_DEP_1)
	v_div_fixup_f32 v0, v0, v4, 1.0
.LBB37_40:
	v_add_nc_u32_e32 v1, s1, v36
	s_delay_alu instid0(VALU_DEP_1) | instskip(NEXT) | instid1(VALU_DEP_1)
	v_mad_u32 v1, v1, s23, s28
	v_mad_u32 v1, s0, v1, s35
	s_and_saveexec_b32 s5, s2
	s_cbranch_execz .LBB37_42
; %bb.41:
	s_delay_alu instid0(VALU_DEP_1) | instskip(SKIP_4) | instid1(VALU_DEP_4)
	v_mad_u32 v6, 0x48, v1, v34
	v_dual_lshrrev_b32 v13, 16, v57 :: v_dual_lshrrev_b32 v15, 16, v11
	v_mov_b32_e32 v7, 0
	v_cvt_f32_f16_e32 v12, v57
	v_cvt_f32_f16_e32 v14, v11
	;; [unrolled: 1-line block ×4, first 2 shown]
	s_delay_alu instid0(VALU_DEP_2) | instskip(SKIP_1) | instid1(VALU_DEP_3)
	v_pk_mul_f32 v[12:13], v[0:1], v[12:13] op_sel_hi:[0,1]
	v_lshl_add_u64 v[6:7], v[6:7], 2, s[16:17]
	v_pk_mul_f32 v[14:15], v[0:1], v[14:15] op_sel_hi:[0,1]
	global_store_b128 v[6:7], v[12:15], off
.LBB37_42:
	s_wait_xcnt 0x0
	s_or_b32 exec_lo, exec_lo, s5
	s_and_saveexec_b32 s5, s3
	s_cbranch_execz .LBB37_44
; %bb.43:
	v_dual_mov_b32 v6, v2 :: v_dual_mov_b32 v7, v4
	global_store_b64 v1, v[6:7], s[18:19] scale_offset
.LBB37_44:
	s_wait_xcnt 0x0
	s_or_b32 exec_lo, exec_lo, s5
	v_lshrrev_b32_e32 v1, 1, v35
	s_delay_alu instid0(VALU_DEP_1) | instskip(NEXT) | instid1(VALU_DEP_1)
	v_add_nc_u32_e32 v0, s33, v1
	v_cmp_gt_i32_e32 vcc_lo, s22, v0
	s_and_b32 exec_lo, exec_lo, vcc_lo
	s_cbranch_execz .LBB37_51
; %bb.45:
	v_cmp_ne_u32_e32 vcc_lo, 1, v8
	v_mov_b32_e32 v0, 1.0
	s_cbranch_vccnz .LBB37_47
; %bb.46:
	v_div_scale_f32 v0, null, v5, v5, 1.0
	s_delay_alu instid0(VALU_DEP_1) | instskip(SKIP_1) | instid1(TRANS32_DEP_1)
	v_rcp_f32_e32 v2, v0
	v_nop
	v_fma_f32 v4, -v0, v2, 1.0
	s_delay_alu instid0(VALU_DEP_1) | instskip(SKIP_1) | instid1(VALU_DEP_1)
	v_fmac_f32_e32 v2, v4, v2
	v_div_scale_f32 v4, vcc_lo, 1.0, v5, 1.0
	v_mul_f32_e32 v6, v4, v2
	s_delay_alu instid0(VALU_DEP_1) | instskip(NEXT) | instid1(VALU_DEP_1)
	v_fma_f32 v7, -v0, v6, v4
	v_fmac_f32_e32 v6, v7, v2
	s_delay_alu instid0(VALU_DEP_1) | instskip(NEXT) | instid1(VALU_DEP_1)
	v_fma_f32 v0, -v0, v6, v4
	v_div_fmas_f32 v0, v0, v2, v6
	s_delay_alu instid0(VALU_DEP_1)
	v_div_fixup_f32 v0, v0, v5, 1.0
.LBB37_47:
	v_add_nc_u32_e32 v1, s1, v1
	s_delay_alu instid0(VALU_DEP_1) | instskip(NEXT) | instid1(VALU_DEP_1)
	v_mad_u32 v1, v1, s23, s4
	v_mad_u32 v1, s0, v1, s35
	s_and_saveexec_b32 s0, s2
	s_cbranch_execz .LBB37_49
; %bb.48:
	s_delay_alu instid0(VALU_DEP_1) | instskip(SKIP_4) | instid1(VALU_DEP_4)
	v_mad_u32 v12, 0x48, v1, v34
	v_dual_lshrrev_b32 v2, 16, v9 :: v_dual_lshrrev_b32 v4, 16, v10
	v_mov_b32_e32 v13, 0
	v_cvt_f32_f16_e32 v6, v9
	v_cvt_f32_f16_e32 v8, v10
	v_cvt_f32_f16_e32 v7, v2
	v_cvt_f32_f16_e32 v9, v4
	s_delay_alu instid0(VALU_DEP_2) | instskip(SKIP_1) | instid1(VALU_DEP_3)
	v_pk_mul_f32 v[6:7], v[0:1], v[6:7] op_sel_hi:[0,1]
	v_lshl_add_u64 v[10:11], v[12:13], 2, s[16:17]
	v_pk_mul_f32 v[8:9], v[0:1], v[8:9] op_sel_hi:[0,1]
	global_store_b128 v[10:11], v[6:9], off
.LBB37_49:
	s_wait_xcnt 0x0
	s_or_b32 exec_lo, exec_lo, s0
	s_delay_alu instid0(SALU_CYCLE_1)
	s_and_b32 exec_lo, exec_lo, s3
	s_cbranch_execz .LBB37_51
; %bb.50:
	v_mov_b32_e32 v4, v3
	global_store_b64 v1, v[4:5], s[18:19] scale_offset
.LBB37_51:
	s_sendmsg sendmsg(MSG_DEALLOC_VGPRS)
	s_endpgm
	.section	.rodata,"a",@progbits
	.p2align	6, 0x0
	.amdhsa_kernel _ZL15flash_attn_tileILi72ELi72ELi16ELi2ELb0EEvPKcS1_S1_S1_S1_PKiPfP15HIP_vector_typeIfLj2EEffffjfiS5_IjLj3EEiiiiiiiiiiiliiliiiiil
		.amdhsa_group_segment_fixed_size 12000
		.amdhsa_private_segment_fixed_size 0
		.amdhsa_kernarg_size 464
		.amdhsa_user_sgpr_count 2
		.amdhsa_user_sgpr_dispatch_ptr 0
		.amdhsa_user_sgpr_queue_ptr 0
		.amdhsa_user_sgpr_kernarg_segment_ptr 1
		.amdhsa_user_sgpr_dispatch_id 0
		.amdhsa_user_sgpr_kernarg_preload_length 0
		.amdhsa_user_sgpr_kernarg_preload_offset 0
		.amdhsa_user_sgpr_private_segment_size 0
		.amdhsa_wavefront_size32 1
		.amdhsa_uses_dynamic_stack 0
		.amdhsa_enable_private_segment 0
		.amdhsa_system_sgpr_workgroup_id_x 1
		.amdhsa_system_sgpr_workgroup_id_y 1
		.amdhsa_system_sgpr_workgroup_id_z 1
		.amdhsa_system_sgpr_workgroup_info 0
		.amdhsa_system_vgpr_workitem_id 1
		.amdhsa_next_free_vgpr 150
		.amdhsa_next_free_sgpr 48
		.amdhsa_named_barrier_count 0
		.amdhsa_reserve_vcc 1
		.amdhsa_float_round_mode_32 0
		.amdhsa_float_round_mode_16_64 0
		.amdhsa_float_denorm_mode_32 3
		.amdhsa_float_denorm_mode_16_64 3
		.amdhsa_fp16_overflow 0
		.amdhsa_memory_ordered 1
		.amdhsa_forward_progress 1
		.amdhsa_inst_pref_size 94
		.amdhsa_round_robin_scheduling 0
		.amdhsa_exception_fp_ieee_invalid_op 0
		.amdhsa_exception_fp_denorm_src 0
		.amdhsa_exception_fp_ieee_div_zero 0
		.amdhsa_exception_fp_ieee_overflow 0
		.amdhsa_exception_fp_ieee_underflow 0
		.amdhsa_exception_fp_ieee_inexact 0
		.amdhsa_exception_int_div_zero 0
	.end_amdhsa_kernel
	.section	.text._ZL15flash_attn_tileILi72ELi72ELi16ELi2ELb0EEvPKcS1_S1_S1_S1_PKiPfP15HIP_vector_typeIfLj2EEffffjfiS5_IjLj3EEiiiiiiiiiiiliiliiiiil,"axG",@progbits,_ZL15flash_attn_tileILi72ELi72ELi16ELi2ELb0EEvPKcS1_S1_S1_S1_PKiPfP15HIP_vector_typeIfLj2EEffffjfiS5_IjLj3EEiiiiiiiiiiiliiliiiiil,comdat
.Lfunc_end37:
	.size	_ZL15flash_attn_tileILi72ELi72ELi16ELi2ELb0EEvPKcS1_S1_S1_S1_PKiPfP15HIP_vector_typeIfLj2EEffffjfiS5_IjLj3EEiiiiiiiiiiiliiliiiiil, .Lfunc_end37-_ZL15flash_attn_tileILi72ELi72ELi16ELi2ELb0EEvPKcS1_S1_S1_S1_PKiPfP15HIP_vector_typeIfLj2EEffffjfiS5_IjLj3EEiiiiiiiiiiiliiliiiiil
                                        ; -- End function
	.set _ZL15flash_attn_tileILi72ELi72ELi16ELi2ELb0EEvPKcS1_S1_S1_S1_PKiPfP15HIP_vector_typeIfLj2EEffffjfiS5_IjLj3EEiiiiiiiiiiiliiliiiiil.num_vgpr, 150
	.set _ZL15flash_attn_tileILi72ELi72ELi16ELi2ELb0EEvPKcS1_S1_S1_S1_PKiPfP15HIP_vector_typeIfLj2EEffffjfiS5_IjLj3EEiiiiiiiiiiiliiliiiiil.num_agpr, 0
	.set _ZL15flash_attn_tileILi72ELi72ELi16ELi2ELb0EEvPKcS1_S1_S1_S1_PKiPfP15HIP_vector_typeIfLj2EEffffjfiS5_IjLj3EEiiiiiiiiiiiliiliiiiil.numbered_sgpr, 48
	.set _ZL15flash_attn_tileILi72ELi72ELi16ELi2ELb0EEvPKcS1_S1_S1_S1_PKiPfP15HIP_vector_typeIfLj2EEffffjfiS5_IjLj3EEiiiiiiiiiiiliiliiiiil.num_named_barrier, 0
	.set _ZL15flash_attn_tileILi72ELi72ELi16ELi2ELb0EEvPKcS1_S1_S1_S1_PKiPfP15HIP_vector_typeIfLj2EEffffjfiS5_IjLj3EEiiiiiiiiiiiliiliiiiil.private_seg_size, 0
	.set _ZL15flash_attn_tileILi72ELi72ELi16ELi2ELb0EEvPKcS1_S1_S1_S1_PKiPfP15HIP_vector_typeIfLj2EEffffjfiS5_IjLj3EEiiiiiiiiiiiliiliiiiil.uses_vcc, 1
	.set _ZL15flash_attn_tileILi72ELi72ELi16ELi2ELb0EEvPKcS1_S1_S1_S1_PKiPfP15HIP_vector_typeIfLj2EEffffjfiS5_IjLj3EEiiiiiiiiiiiliiliiiiil.uses_flat_scratch, 0
	.set _ZL15flash_attn_tileILi72ELi72ELi16ELi2ELb0EEvPKcS1_S1_S1_S1_PKiPfP15HIP_vector_typeIfLj2EEffffjfiS5_IjLj3EEiiiiiiiiiiiliiliiiiil.has_dyn_sized_stack, 0
	.set _ZL15flash_attn_tileILi72ELi72ELi16ELi2ELb0EEvPKcS1_S1_S1_S1_PKiPfP15HIP_vector_typeIfLj2EEffffjfiS5_IjLj3EEiiiiiiiiiiiliiliiiiil.has_recursion, 0
	.set _ZL15flash_attn_tileILi72ELi72ELi16ELi2ELb0EEvPKcS1_S1_S1_S1_PKiPfP15HIP_vector_typeIfLj2EEffffjfiS5_IjLj3EEiiiiiiiiiiiliiliiiiil.has_indirect_call, 0
	.section	.AMDGPU.csdata,"",@progbits
; Kernel info:
; codeLenInByte = 12000
; TotalNumSgprs: 50
; NumVgprs: 150
; ScratchSize: 0
; MemoryBound: 0
; FloatMode: 240
; IeeeMode: 1
; LDSByteSize: 12000 bytes/workgroup (compile time only)
; SGPRBlocks: 0
; VGPRBlocks: 9
; NumSGPRsForWavesPerEU: 50
; NumVGPRsForWavesPerEU: 150
; NamedBarCnt: 0
; Occupancy: 6
; WaveLimiterHint : 1
; COMPUTE_PGM_RSRC2:SCRATCH_EN: 0
; COMPUTE_PGM_RSRC2:USER_SGPR: 2
; COMPUTE_PGM_RSRC2:TRAP_HANDLER: 0
; COMPUTE_PGM_RSRC2:TGID_X_EN: 1
; COMPUTE_PGM_RSRC2:TGID_Y_EN: 1
; COMPUTE_PGM_RSRC2:TGID_Z_EN: 1
; COMPUTE_PGM_RSRC2:TIDIG_COMP_CNT: 1
	.section	.text._ZL33flash_attn_stream_k_fixup_uniformILi72ELi16ELi2EEvPfPK15HIP_vector_typeIfLj2EEiiiiiiS1_IjLj3EES5_S5_,"axG",@progbits,_ZL33flash_attn_stream_k_fixup_uniformILi72ELi16ELi2EEvPfPK15HIP_vector_typeIfLj2EEiiiiiiS1_IjLj3EES5_S5_,comdat
	.globl	_ZL33flash_attn_stream_k_fixup_uniformILi72ELi16ELi2EEvPfPK15HIP_vector_typeIfLj2EEiiiiiiS1_IjLj3EES5_S5_ ; -- Begin function _ZL33flash_attn_stream_k_fixup_uniformILi72ELi16ELi2EEvPfPK15HIP_vector_typeIfLj2EEiiiiiiS1_IjLj3EES5_S5_
	.p2align	8
	.type	_ZL33flash_attn_stream_k_fixup_uniformILi72ELi16ELi2EEvPfPK15HIP_vector_typeIfLj2EEiiiiiiS1_IjLj3EES5_S5_,@function
_ZL33flash_attn_stream_k_fixup_uniformILi72ELi16ELi2EEvPfPK15HIP_vector_typeIfLj2EEiiiiiiS1_IjLj3EES5_S5_: ; @_ZL33flash_attn_stream_k_fixup_uniformILi72ELi16ELi2EEvPfPK15HIP_vector_typeIfLj2EEiiiiiiS1_IjLj3EES5_S5_
; %bb.0:
	s_load_b256 s[4:11], s[0:1], 0x1c
	s_bfe_u32 s2, ttmp6, 0x40014
	s_lshr_b32 s3, ttmp7, 16
	s_add_co_i32 s2, s2, 1
	s_bfe_u32 s13, ttmp6, 0x40010
	s_mul_i32 s2, s3, s2
	s_bfe_u32 s12, ttmp6, 0x40008
	s_and_b32 s15, ttmp7, 0xffff
	s_add_co_i32 s13, s13, 1
	s_bfe_u32 s14, ttmp6, 0x4000c
	s_add_co_i32 s2, s12, s2
	s_mul_i32 s12, s15, s13
	s_bfe_u32 s13, ttmp6, 0x40004
	s_add_co_i32 s14, s14, 1
	s_add_co_i32 s13, s13, s12
	s_and_b32 s12, ttmp6, 15
	s_mul_i32 s14, ttmp9, s14
	s_getreg_b32 s20, hwreg(HW_REG_IB_STS2, 6, 4)
	s_add_co_i32 s12, s12, s14
	s_load_b128 s[16:19], s[0:1], 0x3c
	s_cmp_eq_u32 s20, 0
	s_cselect_b32 s14, ttmp9, s12
	s_cselect_b32 s12, s15, s13
	s_wait_kmcnt 0x0
	s_mul_hi_u32 s7, s7, s14
	s_cselect_b32 s13, s3, s2
	s_add_co_i32 s2, s14, s7
	s_delay_alu instid0(SALU_CYCLE_1) | instskip(NEXT) | instid1(SALU_CYCLE_1)
	s_lshr_b32 s7, s2, s8
	s_mul_i32 s2, s7, s9
	s_delay_alu instid0(SALU_CYCLE_1) | instskip(NEXT) | instid1(SALU_CYCLE_1)
	s_sub_co_i32 s8, s14, s2
	s_mul_hi_u32 s2, s8, s10
	s_delay_alu instid0(SALU_CYCLE_1) | instskip(SKIP_2) | instid1(SALU_CYCLE_1)
	s_add_co_i32 s9, s8, s2
	s_load_b64 s[2:3], s[0:1], 0x10
	s_lshr_b32 s15, s9, s11
	s_mul_i32 s9, s15, s16
	s_delay_alu instid0(SALU_CYCLE_1) | instskip(NEXT) | instid1(SALU_CYCLE_1)
	s_sub_co_i32 s8, s8, s9
	s_mul_hi_u32 s9, s8, s17
	s_delay_alu instid0(SALU_CYCLE_1) | instskip(NEXT) | instid1(SALU_CYCLE_1)
	s_add_co_i32 s9, s8, s9
	s_lshr_b32 s9, s9, s18
	s_delay_alu instid0(SALU_CYCLE_1) | instskip(SKIP_2) | instid1(SALU_CYCLE_1)
	s_mul_i32 s10, s9, s19
	s_lshl_b32 s17, s9, 1
	s_sub_co_i32 s16, s8, s10
	s_lshl_b32 s8, s16, 4
	s_delay_alu instid0(SALU_CYCLE_1) | instskip(SKIP_4) | instid1(SALU_CYCLE_1)
	s_add_co_i32 s8, s8, s12
	s_wait_kmcnt 0x0
	s_cmp_lt_i32 s8, s2
	s_cselect_b32 s8, -1, 0
	s_add_co_i32 s17, s17, s13
	s_cmp_lt_i32 s17, s5
	s_cselect_b32 s9, -1, 0
	s_delay_alu instid0(SALU_CYCLE_1) | instskip(NEXT) | instid1(SALU_CYCLE_1)
	s_and_b32 s8, s8, s9
	s_and_not1_b32 vcc_lo, exec_lo, s8
	s_cbranch_vccnz .LBB38_6
; %bb.1:
	s_load_b128 s[8:11], s[0:1], 0x0
	s_wait_xcnt 0x0
	s_mul_i32 s0, s7, s2
	s_mul_i32 s15, s15, s5
	s_add_co_i32 s0, s0, s12
	s_add_co_i32 s1, s17, s15
	s_mul_i32 s0, s0, s3
	s_mul_i32 s2, s3, s16
	s_add_co_i32 s0, s1, s0
	s_mulk_i32 s2, 0x480
	s_mulk_i32 s0, 0x48
	s_mul_i32 s7, s6, s14
	v_add3_u32 v4, s0, s2, v0
	s_lshl_b32 s5, s12, 1
	s_add_co_i32 s15, s7, s6
	s_add_co_i32 s0, s5, s13
	s_lshl_b32 s1, s15, 5
	v_ashrrev_i32_e32 v5, 31, v4
	s_add_co_i32 s0, s0, s1
	s_add_co_i32 s2, s15, -2
	s_sub_co_i32 s0, s0, 32
	s_wait_kmcnt 0x0
	global_load_b32 v3, v4, s[8:9] scale_offset
	s_ashr_i32 s1, s0, 31
	s_delay_alu instid0(SALU_CYCLE_1)
	s_lshl_b64 s[0:1], s[0:1], 3
	s_cmp_lt_i32 s2, s7
	s_add_nc_u64 s[0:1], s[10:11], s[0:1]
	s_load_b32 s16, s[0:1], 0x4
	s_cbranch_scc1 .LBB38_4
; %bb.2:
	s_wait_xcnt 0x0
	s_load_b32 s0, s[0:1], 0x0
	s_add_co_i32 s14, s14, 1
	s_mulk_i32 s12, 0x90
	s_wait_xcnt 0x0
	s_mul_i32 s1, s6, s14
	s_lshl_b32 s2, s4, 7
	s_lshl_b32 s6, s1, 5
	s_mulk_i32 s1, 0x900
	s_add_co_i32 s6, s13, s6
	s_mulk_i32 s13, 0x48
	s_lshl_b32 s4, s4, 5
	s_add_co_i32 s12, s13, s12
	s_ashr_i32 s3, s2, 31
	s_add_co_i32 s12, s12, s1
	s_add_co_i32 s1, s6, s4
	v_add3_u32 v0, s12, v0, 0xffffee00
	s_wait_kmcnt 0x0
	v_mov_b32_e32 v2, s16
	s_lshl_b64 s[2:3], s[2:3], 2
	s_add_co_i32 s4, s1, s5
	s_add_nc_u64 s[2:3], s[10:11], s[2:3]
	s_add_co_i32 s1, s15, -1
	s_sub_co_i32 s4, s4, 64
.LBB38_3:                               ; =>This Inner Loop Header: Depth=1
	global_load_b32 v7, v0, s[2:3] scale_offset
	s_ashr_i32 s5, s4, 31
	v_max_num_f32_e64 v1, s0, s0
	s_lshl_b64 s[12:13], s[4:5], 3
	s_delay_alu instid0(SALU_CYCLE_1) | instskip(SKIP_1) | instid1(VALU_DEP_1)
	s_add_nc_u64 s[12:13], s[10:11], s[12:13]
	s_load_b64 s[12:13], s[12:13], 0x0
	v_readfirstlane_b32 s5, v1
	v_add_nc_u32_e32 v0, 0xfffff700, v0
	s_wait_kmcnt 0x0
	v_max_num_f32_e64 v1, s12, s12
	s_delay_alu instid0(VALU_DEP_1) | instskip(SKIP_1) | instid1(SALU_CYCLE_3)
	v_readfirstlane_b32 s6, v1
	s_max_num_f32 s5, s5, s6
	s_sub_f32 s0, s0, s5
	s_sub_f32 s6, s12, s5
	s_delay_alu instid0(SALU_CYCLE_2) | instskip(NEXT) | instid1(SALU_CYCLE_2)
	s_mul_f32 s12, s0, 0x3fb8aa3b
	s_mul_f32 s14, s6, 0x3fb8aa3b
	s_delay_alu instid0(SALU_CYCLE_2)
	s_xor_b32 s15, s12, 0x80000000
	s_rndne_f32 s16, s12
	s_fmamk_f32 s15, s0, 0x3fb8aa3b, s15
	s_cmp_nlt_f32 s0, 0xc2ce8ed0
	s_rndne_f32 s17, s14
	s_sub_f32 s12, s12, s16
	s_fmamk_f32 s15, s0, 0x32a5705f, s15
	s_cselect_b32 vcc_lo, -1, 0
	s_cmp_ngt_f32 s0, 0x42b17218
	s_delay_alu instid0(SALU_CYCLE_1) | instskip(SKIP_2) | instid1(SALU_CYCLE_1)
	s_add_f32 s12, s12, s15
	s_cvt_i32_f32 s15, s16
	s_sub_f32 s16, s14, s17
	v_s_exp_f32 s12, s12
	v_nop
	s_delay_alu instid0(TRANS32_DEP_1) | instskip(SKIP_1) | instid1(VALU_DEP_1)
	v_ldexp_f32 v1, s12, s15
	s_cvt_i32_f32 s12, s17
	v_cndmask_b32_e32 v1, 0, v1, vcc_lo
	s_cselect_b32 vcc_lo, -1, 0
	s_cmp_ge_f32 s0, 0xc1a00000
	s_delay_alu instid0(VALU_DEP_1)
	v_cndmask_b32_e32 v1, 0x7f800000, v1, vcc_lo
	s_cselect_b32 vcc_lo, -1, 0
	s_xor_b32 s0, s14, 0x80000000
	s_cmp_nlt_f32 s6, 0xc2ce8ed0
	s_fmamk_f32 s0, s6, 0x3fb8aa3b, s0
	v_cndmask_b32_e32 v10, 0, v1, vcc_lo
	s_delay_alu instid0(SALU_CYCLE_2) | instskip(NEXT) | instid1(SALU_CYCLE_3)
	s_fmamk_f32 s0, s6, 0x32a5705f, s0
	s_add_f32 s0, s16, s0
	s_delay_alu instid0(SALU_CYCLE_3) | instskip(SKIP_1) | instid1(TRANS32_DEP_1)
	v_s_exp_f32 s0, s0
	v_nop
	v_ldexp_f32 v6, s0, s12
	s_cselect_b32 s0, -1, 0
	s_cmp_ngt_f32 s6, 0x42b17218
	s_delay_alu instid0(VALU_DEP_1) | instskip(SKIP_2) | instid1(VALU_DEP_1)
	v_cndmask_b32_e64 v6, 0, v6, s0
	s_cselect_b32 s0, -1, 0
	s_cmp_ge_f32 s6, 0xc1a00000
	v_cndmask_b32_e64 v8, 0x7f800000, v6, s0
	s_cselect_b32 s0, -1, 0
	v_mov_b32_e32 v6, s13
	s_add_co_i32 s1, s1, -1
	s_sub_co_i32 s4, s4, 32
	v_cndmask_b32_e64 v8, 0, v8, s0
	s_cmp_le_i32 s1, s7
	s_mov_b32 s0, s5
	s_wait_loadcnt 0x0
	s_delay_alu instid0(VALU_DEP_1) | instskip(NEXT) | instid1(VALU_DEP_1)
	v_pk_mul_f32 v[6:7], v[6:7], v[8:9] op_sel_hi:[1,0]
	v_pk_fma_f32 v[2:3], v[2:3], v[10:11], v[6:7] op_sel_hi:[1,0,1]
	s_cbranch_scc0 .LBB38_3
	s_branch .LBB38_5
.LBB38_4:
	s_wait_kmcnt 0x0
	v_mov_b32_e32 v2, s16
.LBB38_5:
	v_lshl_add_u64 v[0:1], v[4:5], 2, s[8:9]
	s_wait_loadcnt 0x0
	s_delay_alu instid0(VALU_DEP_2) | instskip(NEXT) | instid1(VALU_DEP_1)
	v_div_scale_f32 v4, null, v2, v2, v3
	v_rcp_f32_e32 v5, v4
	v_nop
	s_delay_alu instid0(TRANS32_DEP_1) | instskip(NEXT) | instid1(VALU_DEP_1)
	v_fma_f32 v6, -v4, v5, 1.0
	v_fmac_f32_e32 v5, v6, v5
	v_div_scale_f32 v6, vcc_lo, v3, v2, v3
	s_delay_alu instid0(VALU_DEP_1) | instskip(NEXT) | instid1(VALU_DEP_1)
	v_mul_f32_e32 v7, v6, v5
	v_fma_f32 v8, -v4, v7, v6
	s_delay_alu instid0(VALU_DEP_1) | instskip(NEXT) | instid1(VALU_DEP_1)
	v_fmac_f32_e32 v7, v8, v5
	v_fma_f32 v4, -v4, v7, v6
	s_delay_alu instid0(VALU_DEP_1) | instskip(NEXT) | instid1(VALU_DEP_1)
	v_div_fmas_f32 v4, v4, v5, v7
	v_div_fixup_f32 v2, v4, v2, v3
	global_store_b32 v[0:1], v2, off
.LBB38_6:
	s_endpgm
	.section	.rodata,"a",@progbits
	.p2align	6, 0x0
	.amdhsa_kernel _ZL33flash_attn_stream_k_fixup_uniformILi72ELi16ELi2EEvPfPK15HIP_vector_typeIfLj2EEiiiiiiS1_IjLj3EES5_S5_
		.amdhsa_group_segment_fixed_size 0
		.amdhsa_private_segment_fixed_size 0
		.amdhsa_kernarg_size 76
		.amdhsa_user_sgpr_count 2
		.amdhsa_user_sgpr_dispatch_ptr 0
		.amdhsa_user_sgpr_queue_ptr 0
		.amdhsa_user_sgpr_kernarg_segment_ptr 1
		.amdhsa_user_sgpr_dispatch_id 0
		.amdhsa_user_sgpr_kernarg_preload_length 0
		.amdhsa_user_sgpr_kernarg_preload_offset 0
		.amdhsa_user_sgpr_private_segment_size 0
		.amdhsa_wavefront_size32 1
		.amdhsa_uses_dynamic_stack 0
		.amdhsa_enable_private_segment 0
		.amdhsa_system_sgpr_workgroup_id_x 1
		.amdhsa_system_sgpr_workgroup_id_y 1
		.amdhsa_system_sgpr_workgroup_id_z 1
		.amdhsa_system_sgpr_workgroup_info 0
		.amdhsa_system_vgpr_workitem_id 0
		.amdhsa_next_free_vgpr 12
		.amdhsa_next_free_sgpr 21
		.amdhsa_named_barrier_count 0
		.amdhsa_reserve_vcc 1
		.amdhsa_float_round_mode_32 0
		.amdhsa_float_round_mode_16_64 0
		.amdhsa_float_denorm_mode_32 3
		.amdhsa_float_denorm_mode_16_64 3
		.amdhsa_fp16_overflow 0
		.amdhsa_memory_ordered 1
		.amdhsa_forward_progress 1
		.amdhsa_inst_pref_size 9
		.amdhsa_round_robin_scheduling 0
		.amdhsa_exception_fp_ieee_invalid_op 0
		.amdhsa_exception_fp_denorm_src 0
		.amdhsa_exception_fp_ieee_div_zero 0
		.amdhsa_exception_fp_ieee_overflow 0
		.amdhsa_exception_fp_ieee_underflow 0
		.amdhsa_exception_fp_ieee_inexact 0
		.amdhsa_exception_int_div_zero 0
	.end_amdhsa_kernel
	.section	.text._ZL33flash_attn_stream_k_fixup_uniformILi72ELi16ELi2EEvPfPK15HIP_vector_typeIfLj2EEiiiiiiS1_IjLj3EES5_S5_,"axG",@progbits,_ZL33flash_attn_stream_k_fixup_uniformILi72ELi16ELi2EEvPfPK15HIP_vector_typeIfLj2EEiiiiiiS1_IjLj3EES5_S5_,comdat
.Lfunc_end38:
	.size	_ZL33flash_attn_stream_k_fixup_uniformILi72ELi16ELi2EEvPfPK15HIP_vector_typeIfLj2EEiiiiiiS1_IjLj3EES5_S5_, .Lfunc_end38-_ZL33flash_attn_stream_k_fixup_uniformILi72ELi16ELi2EEvPfPK15HIP_vector_typeIfLj2EEiiiiiiS1_IjLj3EES5_S5_
                                        ; -- End function
	.set _ZL33flash_attn_stream_k_fixup_uniformILi72ELi16ELi2EEvPfPK15HIP_vector_typeIfLj2EEiiiiiiS1_IjLj3EES5_S5_.num_vgpr, 12
	.set _ZL33flash_attn_stream_k_fixup_uniformILi72ELi16ELi2EEvPfPK15HIP_vector_typeIfLj2EEiiiiiiS1_IjLj3EES5_S5_.num_agpr, 0
	.set _ZL33flash_attn_stream_k_fixup_uniformILi72ELi16ELi2EEvPfPK15HIP_vector_typeIfLj2EEiiiiiiS1_IjLj3EES5_S5_.numbered_sgpr, 21
	.set _ZL33flash_attn_stream_k_fixup_uniformILi72ELi16ELi2EEvPfPK15HIP_vector_typeIfLj2EEiiiiiiS1_IjLj3EES5_S5_.num_named_barrier, 0
	.set _ZL33flash_attn_stream_k_fixup_uniformILi72ELi16ELi2EEvPfPK15HIP_vector_typeIfLj2EEiiiiiiS1_IjLj3EES5_S5_.private_seg_size, 0
	.set _ZL33flash_attn_stream_k_fixup_uniformILi72ELi16ELi2EEvPfPK15HIP_vector_typeIfLj2EEiiiiiiS1_IjLj3EES5_S5_.uses_vcc, 1
	.set _ZL33flash_attn_stream_k_fixup_uniformILi72ELi16ELi2EEvPfPK15HIP_vector_typeIfLj2EEiiiiiiS1_IjLj3EES5_S5_.uses_flat_scratch, 0
	.set _ZL33flash_attn_stream_k_fixup_uniformILi72ELi16ELi2EEvPfPK15HIP_vector_typeIfLj2EEiiiiiiS1_IjLj3EES5_S5_.has_dyn_sized_stack, 0
	.set _ZL33flash_attn_stream_k_fixup_uniformILi72ELi16ELi2EEvPfPK15HIP_vector_typeIfLj2EEiiiiiiS1_IjLj3EES5_S5_.has_recursion, 0
	.set _ZL33flash_attn_stream_k_fixup_uniformILi72ELi16ELi2EEvPfPK15HIP_vector_typeIfLj2EEiiiiiiS1_IjLj3EES5_S5_.has_indirect_call, 0
	.section	.AMDGPU.csdata,"",@progbits
; Kernel info:
; codeLenInByte = 1084
; TotalNumSgprs: 23
; NumVgprs: 12
; ScratchSize: 0
; MemoryBound: 0
; FloatMode: 240
; IeeeMode: 1
; LDSByteSize: 0 bytes/workgroup (compile time only)
; SGPRBlocks: 0
; VGPRBlocks: 0
; NumSGPRsForWavesPerEU: 23
; NumVGPRsForWavesPerEU: 12
; NamedBarCnt: 0
; Occupancy: 16
; WaveLimiterHint : 0
; COMPUTE_PGM_RSRC2:SCRATCH_EN: 0
; COMPUTE_PGM_RSRC2:USER_SGPR: 2
; COMPUTE_PGM_RSRC2:TRAP_HANDLER: 0
; COMPUTE_PGM_RSRC2:TGID_X_EN: 1
; COMPUTE_PGM_RSRC2:TGID_Y_EN: 1
; COMPUTE_PGM_RSRC2:TGID_Z_EN: 1
; COMPUTE_PGM_RSRC2:TIDIG_COMP_CNT: 0
	.section	.text._ZL33flash_attn_stream_k_fixup_generalILi72ELi16ELi2EEvPfPK15HIP_vector_typeIfLj2EEiiiiS1_IjLj3EES5_S5_S5_,"axG",@progbits,_ZL33flash_attn_stream_k_fixup_generalILi72ELi16ELi2EEvPfPK15HIP_vector_typeIfLj2EEiiiiS1_IjLj3EES5_S5_S5_,comdat
	.globl	_ZL33flash_attn_stream_k_fixup_generalILi72ELi16ELi2EEvPfPK15HIP_vector_typeIfLj2EEiiiiS1_IjLj3EES5_S5_S5_ ; -- Begin function _ZL33flash_attn_stream_k_fixup_generalILi72ELi16ELi2EEvPfPK15HIP_vector_typeIfLj2EEiiiiS1_IjLj3EES5_S5_S5_
	.p2align	8
	.type	_ZL33flash_attn_stream_k_fixup_generalILi72ELi16ELi2EEvPfPK15HIP_vector_typeIfLj2EEiiiiS1_IjLj3EES5_S5_S5_,@function
_ZL33flash_attn_stream_k_fixup_generalILi72ELi16ELi2EEvPfPK15HIP_vector_typeIfLj2EEiiiiS1_IjLj3EES5_S5_S5_: ; @_ZL33flash_attn_stream_k_fixup_generalILi72ELi16ELi2EEvPfPK15HIP_vector_typeIfLj2EEiiiiS1_IjLj3EES5_S5_S5_
; %bb.0:
	s_clause 0x1
	s_load_b128 s[4:7], s[0:1], 0x10
	s_load_b32 s16, s[0:1], 0x50
	s_bfe_u32 s2, ttmp6, 0x4000c
	s_and_b32 s3, ttmp6, 15
	s_add_co_i32 s2, s2, 1
	s_getreg_b32 s15, hwreg(HW_REG_IB_STS2, 6, 4)
	s_mul_i32 s2, ttmp9, s2
	s_mov_b32 s17, 0
	s_add_co_i32 s3, s3, s2
	s_cmp_eq_u32 s15, 0
	s_cselect_b32 s2, ttmp9, s3
	s_delay_alu instid0(SALU_CYCLE_1) | instskip(SKIP_3) | instid1(SALU_CYCLE_1)
	s_ashr_i32 s3, s2, 31
	s_wait_kmcnt 0x0
	s_ashr_i32 s19, s7, 31
	s_mov_b32 s18, s7
	s_mul_u64 s[8:9], s[18:19], s[2:3]
	s_delay_alu instid0(SALU_CYCLE_1) | instskip(NEXT) | instid1(SALU_CYCLE_1)
	s_and_b64 s[10:11], s[8:9], 0xffffffff00000000
	s_cmp_lg_u64 s[10:11], 0
	s_cbranch_scc0 .LBB39_21
; %bb.1:
	s_add_nc_u64 s[10:11], s[16:17], 0
	s_mov_b32 s23, s17
	s_xor_b64 s[10:11], s[10:11], 0
	s_mov_b32 s27, s17
	s_cvt_f32_u32 s3, s10
	s_cvt_f32_u32 s7, s11
	s_sub_nc_u64 s[20:21], 0, s[10:11]
	s_delay_alu instid0(SALU_CYCLE_2) | instskip(NEXT) | instid1(SALU_CYCLE_3)
	s_fmamk_f32 s3, s7, 0x4f800000, s3
	v_s_rcp_f32 s3, s3
	s_delay_alu instid0(TRANS32_DEP_1) | instskip(NEXT) | instid1(SALU_CYCLE_3)
	s_mul_f32 s3, s3, 0x5f7ffffc
	s_mul_f32 s7, s3, 0x2f800000
	s_delay_alu instid0(SALU_CYCLE_3) | instskip(NEXT) | instid1(SALU_CYCLE_3)
	s_trunc_f32 s7, s7
	s_fmamk_f32 s3, s7, 0xcf800000, s3
	s_cvt_u32_f32 s13, s7
	s_delay_alu instid0(SALU_CYCLE_2) | instskip(NEXT) | instid1(SALU_CYCLE_3)
	s_cvt_u32_f32 s12, s3
	s_mul_u64 s[24:25], s[20:21], s[12:13]
	s_delay_alu instid0(SALU_CYCLE_1)
	s_mul_hi_u32 s29, s12, s25
	s_mul_i32 s28, s12, s25
	s_mul_hi_u32 s22, s12, s24
	s_mul_i32 s7, s13, s24
	s_add_nc_u64 s[22:23], s[22:23], s[28:29]
	s_mul_hi_u32 s3, s13, s24
	s_mul_hi_u32 s14, s13, s25
	s_add_co_u32 s7, s22, s7
	s_add_co_ci_u32 s26, s23, s3
	s_mul_i32 s24, s13, s25
	s_add_co_ci_u32 s25, s14, 0
	s_delay_alu instid0(SALU_CYCLE_1) | instskip(SKIP_3) | instid1(SALU_CYCLE_1)
	s_add_nc_u64 s[22:23], s[26:27], s[24:25]
	s_mov_b32 s25, s17
	s_add_co_u32 s12, s12, s22
	s_cselect_b32 s3, -1, 0
	s_cmp_lg_u32 s3, 0
	s_add_co_ci_u32 s13, s13, s23
	s_mov_b32 s23, s17
	s_mul_u64 s[20:21], s[20:21], s[12:13]
	s_delay_alu instid0(SALU_CYCLE_1)
	s_mul_hi_u32 s27, s12, s21
	s_mul_i32 s26, s12, s21
	s_mul_hi_u32 s22, s12, s20
	s_mul_i32 s7, s13, s20
	s_add_nc_u64 s[22:23], s[22:23], s[26:27]
	s_mul_hi_u32 s3, s13, s20
	s_mul_hi_u32 s14, s13, s21
	s_add_co_u32 s7, s22, s7
	s_add_co_ci_u32 s24, s23, s3
	s_mul_i32 s20, s13, s21
	s_add_co_ci_u32 s21, s14, 0
	s_mov_b32 s23, s17
	s_add_nc_u64 s[20:21], s[24:25], s[20:21]
	s_delay_alu instid0(SALU_CYCLE_1) | instskip(SKIP_1) | instid1(SALU_CYCLE_1)
	s_add_co_u32 s3, s12, s20
	s_cselect_b32 s7, -1, 0
	s_cmp_lg_u32 s7, 0
	s_add_co_ci_u32 s7, s13, s21
	s_ashr_i32 s12, s9, 31
	s_delay_alu instid0(SALU_CYCLE_1) | instskip(NEXT) | instid1(SALU_CYCLE_1)
	s_mov_b32 s13, s12
	s_add_nc_u64 s[20:21], s[8:9], s[12:13]
	s_delay_alu instid0(SALU_CYCLE_1) | instskip(NEXT) | instid1(SALU_CYCLE_1)
	s_xor_b64 s[20:21], s[20:21], s[12:13]
	s_mul_hi_u32 s27, s20, s7
	s_mul_i32 s26, s20, s7
	s_mul_hi_u32 s22, s20, s3
	s_mul_hi_u32 s14, s21, s3
	s_mul_i32 s3, s21, s3
	s_add_nc_u64 s[22:23], s[22:23], s[26:27]
	s_mul_hi_u32 s9, s21, s7
	s_add_co_u32 s3, s22, s3
	s_add_co_ci_u32 s24, s23, s14
	s_mul_i32 s26, s21, s7
	s_add_co_ci_u32 s27, s9, 0
	s_delay_alu instid0(SALU_CYCLE_1) | instskip(NEXT) | instid1(SALU_CYCLE_1)
	s_add_nc_u64 s[22:23], s[24:25], s[26:27]
	s_and_b64 s[24:25], s[22:23], 0xffffffff00000000
	s_delay_alu instid0(SALU_CYCLE_1) | instskip(NEXT) | instid1(SALU_CYCLE_1)
	s_or_b32 s24, s24, s22
	s_mul_u64 s[22:23], s[10:11], s[24:25]
	s_add_nc_u64 s[26:27], s[24:25], 1
	s_sub_co_u32 s3, s20, s22
	s_cselect_b32 s7, -1, 0
	s_sub_co_i32 s9, s21, s23
	s_cmp_lg_u32 s7, 0
	s_add_nc_u64 s[28:29], s[24:25], 2
	s_sub_co_ci_u32 s9, s9, s11
	s_sub_co_u32 s14, s3, s10
	s_cselect_b32 s20, -1, 0
	s_delay_alu instid0(SALU_CYCLE_1) | instskip(SKIP_1) | instid1(SALU_CYCLE_1)
	s_cmp_lg_u32 s20, 0
	s_sub_co_ci_u32 s9, s9, 0
	s_cmp_ge_u32 s9, s11
	s_cselect_b32 s20, -1, 0
	s_cmp_ge_u32 s14, s10
	s_cselect_b32 s14, -1, 0
	s_cmp_eq_u32 s9, s11
	s_cselect_b32 s9, s14, s20
	s_delay_alu instid0(SALU_CYCLE_1) | instskip(SKIP_4) | instid1(SALU_CYCLE_1)
	s_cmp_lg_u32 s9, 0
	s_cselect_b32 s9, s28, s26
	s_cselect_b32 s14, s29, s27
	s_cmp_lg_u32 s7, 0
	s_sub_co_ci_u32 s7, s21, s23
	s_cmp_ge_u32 s7, s11
	s_cselect_b32 s20, -1, 0
	s_cmp_ge_u32 s3, s10
	s_cselect_b32 s3, -1, 0
	s_cmp_eq_u32 s7, s11
	s_cselect_b32 s3, s3, s20
	s_delay_alu instid0(SALU_CYCLE_1) | instskip(SKIP_4) | instid1(SALU_CYCLE_1)
	s_cmp_lg_u32 s3, 0
	s_mov_b32 s3, s17
	s_cselect_b32 s11, s14, s25
	s_cselect_b32 s10, s9, s24
	s_xor_b64 s[12:13], s[12:13], 0
	s_xor_b64 s[10:11], s[10:11], s[12:13]
	s_delay_alu instid0(SALU_CYCLE_1)
	s_sub_nc_u64 s[20:21], s[10:11], s[12:13]
	s_and_not1_b32 vcc_lo, exec_lo, s3
	s_cbranch_vccnz .LBB39_3
.LBB39_2:
	v_cvt_f32_u32_e32 v1, s16
	s_sub_co_i32 s7, 0, s16
	s_mov_b32 s21, 0
	s_delay_alu instid0(VALU_DEP_1) | instskip(SKIP_1) | instid1(TRANS32_DEP_1)
	v_rcp_iflag_f32_e32 v1, v1
	v_nop
	v_mul_f32_e32 v1, 0x4f7ffffe, v1
	s_delay_alu instid0(VALU_DEP_1) | instskip(NEXT) | instid1(VALU_DEP_1)
	v_cvt_u32_f32_e32 v1, v1
	v_readfirstlane_b32 s3, v1
	s_mul_i32 s7, s7, s3
	s_delay_alu instid0(SALU_CYCLE_1) | instskip(NEXT) | instid1(SALU_CYCLE_1)
	s_mul_hi_u32 s7, s3, s7
	s_add_co_i32 s3, s3, s7
	s_delay_alu instid0(SALU_CYCLE_1) | instskip(NEXT) | instid1(SALU_CYCLE_1)
	s_mul_hi_u32 s3, s8, s3
	s_mul_i32 s7, s3, s16
	s_delay_alu instid0(SALU_CYCLE_1)
	s_sub_co_i32 s7, s8, s7
	s_add_co_i32 s8, s3, 1
	s_sub_co_i32 s9, s7, s16
	s_cmp_ge_u32 s7, s16
	s_cselect_b32 s3, s8, s3
	s_cselect_b32 s7, s9, s7
	s_add_co_i32 s8, s3, 1
	s_cmp_ge_u32 s7, s16
	s_cselect_b32 s20, s8, s3
.LBB39_3:
	s_add_co_i32 s8, s2, 1
	s_delay_alu instid0(SALU_CYCLE_1) | instskip(NEXT) | instid1(SALU_CYCLE_1)
	s_ashr_i32 s9, s8, 31
	s_mul_u64 s[8:9], s[18:19], s[8:9]
	s_delay_alu instid0(SALU_CYCLE_1) | instskip(NEXT) | instid1(SALU_CYCLE_1)
	s_and_b64 s[10:11], s[8:9], 0xffffffff00000000
	s_cmp_lg_u64 s[10:11], 0
	s_cbranch_scc0 .LBB39_22
; %bb.4:
	s_add_nc_u64 s[10:11], s[16:17], 0
	s_delay_alu instid0(SALU_CYCLE_1) | instskip(SKIP_4) | instid1(SALU_CYCLE_2)
	s_xor_b64 s[12:13], s[10:11], 0
	s_mov_b32 s11, 0
	s_cvt_f32_u32 s3, s12
	s_cvt_f32_u32 s7, s13
	s_sub_nc_u64 s[24:25], 0, s[12:13]
	s_fmamk_f32 s3, s7, 0x4f800000, s3
	s_delay_alu instid0(SALU_CYCLE_3) | instskip(NEXT) | instid1(TRANS32_DEP_1)
	v_s_rcp_f32 s3, s3
	s_mul_f32 s3, s3, 0x5f7ffffc
	s_delay_alu instid0(SALU_CYCLE_3) | instskip(NEXT) | instid1(SALU_CYCLE_3)
	s_mul_f32 s7, s3, 0x2f800000
	s_trunc_f32 s7, s7
	s_delay_alu instid0(SALU_CYCLE_3) | instskip(SKIP_1) | instid1(SALU_CYCLE_2)
	s_fmamk_f32 s3, s7, 0xcf800000, s3
	s_cvt_u32_f32 s23, s7
	s_cvt_u32_f32 s22, s3
	s_delay_alu instid0(SALU_CYCLE_3) | instskip(NEXT) | instid1(SALU_CYCLE_1)
	s_mul_u64 s[26:27], s[24:25], s[22:23]
	s_mul_hi_u32 s29, s22, s27
	s_mul_i32 s28, s22, s27
	s_mul_hi_u32 s10, s22, s26
	s_mul_i32 s7, s23, s26
	s_add_nc_u64 s[28:29], s[10:11], s[28:29]
	s_mul_hi_u32 s3, s23, s26
	s_mul_hi_u32 s14, s23, s27
	s_add_co_u32 s7, s28, s7
	s_add_co_ci_u32 s10, s29, s3
	s_mul_i32 s26, s23, s27
	s_add_co_ci_u32 s27, s14, 0
	s_delay_alu instid0(SALU_CYCLE_1) | instskip(NEXT) | instid1(SALU_CYCLE_1)
	s_add_nc_u64 s[26:27], s[10:11], s[26:27]
	s_add_co_u32 s22, s22, s26
	s_cselect_b32 s3, -1, 0
	s_delay_alu instid0(SALU_CYCLE_1) | instskip(SKIP_1) | instid1(SALU_CYCLE_1)
	s_cmp_lg_u32 s3, 0
	s_add_co_ci_u32 s23, s23, s27
	s_mul_u64 s[24:25], s[24:25], s[22:23]
	s_delay_alu instid0(SALU_CYCLE_1)
	s_mul_hi_u32 s27, s22, s25
	s_mul_i32 s26, s22, s25
	s_mul_hi_u32 s10, s22, s24
	s_mul_i32 s7, s23, s24
	s_add_nc_u64 s[26:27], s[10:11], s[26:27]
	s_mul_hi_u32 s3, s23, s24
	s_mul_hi_u32 s14, s23, s25
	s_add_co_u32 s7, s26, s7
	s_add_co_ci_u32 s10, s27, s3
	s_mul_i32 s24, s23, s25
	s_add_co_ci_u32 s25, s14, 0
	s_delay_alu instid0(SALU_CYCLE_1) | instskip(NEXT) | instid1(SALU_CYCLE_1)
	s_add_nc_u64 s[24:25], s[10:11], s[24:25]
	s_add_co_u32 s3, s22, s24
	s_cselect_b32 s7, -1, 0
	s_delay_alu instid0(SALU_CYCLE_1) | instskip(SKIP_2) | instid1(SALU_CYCLE_1)
	s_cmp_lg_u32 s7, 0
	s_add_co_ci_u32 s7, s23, s25
	s_ashr_i32 s22, s9, 31
	s_mov_b32 s23, s22
	s_delay_alu instid0(SALU_CYCLE_1) | instskip(NEXT) | instid1(SALU_CYCLE_1)
	s_add_nc_u64 s[24:25], s[8:9], s[22:23]
	s_xor_b64 s[24:25], s[24:25], s[22:23]
	s_delay_alu instid0(SALU_CYCLE_1)
	s_mul_hi_u32 s27, s24, s7
	s_mul_i32 s26, s24, s7
	s_mul_hi_u32 s10, s24, s3
	s_mul_hi_u32 s14, s25, s3
	s_mul_i32 s3, s25, s3
	s_add_nc_u64 s[26:27], s[10:11], s[26:27]
	s_mul_hi_u32 s9, s25, s7
	s_add_co_u32 s3, s26, s3
	s_add_co_ci_u32 s10, s27, s14
	s_mul_i32 s28, s25, s7
	s_add_co_ci_u32 s29, s9, 0
	s_delay_alu instid0(SALU_CYCLE_1) | instskip(NEXT) | instid1(SALU_CYCLE_1)
	s_add_nc_u64 s[26:27], s[10:11], s[28:29]
	s_and_b64 s[28:29], s[26:27], 0xffffffff00000000
	s_delay_alu instid0(SALU_CYCLE_1) | instskip(NEXT) | instid1(SALU_CYCLE_1)
	s_or_b32 s28, s28, s26
	s_mul_u64 s[26:27], s[12:13], s[28:29]
	s_add_nc_u64 s[30:31], s[28:29], 1
	s_sub_co_u32 s3, s24, s26
	s_cselect_b32 s7, -1, 0
	s_sub_co_i32 s9, s25, s27
	s_cmp_lg_u32 s7, 0
	s_add_nc_u64 s[34:35], s[28:29], 2
	s_sub_co_ci_u32 s9, s9, s13
	s_sub_co_u32 s10, s3, s12
	s_cselect_b32 s14, -1, 0
	s_delay_alu instid0(SALU_CYCLE_1) | instskip(SKIP_1) | instid1(SALU_CYCLE_1)
	s_cmp_lg_u32 s14, 0
	s_sub_co_ci_u32 s9, s9, 0
	s_cmp_ge_u32 s9, s13
	s_cselect_b32 s14, -1, 0
	s_cmp_ge_u32 s10, s12
	s_cselect_b32 s10, -1, 0
	s_cmp_eq_u32 s9, s13
	s_cselect_b32 s9, s10, s14
	s_delay_alu instid0(SALU_CYCLE_1) | instskip(SKIP_4) | instid1(SALU_CYCLE_1)
	s_cmp_lg_u32 s9, 0
	s_cselect_b32 s9, s34, s30
	s_cselect_b32 s10, s35, s31
	s_cmp_lg_u32 s7, 0
	s_sub_co_ci_u32 s7, s25, s27
	s_cmp_ge_u32 s7, s13
	s_cselect_b32 s14, -1, 0
	s_cmp_ge_u32 s3, s12
	s_cselect_b32 s3, -1, 0
	s_cmp_eq_u32 s7, s13
	s_cselect_b32 s3, s3, s14
	s_delay_alu instid0(SALU_CYCLE_1) | instskip(SKIP_3) | instid1(SALU_CYCLE_1)
	s_cmp_lg_u32 s3, 0
	s_cselect_b32 s13, s10, s29
	s_cselect_b32 s12, s9, s28
	s_xor_b64 s[22:23], s[22:23], 0
	s_xor_b64 s[12:13], s[12:13], s[22:23]
	s_delay_alu instid0(SALU_CYCLE_1)
	s_sub_nc_u64 s[24:25], s[12:13], s[22:23]
	s_load_b96 s[12:14], s[0:1], 0x44
	s_cbranch_execnz .LBB39_6
.LBB39_5:
	v_cvt_f32_u32_e32 v1, s16
	s_sub_co_i32 s7, 0, s16
	s_delay_alu instid0(VALU_DEP_1) | instskip(SKIP_1) | instid1(TRANS32_DEP_1)
	v_rcp_iflag_f32_e32 v1, v1
	v_nop
	v_mul_f32_e32 v1, 0x4f7ffffe, v1
	s_delay_alu instid0(VALU_DEP_1) | instskip(NEXT) | instid1(VALU_DEP_1)
	v_cvt_u32_f32_e32 v1, v1
	v_readfirstlane_b32 s3, v1
	s_mul_i32 s7, s7, s3
	s_delay_alu instid0(SALU_CYCLE_1) | instskip(NEXT) | instid1(SALU_CYCLE_1)
	s_mul_hi_u32 s7, s3, s7
	s_add_co_i32 s3, s3, s7
	s_delay_alu instid0(SALU_CYCLE_1) | instskip(NEXT) | instid1(SALU_CYCLE_1)
	s_mul_hi_u32 s3, s8, s3
	s_mul_i32 s7, s3, s16
	s_delay_alu instid0(SALU_CYCLE_1)
	s_sub_co_i32 s7, s8, s7
	s_add_co_i32 s8, s3, 1
	s_sub_co_i32 s9, s7, s16
	s_cmp_ge_u32 s7, s16
	s_cselect_b32 s3, s8, s3
	s_cselect_b32 s7, s9, s7
	s_add_co_i32 s8, s3, 1
	s_cmp_ge_u32 s7, s16
	s_cselect_b32 s24, s8, s3
.LBB39_6:
	s_delay_alu instid0(SALU_CYCLE_1)
	s_cmp_eq_u32 s20, s24
	s_mov_b64 s[8:9], 0xffffffff
	s_cselect_b32 s3, -1, 0
	s_and_b64 s[8:9], s[20:21], s[8:9]
	s_mov_b32 s23, 0
	s_wait_kmcnt 0x0
	s_mov_b32 s22, s12
	s_mov_b32 s25, s23
	s_mul_u64 s[10:11], s[8:9], s[22:23]
	s_delay_alu instid0(SALU_CYCLE_1) | instskip(SKIP_2) | instid1(SALU_CYCLE_1)
	s_add_co_i32 s7, s11, s20
	s_mul_u64 s[10:11], s[24:25], s[22:23]
	s_lshr_b32 s12, s7, s13
	s_mul_i32 s7, s12, s14
	s_delay_alu instid0(SALU_CYCLE_1) | instskip(SKIP_2) | instid1(SALU_CYCLE_1)
	s_cmp_eq_u32 s7, s20
	s_cselect_b32 s7, -1, 0
	s_add_co_i32 s10, s11, s24
	s_lshr_b32 s10, s10, s13
	s_delay_alu instid0(SALU_CYCLE_1)
	s_cmp_eq_u32 s12, s10
	s_mul_i32 s10, s10, s14
	s_cselect_b32 s11, -1, 0
	s_cmp_lg_u32 s10, s24
	s_cselect_b32 s10, -1, 0
	s_or_b32 s3, s3, s7
	s_and_b32 s10, s11, s10
	s_delay_alu instid0(SALU_CYCLE_1) | instskip(NEXT) | instid1(SALU_CYCLE_1)
	s_or_b32 s3, s3, s10
	s_and_b32 vcc_lo, exec_lo, s3
	s_cbranch_vccnz .LBB39_24
; %bb.7:
	s_load_b256 s[24:31], s[0:1], 0x20
	s_bfe_u32 s7, ttmp6, 0x40014
	s_bfe_u32 s33, ttmp6, 0x40010
	s_lshr_b32 s3, ttmp7, 16
	s_add_co_i32 s7, s7, 1
	s_and_b32 s21, ttmp7, 0xffff
	s_add_co_i32 s33, s33, 1
	s_bfe_u32 s10, ttmp6, 0x40008
	s_mul_i32 s7, s3, s7
	s_bfe_u32 s34, ttmp6, 0x40004
	s_mul_i32 s33, s21, s33
	s_mov_b32 s11, s23
	s_add_co_i32 s35, s10, s7
	s_add_co_i32 s34, s34, s33
	s_cmp_eq_u32 s15, 0
	s_cselect_b32 s7, s21, s34
	s_cselect_b32 s3, s3, s35
	s_wait_kmcnt 0x0
	s_mov_b32 s10, s24
	s_delay_alu instid0(SALU_CYCLE_1) | instskip(NEXT) | instid1(SALU_CYCLE_1)
	s_mul_u64 s[8:9], s[8:9], s[10:11]
	s_add_co_i32 s8, s9, s20
	s_delay_alu instid0(SALU_CYCLE_1) | instskip(SKIP_2) | instid1(SALU_CYCLE_1)
	s_lshr_b32 s15, s8, s25
	s_load_b32 s8, s[0:1], 0x40
	s_mul_i32 s9, s15, s26
	s_sub_co_i32 s9, s20, s9
	s_delay_alu instid0(SALU_CYCLE_1) | instskip(NEXT) | instid1(SALU_CYCLE_1)
	s_mul_hi_u32 s10, s9, s27
	s_add_co_i32 s10, s9, s10
	s_delay_alu instid0(SALU_CYCLE_1) | instskip(NEXT) | instid1(SALU_CYCLE_1)
	s_lshr_b32 s21, s10, s28
	s_mul_i32 s10, s21, s29
	s_delay_alu instid0(SALU_CYCLE_1) | instskip(NEXT) | instid1(SALU_CYCLE_1)
	s_sub_co_i32 s10, s9, s10
	s_mul_hi_u32 s9, s10, s30
	s_delay_alu instid0(SALU_CYCLE_1) | instskip(NEXT) | instid1(SALU_CYCLE_1)
	s_add_co_i32 s9, s10, s9
	s_lshr_b32 s25, s9, s31
	s_mov_b32 s9, s23
	s_wait_kmcnt 0x0
	s_mul_i32 s8, s25, s8
	s_lshl_b32 s25, s25, 1
	s_sub_co_i32 s8, s10, s8
	s_delay_alu instid0(SALU_CYCLE_1) | instskip(NEXT) | instid1(SALU_CYCLE_1)
	s_mul_u64 s[10:11], s[8:9], s[22:23]
	s_add_co_i32 s8, s8, s11
	s_delay_alu instid0(SALU_CYCLE_1) | instskip(NEXT) | instid1(SALU_CYCLE_1)
	s_lshr_b32 s24, s8, s13
	s_lshl_b32 s8, s24, 4
	s_delay_alu instid0(SALU_CYCLE_1) | instskip(NEXT) | instid1(SALU_CYCLE_1)
	s_add_co_i32 s8, s8, s7
	s_cmp_lt_i32 s8, s4
	s_cselect_b32 s8, -1, 0
	s_add_co_i32 s25, s25, s3
	s_delay_alu instid0(SALU_CYCLE_1) | instskip(SKIP_1) | instid1(SALU_CYCLE_1)
	s_cmp_lt_i32 s25, s6
	s_cselect_b32 s9, -1, 0
	s_and_b32 s8, s8, s9
	s_delay_alu instid0(SALU_CYCLE_1)
	s_and_not1_b32 vcc_lo, exec_lo, s8
	s_cbranch_vccnz .LBB39_24
; %bb.8:
	s_load_b128 s[8:11], s[0:1], 0x0
	s_wait_xcnt 0x0
	s_mul_i32 s0, s15, s4
	s_mul_i32 s21, s21, s6
	s_add_co_i32 s0, s0, s7
	s_add_co_i32 s1, s25, s21
	s_mul_i32 s0, s0, s5
	s_mul_i32 s4, s5, s24
	s_add_co_i32 s0, s1, s0
	s_mulk_i32 s4, 0x480
	s_mulk_i32 s0, 0x48
	s_lshl_b32 s15, s7, 1
	v_add3_u32 v2, s4, s0, v0
	s_add_nc_u64 s[0:1], s[16:17], 0
	s_add_co_i32 s15, s15, s3
	s_xor_b64 s[6:7], s[0:1], 0
	s_lshl_b32 s0, s2, 5
	s_cvt_f32_u32 s3, s6
	s_cvt_f32_u32 s4, s7
	s_add_co_i32 s0, s15, s0
	v_cvt_f32_u32_e32 v4, s16
	s_wait_kmcnt 0x0
	global_load_b32 v1, v2, s[8:9] scale_offset
	s_fmamk_f32 s3, s4, 0x4f800000, s3
	s_ashr_i32 s1, s0, 31
	s_lshl_b32 s24, s16, 7
	s_lshl_b64 s[0:1], s[0:1], 3
	v_s_rcp_f32 s3, s3
	s_add_nc_u64 s[0:1], s[10:11], s[0:1]
	v_rcp_iflag_f32_e32 v4, v4
	s_load_b64 s[28:29], s[0:1], 0x0
	s_mov_b32 s25, 0
	v_mad_u32 v6, 0x48, s15, v0
	v_ashrrev_i32_e32 v3, 31, v2
	s_wait_xcnt 0x0
	s_lshl_b64 s[0:1], s[24:25], 2
	s_mul_f32 s3, s3, 0x5f7ffffc
	v_mul_f32_e32 v4, 0x4f7ffffe, v4
	s_add_nc_u64 s[26:27], s[10:11], s[0:1]
	v_lshl_add_u64 v[2:3], v[2:3], 2, s[8:9]
	s_mul_f32 s4, s3, 0x2f800000
	s_mov_b64 s[8:9], 0xffffffff
	v_cvt_u32_f32_e32 v7, v4
	s_add_co_i32 s36, s2, -1
	s_trunc_f32 s4, s4
	s_sub_nc_u64 s[34:35], 0, s[6:7]
	s_delay_alu instid0(SALU_CYCLE_2)
	s_fmamk_f32 s0, s4, 0xcf800000, s3
	s_cvt_u32_f32 s31, s4
	s_wait_kmcnt 0x0
	v_mov_b32_e32 v0, s29
	s_cvt_u32_f32 s30, s0
.LBB39_9:                               ; =>This Inner Loop Header: Depth=1
	s_ashr_i32 s37, s36, 31
                                        ; implicit-def: $sgpr40_sgpr41
	s_delay_alu instid0(SALU_CYCLE_1) | instskip(NEXT) | instid1(SALU_CYCLE_1)
	s_mul_u64 s[0:1], s[36:37], s[18:19]
	s_and_b64 s[2:3], s[0:1], 0xffffffff00000000
	s_delay_alu instid0(SALU_CYCLE_1)
	s_cmp_lg_u64 s[2:3], 0
	s_mov_b32 s2, -1
	s_cbranch_scc0 .LBB39_11
; %bb.10:                               ;   in Loop: Header=BB39_9 Depth=1
	s_mul_u64 s[2:3], s[34:35], s[30:31]
	s_delay_alu instid0(SALU_CYCLE_1)
	s_mul_hi_u32 s5, s30, s3
	s_mul_i32 s4, s30, s3
	s_mul_hi_u32 s24, s30, s2
	s_mul_hi_u32 s17, s31, s2
	s_add_nc_u64 s[4:5], s[24:25], s[4:5]
	s_mul_i32 s2, s31, s2
	s_mul_hi_u32 s21, s31, s3
	s_add_co_u32 s2, s4, s2
	s_add_co_ci_u32 s24, s5, s17
	s_add_co_ci_u32 s5, s21, 0
	s_mul_i32 s4, s31, s3
	s_delay_alu instid0(SALU_CYCLE_1) | instskip(NEXT) | instid1(SALU_CYCLE_1)
	s_add_nc_u64 s[2:3], s[24:25], s[4:5]
	s_add_co_u32 s2, s30, s2
	s_cselect_b32 s4, -1, 0
	s_delay_alu instid0(SALU_CYCLE_1) | instskip(SKIP_1) | instid1(SALU_CYCLE_1)
	s_cmp_lg_u32 s4, 0
	s_add_co_ci_u32 s3, s31, s3
	s_mul_u64 s[4:5], s[34:35], s[2:3]
	s_delay_alu instid0(SALU_CYCLE_1)
	s_mul_hi_u32 s39, s2, s5
	s_mul_i32 s38, s2, s5
	s_mul_hi_u32 s24, s2, s4
	s_mul_hi_u32 s17, s3, s4
	s_mul_i32 s4, s3, s4
	s_add_nc_u64 s[38:39], s[24:25], s[38:39]
	s_mul_hi_u32 s21, s3, s5
	s_add_co_u32 s4, s38, s4
	s_add_co_ci_u32 s24, s39, s17
	s_mul_i32 s4, s3, s5
	s_add_co_ci_u32 s5, s21, 0
	s_delay_alu instid0(SALU_CYCLE_1) | instskip(NEXT) | instid1(SALU_CYCLE_1)
	s_add_nc_u64 s[4:5], s[24:25], s[4:5]
	s_add_co_u32 s17, s2, s4
	s_cselect_b32 s2, -1, 0
	s_delay_alu instid0(SALU_CYCLE_1) | instskip(SKIP_2) | instid1(SALU_CYCLE_1)
	s_cmp_lg_u32 s2, 0
	s_add_co_ci_u32 s21, s3, s5
	s_ashr_i32 s2, s1, 31
	s_mov_b32 s3, s2
	s_delay_alu instid0(SALU_CYCLE_1) | instskip(NEXT) | instid1(SALU_CYCLE_1)
	s_add_nc_u64 s[4:5], s[0:1], s[2:3]
	s_xor_b64 s[4:5], s[4:5], s[2:3]
	s_delay_alu instid0(SALU_CYCLE_1)
	s_mul_hi_u32 s39, s4, s21
	s_mul_i32 s38, s4, s21
	s_mul_hi_u32 s24, s4, s17
	s_mul_hi_u32 s29, s5, s17
	s_mul_i32 s17, s5, s17
	s_add_nc_u64 s[38:39], s[24:25], s[38:39]
	s_mul_hi_u32 s1, s5, s21
	s_add_co_u32 s17, s38, s17
	s_add_co_ci_u32 s24, s39, s29
	s_mul_i32 s40, s5, s21
	s_add_co_ci_u32 s41, s1, 0
	s_delay_alu instid0(SALU_CYCLE_1) | instskip(NEXT) | instid1(SALU_CYCLE_1)
	s_add_nc_u64 s[38:39], s[24:25], s[40:41]
	s_and_b64 s[40:41], s[38:39], 0xffffffff00000000
	s_delay_alu instid0(SALU_CYCLE_1) | instskip(NEXT) | instid1(SALU_CYCLE_1)
	s_or_b32 s40, s40, s38
	s_mul_u64 s[38:39], s[6:7], s[40:41]
	s_add_nc_u64 s[42:43], s[40:41], 1
	s_sub_co_u32 s1, s4, s38
	s_cselect_b32 s4, -1, 0
	s_sub_co_i32 s17, s5, s39
	s_cmp_lg_u32 s4, 0
	s_add_nc_u64 s[44:45], s[40:41], 2
	s_sub_co_ci_u32 s17, s17, s7
	s_sub_co_u32 s21, s1, s6
	s_cselect_b32 s24, -1, 0
	s_delay_alu instid0(SALU_CYCLE_1) | instskip(SKIP_1) | instid1(SALU_CYCLE_1)
	s_cmp_lg_u32 s24, 0
	s_sub_co_ci_u32 s17, s17, 0
	s_cmp_ge_u32 s17, s7
	s_cselect_b32 s24, -1, 0
	s_cmp_ge_u32 s21, s6
	s_cselect_b32 s21, -1, 0
	s_cmp_eq_u32 s17, s7
	s_cselect_b32 s17, s21, s24
	s_delay_alu instid0(SALU_CYCLE_1) | instskip(SKIP_4) | instid1(SALU_CYCLE_1)
	s_cmp_lg_u32 s17, 0
	s_cselect_b32 s17, s44, s42
	s_cselect_b32 s21, s45, s43
	s_cmp_lg_u32 s4, 0
	s_sub_co_ci_u32 s4, s5, s39
	s_cmp_ge_u32 s4, s7
	s_cselect_b32 s5, -1, 0
	s_cmp_ge_u32 s1, s6
	s_cselect_b32 s1, -1, 0
	s_cmp_eq_u32 s4, s7
	s_cselect_b32 s1, s1, s5
	s_delay_alu instid0(SALU_CYCLE_1) | instskip(SKIP_3) | instid1(SALU_CYCLE_1)
	s_cmp_lg_u32 s1, 0
	s_cselect_b32 s5, s21, s41
	s_cselect_b32 s4, s17, s40
	s_xor_b64 s[2:3], s[2:3], 0
	s_xor_b64 s[4:5], s[4:5], s[2:3]
	s_delay_alu instid0(SALU_CYCLE_1)
	s_sub_nc_u64 s[40:41], s[4:5], s[2:3]
	s_mov_b32 s2, 0
.LBB39_11:                              ;   in Loop: Header=BB39_9 Depth=1
	s_delay_alu instid0(SALU_CYCLE_1)
	s_and_not1_b32 vcc_lo, exec_lo, s2
	s_cbranch_vccnz .LBB39_13
; %bb.12:                               ;   in Loop: Header=BB39_9 Depth=1
	v_readfirstlane_b32 s1, v7
	s_sub_co_i32 s2, 0, s16
	s_delay_alu instid0(SALU_CYCLE_1) | instskip(NEXT) | instid1(SALU_CYCLE_1)
	s_mul_i32 s2, s2, s1
	s_mul_hi_u32 s2, s1, s2
	s_delay_alu instid0(SALU_CYCLE_1) | instskip(NEXT) | instid1(SALU_CYCLE_1)
	s_add_co_i32 s1, s1, s2
	s_mul_hi_u32 s1, s0, s1
	s_delay_alu instid0(SALU_CYCLE_1) | instskip(NEXT) | instid1(SALU_CYCLE_1)
	s_mul_i32 s2, s1, s16
	s_sub_co_i32 s0, s0, s2
	s_add_co_i32 s2, s1, 1
	s_sub_co_i32 s3, s0, s16
	s_cmp_ge_u32 s0, s16
	s_cselect_b32 s1, s2, s1
	s_cselect_b32 s0, s3, s0
	s_add_co_i32 s2, s1, 1
	s_cmp_ge_u32 s0, s16
	s_cselect_b32 s24, s2, s1
	s_delay_alu instid0(SALU_CYCLE_1)
	s_mov_b64 s[40:41], s[24:25]
.LBB39_13:                              ;   in Loop: Header=BB39_9 Depth=1
	s_delay_alu instid0(SALU_CYCLE_1)
	s_cmp_lg_u32 s20, s40
	s_mov_b32 s0, -1
                                        ; implicit-def: $vgpr4_vgpr5
                                        ; implicit-def: $sgpr24
                                        ; implicit-def: $sgpr17
                                        ; implicit-def: $sgpr21
                                        ; implicit-def: $sgpr29
	s_cbranch_scc0 .LBB39_18
; %bb.14:                               ;   in Loop: Header=BB39_9 Depth=1
	s_add_co_i32 s0, s36, s16
	v_max_num_f32_e64 v4, s28, s28
	s_lshl_b32 s0, s0, 5
	s_mov_b32 s29, s20
	s_add_co_i32 s0, s0, s15
	s_load_b64 s[38:39], s[10:11], s0 offset:0x0 scale_offset
	s_wait_xcnt 0x0
	v_readfirstlane_b32 s0, v4
	s_wait_kmcnt 0x0
	v_max_num_f32_e64 v5, s38, s38
	s_delay_alu instid0(VALU_DEP_1) | instskip(SKIP_1) | instid1(SALU_CYCLE_3)
	v_readfirstlane_b32 s1, v5
	s_max_num_f32 s17, s0, s1
	s_sub_f32 s33, s28, s17
	s_sub_f32 s37, s38, s17
	s_delay_alu instid0(SALU_CYCLE_2)
	s_cmp_nlt_f32 s33, 0xc2ce8ed0
	s_cselect_b32 s1, -1, 0
	s_cmp_ngt_f32 s33, 0x42b17218
	s_cselect_b32 s2, -1, 0
	s_cmp_ge_f32 s33, 0xc1a00000
	s_cselect_b32 s0, -1, 0
	s_cmp_nlt_f32 s37, 0xc2ce8ed0
	s_cselect_b32 s3, -1, 0
	s_cmp_ngt_f32 s37, 0x42b17218
	s_cselect_b32 s4, -1, 0
	s_cmp_ge_f32 s37, 0xc1a00000
	s_cselect_b32 s5, -1, 0
	s_and_b64 s[42:43], s[40:41], s[8:9]
	s_delay_alu instid0(SALU_CYCLE_1) | instskip(NEXT) | instid1(SALU_CYCLE_1)
	s_mul_u64 s[42:43], s[42:43], s[22:23]
	s_add_co_i32 s21, s43, s40
	s_delay_alu instid0(SALU_CYCLE_1) | instskip(NEXT) | instid1(SALU_CYCLE_1)
	s_lshr_b32 s21, s21, s13
	s_mul_i32 s24, s21, s14
	s_delay_alu instid0(SALU_CYCLE_1) | instskip(SKIP_3) | instid1(SALU_CYCLE_1)
	s_cmp_eq_u32 s24, s40
	s_cselect_b32 s24, -1, 0
	s_cmp_lt_u32 s21, s12
	s_cselect_b32 s21, -1, 0
	s_or_b32 s21, s21, s24
	s_mov_b32 s24, -1
	s_and_b32 vcc_lo, exec_lo, s21
	s_mov_b32 s21, s36
	s_cbranch_vccnz .LBB39_16
; %bb.15:                               ;   in Loop: Header=BB39_9 Depth=1
	s_add_co_i32 s21, s36, -1
	s_mov_b32 s24, 0
	s_mov_b32 s29, s40
.LBB39_16:                              ;   in Loop: Header=BB39_9 Depth=1
	v_mad_u32 v4, 0x900, s36, v6
	s_mul_f32 s40, s33, 0x3fb8aa3b
	s_mul_f32 s38, s37, 0x3fb8aa3b
	s_delay_alu instid0(SALU_CYCLE_2)
	s_xor_b32 s42, s40, 0x80000000
	s_rndne_f32 s44, s40
	s_fmamk_f32 s42, s33, 0x3fb8aa3b, s42
	s_xor_b32 s41, s38, 0x80000000
	s_rndne_f32 s43, s38
	s_sub_f32 s40, s40, s44
	global_load_b32 v5, v4, s[26:27] scale_offset
	s_fmamk_f32 s33, s33, 0x32a5705f, s42
	s_fmamk_f32 s41, s37, 0x3fb8aa3b, s41
	s_sub_f32 s38, s38, s43
	s_delay_alu instid0(SALU_CYCLE_1) | instskip(NEXT) | instid1(SALU_CYCLE_1)
	s_add_f32 s33, s40, s33
	s_fmamk_f32 s37, s37, 0x32a5705f, s41
	s_cvt_i32_f32 s40, s44
	s_delay_alu instid0(SALU_CYCLE_1) | instskip(NEXT) | instid1(SALU_CYCLE_1)
	v_s_exp_f32 s33, s33
	s_add_f32 s37, s38, s37
	s_cvt_i32_f32 s38, s43
	s_delay_alu instid0(SALU_CYCLE_2) | instskip(NEXT) | instid1(TRANS32_DEP_2)
	v_s_exp_f32 s37, s37
	v_ldexp_f32 v8, s33, s40
	s_wait_xcnt 0x0
	s_delay_alu instid0(TRANS32_DEP_1) | instskip(NEXT) | instid1(VALU_DEP_2)
	v_ldexp_f32 v4, s37, s38
	v_cndmask_b32_e64 v8, 0, v8, s1
	s_delay_alu instid0(VALU_DEP_1) | instskip(NEXT) | instid1(VALU_DEP_1)
	v_cndmask_b32_e64 v9, 0x7f800000, v8, s2
	v_dual_cndmask_b32 v4, 0, v4, s3 :: v_dual_cndmask_b32 v10, 0, v9, s0
	s_delay_alu instid0(VALU_DEP_1) | instskip(NEXT) | instid1(VALU_DEP_1)
	v_cndmask_b32_e64 v4, 0x7f800000, v4, s4
	v_dual_cndmask_b32 v8, 0, v4, s5 :: v_dual_mov_b32 v4, s39
	s_wait_loadcnt 0x0
	s_delay_alu instid0(VALU_DEP_1) | instskip(NEXT) | instid1(VALU_DEP_1)
	v_pk_mul_f32 v[4:5], v[4:5], v[8:9] op_sel_hi:[1,0]
	v_pk_fma_f32 v[4:5], v[0:1], v[10:11], v[4:5] op_sel_hi:[1,0,1]
	s_cbranch_execz .LBB39_19
.LBB39_17:                              ;   in Loop: Header=BB39_9 Depth=1
	s_and_not1_b32 vcc_lo, exec_lo, s24
	s_cbranch_vccnz .LBB39_20
	s_branch .LBB39_23
.LBB39_18:                              ;   in Loop: Header=BB39_9 Depth=1
	s_and_not1_b32 vcc_lo, exec_lo, s0
	s_cbranch_vccnz .LBB39_17
.LBB39_19:                              ;   in Loop: Header=BB39_9 Depth=1
	s_wait_loadcnt 0x0
	v_mov_b64_e32 v[4:5], v[0:1]
	s_add_co_i32 s21, s36, -1
	s_mov_b32 s29, s20
	s_mov_b32 s17, s28
	s_cbranch_execz .LBB39_23
.LBB39_20:                              ;   in Loop: Header=BB39_9 Depth=1
	s_wait_loadcnt 0x0
	s_delay_alu instid0(VALU_DEP_1)
	v_mov_b64_e32 v[0:1], v[4:5]
	s_mov_b32 s20, s29
	s_mov_b32 s36, s21
	;; [unrolled: 1-line block ×3, first 2 shown]
	s_branch .LBB39_9
.LBB39_21:
                                        ; implicit-def: $sgpr20_sgpr21
	s_branch .LBB39_2
.LBB39_22:
                                        ; implicit-def: $sgpr24_sgpr25
	s_load_b96 s[12:14], s[0:1], 0x44
	s_branch .LBB39_5
.LBB39_23:
	s_delay_alu instid0(VALU_DEP_1) | instskip(SKIP_1) | instid1(VALU_DEP_1)
	v_div_scale_f32 v0, null, v4, v4, v5
	s_wait_loadcnt 0x0
	v_rcp_f32_e32 v1, v0
	v_nop
	s_delay_alu instid0(TRANS32_DEP_1) | instskip(NEXT) | instid1(VALU_DEP_1)
	v_fma_f32 v6, -v0, v1, 1.0
	v_fmac_f32_e32 v1, v6, v1
	v_div_scale_f32 v6, vcc_lo, v5, v4, v5
	s_delay_alu instid0(VALU_DEP_1) | instskip(NEXT) | instid1(VALU_DEP_1)
	v_mul_f32_e32 v7, v6, v1
	v_fma_f32 v8, -v0, v7, v6
	s_delay_alu instid0(VALU_DEP_1) | instskip(NEXT) | instid1(VALU_DEP_1)
	v_fmac_f32_e32 v7, v8, v1
	v_fma_f32 v0, -v0, v7, v6
	s_delay_alu instid0(VALU_DEP_1) | instskip(NEXT) | instid1(VALU_DEP_1)
	v_div_fmas_f32 v0, v0, v1, v7
	v_div_fixup_f32 v0, v0, v4, v5
	global_store_b32 v[2:3], v0, off
.LBB39_24:
	s_endpgm
	.section	.rodata,"a",@progbits
	.p2align	6, 0x0
	.amdhsa_kernel _ZL33flash_attn_stream_k_fixup_generalILi72ELi16ELi2EEvPfPK15HIP_vector_typeIfLj2EEiiiiS1_IjLj3EES5_S5_S5_
		.amdhsa_group_segment_fixed_size 0
		.amdhsa_private_segment_fixed_size 0
		.amdhsa_kernarg_size 336
		.amdhsa_user_sgpr_count 2
		.amdhsa_user_sgpr_dispatch_ptr 0
		.amdhsa_user_sgpr_queue_ptr 0
		.amdhsa_user_sgpr_kernarg_segment_ptr 1
		.amdhsa_user_sgpr_dispatch_id 0
		.amdhsa_user_sgpr_kernarg_preload_length 0
		.amdhsa_user_sgpr_kernarg_preload_offset 0
		.amdhsa_user_sgpr_private_segment_size 0
		.amdhsa_wavefront_size32 1
		.amdhsa_uses_dynamic_stack 0
		.amdhsa_enable_private_segment 0
		.amdhsa_system_sgpr_workgroup_id_x 1
		.amdhsa_system_sgpr_workgroup_id_y 1
		.amdhsa_system_sgpr_workgroup_id_z 1
		.amdhsa_system_sgpr_workgroup_info 0
		.amdhsa_system_vgpr_workitem_id 0
		.amdhsa_next_free_vgpr 12
		.amdhsa_next_free_sgpr 46
		.amdhsa_named_barrier_count 0
		.amdhsa_reserve_vcc 1
		.amdhsa_float_round_mode_32 0
		.amdhsa_float_round_mode_16_64 0
		.amdhsa_float_denorm_mode_32 3
		.amdhsa_float_denorm_mode_16_64 3
		.amdhsa_fp16_overflow 0
		.amdhsa_memory_ordered 1
		.amdhsa_forward_progress 1
		.amdhsa_inst_pref_size 27
		.amdhsa_round_robin_scheduling 0
		.amdhsa_exception_fp_ieee_invalid_op 0
		.amdhsa_exception_fp_denorm_src 0
		.amdhsa_exception_fp_ieee_div_zero 0
		.amdhsa_exception_fp_ieee_overflow 0
		.amdhsa_exception_fp_ieee_underflow 0
		.amdhsa_exception_fp_ieee_inexact 0
		.amdhsa_exception_int_div_zero 0
	.end_amdhsa_kernel
	.section	.text._ZL33flash_attn_stream_k_fixup_generalILi72ELi16ELi2EEvPfPK15HIP_vector_typeIfLj2EEiiiiS1_IjLj3EES5_S5_S5_,"axG",@progbits,_ZL33flash_attn_stream_k_fixup_generalILi72ELi16ELi2EEvPfPK15HIP_vector_typeIfLj2EEiiiiS1_IjLj3EES5_S5_S5_,comdat
.Lfunc_end39:
	.size	_ZL33flash_attn_stream_k_fixup_generalILi72ELi16ELi2EEvPfPK15HIP_vector_typeIfLj2EEiiiiS1_IjLj3EES5_S5_S5_, .Lfunc_end39-_ZL33flash_attn_stream_k_fixup_generalILi72ELi16ELi2EEvPfPK15HIP_vector_typeIfLj2EEiiiiS1_IjLj3EES5_S5_S5_
                                        ; -- End function
	.set _ZL33flash_attn_stream_k_fixup_generalILi72ELi16ELi2EEvPfPK15HIP_vector_typeIfLj2EEiiiiS1_IjLj3EES5_S5_S5_.num_vgpr, 12
	.set _ZL33flash_attn_stream_k_fixup_generalILi72ELi16ELi2EEvPfPK15HIP_vector_typeIfLj2EEiiiiS1_IjLj3EES5_S5_S5_.num_agpr, 0
	.set _ZL33flash_attn_stream_k_fixup_generalILi72ELi16ELi2EEvPfPK15HIP_vector_typeIfLj2EEiiiiS1_IjLj3EES5_S5_S5_.numbered_sgpr, 46
	.set _ZL33flash_attn_stream_k_fixup_generalILi72ELi16ELi2EEvPfPK15HIP_vector_typeIfLj2EEiiiiS1_IjLj3EES5_S5_S5_.num_named_barrier, 0
	.set _ZL33flash_attn_stream_k_fixup_generalILi72ELi16ELi2EEvPfPK15HIP_vector_typeIfLj2EEiiiiS1_IjLj3EES5_S5_S5_.private_seg_size, 0
	.set _ZL33flash_attn_stream_k_fixup_generalILi72ELi16ELi2EEvPfPK15HIP_vector_typeIfLj2EEiiiiS1_IjLj3EES5_S5_S5_.uses_vcc, 1
	.set _ZL33flash_attn_stream_k_fixup_generalILi72ELi16ELi2EEvPfPK15HIP_vector_typeIfLj2EEiiiiS1_IjLj3EES5_S5_S5_.uses_flat_scratch, 0
	.set _ZL33flash_attn_stream_k_fixup_generalILi72ELi16ELi2EEvPfPK15HIP_vector_typeIfLj2EEiiiiS1_IjLj3EES5_S5_S5_.has_dyn_sized_stack, 0
	.set _ZL33flash_attn_stream_k_fixup_generalILi72ELi16ELi2EEvPfPK15HIP_vector_typeIfLj2EEiiiiS1_IjLj3EES5_S5_S5_.has_recursion, 0
	.set _ZL33flash_attn_stream_k_fixup_generalILi72ELi16ELi2EEvPfPK15HIP_vector_typeIfLj2EEiiiiS1_IjLj3EES5_S5_S5_.has_indirect_call, 0
	.section	.AMDGPU.csdata,"",@progbits
; Kernel info:
; codeLenInByte = 3352
; TotalNumSgprs: 48
; NumVgprs: 12
; ScratchSize: 0
; MemoryBound: 0
; FloatMode: 240
; IeeeMode: 1
; LDSByteSize: 0 bytes/workgroup (compile time only)
; SGPRBlocks: 0
; VGPRBlocks: 0
; NumSGPRsForWavesPerEU: 48
; NumVGPRsForWavesPerEU: 12
; NamedBarCnt: 0
; Occupancy: 16
; WaveLimiterHint : 0
; COMPUTE_PGM_RSRC2:SCRATCH_EN: 0
; COMPUTE_PGM_RSRC2:USER_SGPR: 2
; COMPUTE_PGM_RSRC2:TRAP_HANDLER: 0
; COMPUTE_PGM_RSRC2:TGID_X_EN: 1
; COMPUTE_PGM_RSRC2:TGID_Y_EN: 1
; COMPUTE_PGM_RSRC2:TGID_Z_EN: 1
; COMPUTE_PGM_RSRC2:TIDIG_COMP_CNT: 0
	.section	.text._ZL15flash_attn_tileILi72ELi72ELi8ELi2ELb0EEvPKcS1_S1_S1_S1_PKiPfP15HIP_vector_typeIfLj2EEffffjfiS5_IjLj3EEiiiiiiiiiiiliiliiiiil,"axG",@progbits,_ZL15flash_attn_tileILi72ELi72ELi8ELi2ELb0EEvPKcS1_S1_S1_S1_PKiPfP15HIP_vector_typeIfLj2EEffffjfiS5_IjLj3EEiiiiiiiiiiiliiliiiiil,comdat
	.globl	_ZL15flash_attn_tileILi72ELi72ELi8ELi2ELb0EEvPKcS1_S1_S1_S1_PKiPfP15HIP_vector_typeIfLj2EEffffjfiS5_IjLj3EEiiiiiiiiiiiliiliiiiil ; -- Begin function _ZL15flash_attn_tileILi72ELi72ELi8ELi2ELb0EEvPKcS1_S1_S1_S1_PKiPfP15HIP_vector_typeIfLj2EEffffjfiS5_IjLj3EEiiiiiiiiiiiliiliiiiil
	.p2align	8
	.type	_ZL15flash_attn_tileILi72ELi72ELi8ELi2ELb0EEvPKcS1_S1_S1_S1_PKiPfP15HIP_vector_typeIfLj2EEffffjfiS5_IjLj3EEiiiiiiiiiiiliiliiiiil,@function
_ZL15flash_attn_tileILi72ELi72ELi8ELi2ELb0EEvPKcS1_S1_S1_S1_PKiPfP15HIP_vector_typeIfLj2EEffffjfiS5_IjLj3EEiiiiiiiiiiiliiliiiiil: ; @_ZL15flash_attn_tileILi72ELi72ELi8ELi2ELb0EEvPKcS1_S1_S1_S1_PKiPfP15HIP_vector_typeIfLj2EEffffjfiS5_IjLj3EEiiiiiiiiiiiliiliiiiil
; %bb.0:
	s_clause 0x1
	s_load_b128 s[20:23], s[0:1], 0x5c
	s_load_b64 s[30:31], s[0:1], 0x80
	s_bfe_u32 s5, ttmp6, 0x40014
	s_lshr_b32 s4, ttmp7, 16
	s_add_co_i32 s5, s5, 1
	s_bfe_u32 s6, ttmp6, 0x40008
	s_mul_i32 s5, s4, s5
	s_getreg_b32 s24, hwreg(HW_REG_IB_STS2, 6, 4)
	s_add_co_i32 s6, s6, s5
	s_mov_b32 s37, 0
	s_mov_b64 s[34:35], 0
	s_wait_kmcnt 0x0
	s_lshr_b32 s2, s23, 31
	s_delay_alu instid0(SALU_CYCLE_1) | instskip(NEXT) | instid1(SALU_CYCLE_1)
	s_add_co_i32 s2, s23, s2
	s_ashr_i32 s2, s2, 1
	s_delay_alu instid0(SALU_CYCLE_1) | instskip(SKIP_1) | instid1(SALU_CYCLE_2)
	s_cvt_f32_u32 s3, s2
	s_sub_co_i32 s7, 0, s2
	v_rcp_iflag_f32_e32 v1, s3
	v_nop
	s_delay_alu instid0(TRANS32_DEP_1) | instskip(SKIP_1) | instid1(SALU_CYCLE_3)
	v_readfirstlane_b32 s3, v1
	s_mul_f32 s3, s3, 0x4f7ffffe
	s_cvt_u32_f32 s3, s3
	s_delay_alu instid0(SALU_CYCLE_3) | instskip(NEXT) | instid1(SALU_CYCLE_1)
	s_mul_i32 s7, s7, s3
	s_mul_hi_u32 s7, s3, s7
	s_delay_alu instid0(SALU_CYCLE_1) | instskip(SKIP_2) | instid1(SALU_CYCLE_1)
	s_add_co_i32 s3, s3, s7
	s_cmp_eq_u32 s24, 0
	s_cselect_b32 s4, s4, s6
	s_mul_hi_u32 s3, s4, s3
	s_delay_alu instid0(SALU_CYCLE_1) | instskip(SKIP_2) | instid1(SALU_CYCLE_1)
	s_mul_i32 s5, s3, s2
	s_add_co_i32 s6, s3, 1
	s_sub_co_i32 s5, s4, s5
	s_sub_co_i32 s7, s5, s2
	s_cmp_ge_u32 s5, s2
	s_cselect_b32 s3, s6, s3
	s_cselect_b32 s5, s7, s5
	s_add_co_i32 s6, s3, 1
	s_cmp_ge_u32 s5, s2
	s_cselect_b32 s28, s6, s3
	s_abs_i32 s2, s31
	s_abs_i32 s6, s23
	s_cvt_f32_u32 s3, s2
	s_sub_co_i32 s5, 0, s2
	s_lshl_b32 s25, s4, 1
	s_xor_b32 s4, s23, s31
	v_rcp_iflag_f32_e32 v1, s3
	s_ashr_i32 s26, s4, 31
	v_nop
	s_delay_alu instid0(TRANS32_DEP_1) | instskip(SKIP_1) | instid1(SALU_CYCLE_3)
	v_readfirstlane_b32 s3, v1
	s_mul_f32 s3, s3, 0x4f7ffffe
	s_cvt_u32_f32 s3, s3
	s_delay_alu instid0(SALU_CYCLE_3) | instskip(NEXT) | instid1(SALU_CYCLE_1)
	s_mul_i32 s5, s5, s3
	s_mul_hi_u32 s5, s3, s5
	s_delay_alu instid0(SALU_CYCLE_1) | instskip(NEXT) | instid1(SALU_CYCLE_1)
	s_add_co_i32 s3, s3, s5
	s_mul_hi_u32 s3, s6, s3
	s_delay_alu instid0(SALU_CYCLE_1) | instskip(NEXT) | instid1(SALU_CYCLE_1)
	s_mul_i32 s5, s3, s2
	s_sub_co_i32 s4, s6, s5
	s_add_co_i32 s5, s3, 1
	s_sub_co_i32 s6, s4, s2
	s_cmp_ge_u32 s4, s2
	s_cselect_b32 s3, s5, s3
	s_cselect_b32 s4, s6, s4
	s_add_co_i32 s5, s3, 1
	s_cmp_ge_u32 s4, s2
	s_cselect_b32 s2, s5, s3
	s_load_b512 s[4:19], s[0:1], 0x0
	s_xor_b32 s27, s2, s26
	s_load_b64 s[2:3], s[0:1], 0xb8
	s_sub_co_i32 s29, s27, s26
	s_delay_alu instid0(SALU_CYCLE_1) | instskip(NEXT) | instid1(SALU_CYCLE_1)
	s_abs_i32 s33, s29
	s_cvt_f32_u32 s26, s33
	s_delay_alu instid0(SALU_CYCLE_3) | instskip(SKIP_2) | instid1(TRANS32_DEP_1)
	v_rcp_iflag_f32_e32 v1, s26
	s_mul_i32 s26, s28, s23
	v_nop
	v_readfirstlane_b32 s36, v1
	s_wait_kmcnt 0x0
	s_cmp_eq_u64 s[10:11], 0
	s_cbranch_scc1 .LBB40_2
; %bb.1:
	s_abs_i32 s2, s2
	s_abs_i32 s38, s28
	s_cvt_f32_u32 s27, s2
	s_sub_co_i32 s31, 0, s2
	s_load_b64 s[34:35], s[0:1], 0xc8
	s_delay_alu instid0(SALU_CYCLE_1) | instskip(SKIP_1) | instid1(TRANS32_DEP_1)
	v_rcp_iflag_f32_e32 v1, s27
	v_nop
	v_readfirstlane_b32 s27, v1
	s_mul_f32 s27, s27, 0x4f7ffffe
	s_delay_alu instid0(SALU_CYCLE_3) | instskip(NEXT) | instid1(SALU_CYCLE_3)
	s_cvt_u32_f32 s27, s27
	s_mul_i32 s31, s31, s27
	s_delay_alu instid0(SALU_CYCLE_1) | instskip(NEXT) | instid1(SALU_CYCLE_1)
	s_mul_hi_u32 s31, s27, s31
	s_add_co_i32 s27, s27, s31
	s_ashr_i32 s31, s28, 31
	s_mul_hi_u32 s27, s38, s27
	s_delay_alu instid0(SALU_CYCLE_1) | instskip(NEXT) | instid1(SALU_CYCLE_1)
	s_mul_i32 s27, s27, s2
	s_sub_co_i32 s27, s38, s27
	s_delay_alu instid0(SALU_CYCLE_1) | instskip(SKIP_2) | instid1(SALU_CYCLE_1)
	s_sub_co_i32 s38, s27, s2
	s_cmp_ge_u32 s27, s2
	s_cselect_b32 s27, s38, s27
	s_sub_co_i32 s38, s27, s2
	s_cmp_ge_u32 s27, s2
	s_cselect_b32 s2, s38, s27
	s_delay_alu instid0(SALU_CYCLE_1) | instskip(NEXT) | instid1(SALU_CYCLE_1)
	s_xor_b32 s2, s2, s31
	s_sub_co_i32 s38, s2, s31
	s_delay_alu instid0(SALU_CYCLE_1) | instskip(SKIP_2) | instid1(SALU_CYCLE_1)
	s_ashr_i32 s39, s38, 31
	s_wait_kmcnt 0x0
	s_mul_u64 s[34:35], s[34:35], s[38:39]
	s_add_nc_u64 s[34:35], s[10:11], s[34:35]
.LBB40_2:
	s_bfe_u32 s2, ttmp6, 0x4000c
	s_and_b32 s11, ttmp6, 15
	s_add_co_i32 s2, s2, 1
	s_sub_co_i32 s10, s25, s26
	s_mul_i32 s2, ttmp9, s2
	v_bfe_u32 v2, v0, 10, 10
	s_add_co_i32 s11, s11, s2
	s_cmp_eq_u32 s24, 0
	v_and_b32_e32 v21, 0x3ff, v0
	s_cselect_b32 s11, ttmp9, s11
	s_delay_alu instid0(SALU_CYCLE_1) | instskip(NEXT) | instid1(VALU_DEP_2)
	v_lshl_add_u32 v22, s11, 3, v2
	v_cmp_gt_u32_e64 s2, 18, v21
	v_dual_lshlrev_b32 v20, 2, v21 :: v_dual_lshlrev_b32 v23, 3, v21
	s_delay_alu instid0(VALU_DEP_3) | instskip(NEXT) | instid1(VALU_DEP_1)
	v_mul_hi_u32 v1, s20, v22
	v_add_nc_u32_e32 v1, v22, v1
	s_delay_alu instid0(VALU_DEP_1) | instskip(NEXT) | instid1(VALU_DEP_1)
	v_lshrrev_b32_e32 v1, s21, v1
	v_mul_lo_u32 v1, v1, s22
	s_delay_alu instid0(VALU_DEP_1)
	v_sub_nc_u32_e32 v0, v22, v1
	s_and_saveexec_b32 s20, s2
	s_cbranch_execz .LBB40_4
; %bb.3:
	s_load_b96 s[40:42], s[0:1], 0x70
	v_dual_mov_b32 v1, 0 :: v_dual_lshlrev_b32 v6, 2, v20
	s_delay_alu instid0(VALU_DEP_1)
	v_mov_b32_e32 v7, v1
	s_wait_kmcnt 0x0
	s_ashr_i32 s27, s40, 31
	s_mov_b32 s26, s40
	s_mul_i32 s38, s10, s41
	s_lshr_b64 s[26:27], s[26:27], 2
	s_ashr_i32 s39, s38, 31
	v_mul_u64_e32 v[4:5], s[26:27], v[0:1]
	s_mul_i32 s26, s28, s42
	s_delay_alu instid0(SALU_CYCLE_1) | instskip(NEXT) | instid1(SALU_CYCLE_1)
	s_ashr_i32 s27, s26, 31
	s_add_nc_u64 s[4:5], s[4:5], s[26:27]
	s_delay_alu instid0(SALU_CYCLE_1)
	s_add_nc_u64 s[4:5], s[4:5], s[38:39]
	s_delay_alu instid0(VALU_DEP_1) | instid1(SALU_CYCLE_1)
	v_lshl_add_u64 v[4:5], v[4:5], 2, s[4:5]
	s_ashr_i32 s5, s41, 31
	s_mov_b32 s4, s41
	s_delay_alu instid0(SALU_CYCLE_1) | instskip(NEXT) | instid1(VALU_DEP_1)
	s_and_b64 s[4:5], s[4:5], -4
	v_add_nc_u64_e32 v[12:13], v[4:5], v[6:7]
	s_delay_alu instid0(VALU_DEP_1)
	v_add_nc_u64_e32 v[14:15], s[4:5], v[12:13]
	s_load_b32 s4, s[0:1], 0x40
	s_clause 0x1
	global_load_b128 v[4:7], v[12:13], off
	global_load_b128 v[8:11], v[14:15], off
	s_wait_loadcnt 0x1
	s_wait_kmcnt 0x0
	v_fma_mixlo_f16 v1, s4, v5, 0
	v_fma_mixlo_f16 v3, s4, v4, 0
	;; [unrolled: 1-line block ×4, first 2 shown]
	s_wait_loadcnt 0x0
	v_fma_mixlo_f16 v6, s4, v9, 0
	v_fma_mixlo_f16 v7, s4, v8, 0
	v_lshlrev_b32_e32 v1, 16, v1
	v_and_b32_e32 v3, 0xffff, v3
	s_delay_alu instid0(VALU_DEP_4)
	v_dual_lshlrev_b32 v5, 16, v5 :: v_dual_lshlrev_b32 v6, 16, v6
	v_fma_mixlo_f16 v8, s4, v10, 0
	v_fma_mixlo_f16 v9, s4, v11, 0
	v_and_b32_e32 v7, 0xffff, v7
	v_and_b32_e32 v4, 0xffff, v4
	v_or_b32_e32 v1, v1, v3
	v_and_b32_e32 v8, 0xffff, v8
	s_delay_alu instid0(VALU_DEP_4) | instskip(SKIP_3) | instid1(VALU_DEP_4)
	v_dual_lshlrev_b32 v3, 16, v9 :: v_dual_bitop2_b32 v6, v6, v7 bitop3:0x54
	v_mad_u32_u24 v9, 0x120, v2, v23
	v_or3_b32 v5, v5, v4, 0
	v_or3_b32 v4, 0, 0, v1
	;; [unrolled: 1-line block ×4, first 2 shown]
	v_add_nc_u32_e32 v1, 0x1000, v9
	ds_store_2addr_b64 v1, v[4:5], v[6:7] offset0:156 offset1:174
.LBB40_4:
	s_or_b32 exec_lo, exec_lo, s20
	s_cmp_eq_u64 s[14:15], 0
	s_wait_dscnt 0x0
	s_barrier_signal -1
	s_barrier_wait -1
	s_cbranch_scc1 .LBB40_6
; %bb.5:
	s_load_b32 s4, s[0:1], 0xd0
	s_wait_kmcnt 0x0
	s_mul_i32 s4, s4, s28
	s_delay_alu instid0(SALU_CYCLE_1)
	s_add_co_i32 s4, s4, s11
	s_load_b32 s30, s[14:15], s4 offset:0x0 scale_offset
.LBB40_6:
	s_wait_xcnt 0x0
	s_bfe_u32 s4, ttmp6, 0x40010
	s_and_b32 s5, ttmp7, 0xffff
	s_add_co_i32 s4, s4, 1
	s_bfe_u32 s11, ttmp6, 0x40004
	s_mul_i32 s4, s5, s4
	v_mbcnt_lo_u32_b32 v24, -1, 0
	s_add_co_i32 s11, s11, s4
	s_cmp_eq_u32 s24, 0
	s_cselect_b32 s31, s5, s11
	s_mov_b32 s5, 0
	s_lshl_b32 s4, s31, 5
	s_wait_kmcnt 0x0
	s_cmp_lt_i32 s4, s30
	s_cbranch_scc1 .LBB40_9
; %bb.7:
	v_mbcnt_lo_u32_b32 v1, -1, 0
	s_delay_alu instid0(VALU_DEP_1)
	v_dual_mov_b32 v27, 32 :: v_dual_bitop2_b32 v32, 16, v1 bitop3:0x14
	v_xor_b32_e32 v31, 8, v1
	v_xor_b32_e32 v30, 4, v1
	;; [unrolled: 1-line block ×4, first 2 shown]
	s_and_not1_b32 vcc_lo, exec_lo, s5
	s_cbranch_vccz .LBB40_10
; %bb.8:
	v_dual_mov_b32 v5, 0 :: v_dual_mov_b32 v33, 0
	v_mov_b32_e32 v17, 0xfeffffff
	v_dual_mov_b32 v25, 0 :: v_dual_mov_b32 v26, 0
	s_delay_alu instid0(VALU_DEP_3) | instskip(NEXT) | instid1(VALU_DEP_3)
	v_dual_mov_b32 v4, v5 :: v_dual_mov_b32 v43, 0
	v_mov_b32_e32 v16, v17
	s_branch .LBB40_18
.LBB40_9:
                                        ; implicit-def: $vgpr1
                                        ; implicit-def: $vgpr27
                                        ; implicit-def: $vgpr32
                                        ; implicit-def: $vgpr31
                                        ; implicit-def: $vgpr30
                                        ; implicit-def: $vgpr29
                                        ; implicit-def: $vgpr28
.LBB40_10:
	s_clause 0x1
	s_load_b64 s[20:21], s[0:1], 0x8c
	s_load_b128 s[24:27], s[0:1], 0x98
	s_mul_f32 s5, s36, 0x4f7ffffe
	s_sub_co_i32 s11, 0, s33
	s_abs_i32 s36, s10
	s_mov_b32 s15, s37
	s_cvt_u32_f32 s5, s5
	s_load_b64 s[38:39], s[0:1], 0xa8
	v_dual_lshrrev_b32 v1, 3, v21 :: v_dual_bitop2_b32 v4, 28, v20 bitop3:0x40
	s_delay_alu instid0(SALU_CYCLE_1)
	s_mul_i32 s11, s11, s5
	s_ashr_i32 s40, s10, 31
	s_mul_hi_u32 s11, s5, s11
	s_ashr_i32 s41, s29, 31
	s_add_co_i32 s14, s5, s11
	s_ashr_i32 s3, s3, 1
	s_mul_u64 s[14:15], s[36:37], s[14:15]
	s_ashr_i32 s29, s28, 31
	s_mul_i32 s5, s15, s33
	s_xor_b32 s11, s40, s41
	s_sub_co_i32 s5, s36, s5
	s_wait_kmcnt 0x0
	s_ashr_i32 s14, s26, 2
	s_ashr_i32 s20, s20, 2
	s_add_co_i32 s26, s15, 1
	s_sub_co_i32 s36, s5, s33
	v_lshl_add_u32 v1, v2, 2, v1
	v_lshl_add_u32 v3, v2, 5, v21
	s_cmp_ge_u32 s5, s33
	v_mad_u32 v38, v0, s3, v21
	s_cselect_b32 s15, s26, s15
	s_cselect_b32 s5, s36, s5
	s_add_co_i32 s26, s15, 1
	v_mul_lo_u32 v6, s20, v1
	v_mul_lo_u32 v8, s20, v3
	;; [unrolled: 1-line block ×4, first 2 shown]
	s_cmp_ge_u32 s5, s33
	v_dual_lshlrev_b32 v5, 2, v4 :: v_dual_mov_b32 v11, 0
	s_cselect_b32 s5, s26, s15
	v_lshl_add_u32 v39, v2, 7, 0x1de0
	s_xor_b32 s5, s5, s11
	s_mul_u64 s[24:25], s[24:25], s[28:29]
	s_sub_co_i32 s5, s5, s11
	s_movk_i32 s11, 0x120
	s_mul_i32 s36, s5, s21
	s_mul_i32 s26, s5, s27
	s_movk_i32 s5, 0x80
	s_movk_i32 s3, 0x90
	s_add_nc_u64 s[6:7], s[6:7], s[24:25]
	s_mul_u64 s[24:25], s[38:39], s[28:29]
	v_mad_u32_u24 v34, 0xa0, v1, v5
	v_dual_ashrrev_i32 v7, 31, v6 :: v_dual_ashrrev_i32 v9, 31, v8
	v_mul_u32_u24_e32 v35, 0xa0, v21
	v_mad_u32_u24 v36, 0xa0, v3, s5
	v_mad_u32_u24 v37, v2, s11, 0x14e0
	v_dual_ashrrev_i32 v13, 31, v12 :: v_dual_ashrrev_i32 v15, 31, v14
	v_mad_u32_u24 v40, v3, s3, 0x80
	v_mad_u32_u24 v41, 0x90, v1, v5
	v_dual_mov_b32 v0, 0xfeffffff :: v_dual_mov_b32 v27, 32
	v_dual_lshlrev_b32 v10, 2, v4 :: v_dual_mov_b32 v26, v11
	v_dual_mov_b32 v25, v11 :: v_dual_bitop2_b32 v32, 16, v24 bitop3:0x14
	v_dual_mov_b32 v43, v11 :: v_dual_bitop2_b32 v31, 8, v24 bitop3:0x14
	;; [unrolled: 1-line block ×5, first 2 shown]
	v_dual_mov_b32 v1, 0xfeffffff :: v_dual_add_nc_u32 v42, v39, v20
	s_ashr_i32 s37, s36, 31
	s_add_nc_u64 s[8:9], s[8:9], s[24:25]
	s_ashr_i32 s27, s26, 31
	s_add_nc_u64 s[6:7], s[6:7], s[36:37]
	s_add_nc_u64 s[8:9], s[8:9], s[26:27]
	s_ashr_i32 s21, s20, 31
	s_ashr_i32 s15, s14, 31
	s_add_nc_u64 s[24:25], s[0:1], 0xd0
	v_cmp_gt_u32_e32 vcc_lo, 32, v3
.LBB40_11:                              ; =>This Inner Loop Header: Depth=1
	s_ashr_i32 s5, s4, 31
	s_delay_alu instid0(SALU_CYCLE_1) | instskip(NEXT) | instid1(SALU_CYCLE_1)
	s_mul_u64 s[26:27], s[4:5], s[20:21]
	s_lshl_b64 s[26:27], s[26:27], 2
	s_delay_alu instid0(SALU_CYCLE_1)
	s_add_nc_u64 s[26:27], s[6:7], s[26:27]
	s_and_saveexec_b32 s3, vcc_lo
	s_cbranch_execz .LBB40_13
; %bb.12:                               ;   in Loop: Header=BB40_11 Depth=1
	v_lshl_add_u64 v[2:3], v[8:9], 2, s[26:27]
	global_load_b128 v[16:19], v[2:3], off offset:128
	s_wait_loadcnt 0x0
	ds_store_b128 v36, v[16:19]
.LBB40_13:                              ;   in Loop: Header=BB40_11 Depth=1
	s_or_b32 exec_lo, exec_lo, s3
	v_lshl_add_u64 v[2:3], v[6:7], 2, s[26:27]
	v_cmp_gt_i32_e64 s3, 32, v32
	s_mul_u64 s[26:27], s[4:5], s[14:15]
	v_mov_b32_e32 v52, 0
	s_lshl_b64 s[26:27], s[26:27], 2
	v_add_nc_u64_e32 v[2:3], v[2:3], v[10:11]
	s_add_nc_u64 s[26:27], s[8:9], s[26:27]
	global_load_b128 v[16:19], v[2:3], off
	s_wait_xcnt 0x0
	v_dual_mov_b32 v3, 0 :: v_dual_add_nc_u32 v2, s4, v38
	s_wait_loadcnt 0x0
	ds_store_b128 v34, v[16:19]
	s_wait_dscnt 0x0
	s_barrier_signal -1
	s_barrier_wait -1
	ds_load_b128 v[16:19], v35
	ds_load_b128 v[44:47], v37
	ds_load_b128 v[48:51], v37 offset:144
	s_wait_dscnt 0x1
	;;#ASMSTART
	v_dot2_f32_f16 v3, v16, v44, v3
	;;#ASMEND
	;;#ASMSTART
	v_dot2_f32_f16 v3, v17, v45, v3
	;;#ASMEND
	;;#ASMSTART
	v_dot2_f32_f16 v3, v18, v46, v3
	;;#ASMEND
	;;#ASMSTART
	v_dot2_f32_f16 v3, v19, v47, v3
	;;#ASMEND
	s_wait_dscnt 0x0
	;;#ASMSTART
	v_dot2_f32_f16 v52, v16, v48, v52
	;;#ASMEND
	;;#ASMSTART
	v_dot2_f32_f16 v52, v17, v49, v52
	;;#ASMEND
	;;#ASMSTART
	v_dot2_f32_f16 v52, v18, v50, v52
	;;#ASMEND
	;;#ASMSTART
	v_dot2_f32_f16 v52, v19, v51, v52
	;;#ASMEND
	ds_load_b128 v[16:19], v35 offset:16
	ds_load_b128 v[44:47], v37 offset:16
	ds_load_b128 v[48:51], v37 offset:160
	s_wait_dscnt 0x1
	;;#ASMSTART
	v_dot2_f32_f16 v3, v16, v44, v3
	;;#ASMEND
	;;#ASMSTART
	v_dot2_f32_f16 v3, v17, v45, v3
	;;#ASMEND
	;;#ASMSTART
	v_dot2_f32_f16 v3, v18, v46, v3
	;;#ASMEND
	;;#ASMSTART
	v_dot2_f32_f16 v3, v19, v47, v3
	;;#ASMEND
	s_wait_dscnt 0x0
	;;#ASMSTART
	v_dot2_f32_f16 v52, v16, v48, v52
	;;#ASMEND
	;;#ASMSTART
	v_dot2_f32_f16 v52, v17, v49, v52
	;;#ASMEND
	;;#ASMSTART
	v_dot2_f32_f16 v52, v18, v50, v52
	;;#ASMEND
	;;#ASMSTART
	v_dot2_f32_f16 v52, v19, v51, v52
	;;#ASMEND
	ds_load_b128 v[16:19], v35 offset:32
	ds_load_b128 v[44:47], v37 offset:32
	;; [unrolled: 29-line block ×8, first 2 shown]
	ds_load_b128 v[48:51], v37 offset:272
	s_wait_dscnt 0x1
	;;#ASMSTART
	v_dot2_f32_f16 v3, v16, v44, v3
	;;#ASMEND
	;;#ASMSTART
	v_dot2_f32_f16 v3, v17, v45, v3
	;;#ASMEND
	;;#ASMSTART
	v_dot2_f32_f16 v3, v18, v46, v3
	;;#ASMEND
	;;#ASMSTART
	v_dot2_f32_f16 v3, v19, v47, v3
	;;#ASMEND
	s_wait_dscnt 0x0
	;;#ASMSTART
	v_dot2_f32_f16 v52, v16, v48, v52
	;;#ASMEND
	;;#ASMSTART
	v_dot2_f32_f16 v52, v17, v49, v52
	;;#ASMEND
	;; [unrolled: 3-line block ×4, first 2 shown]
	v_cndmask_b32_e64 v16, v24, v32, s3
	global_load_u16 v2, v2, s[34:35] scale_offset
	v_cmp_gt_i32_e64 s3, 32, v31
	s_wait_loadcnt 0x0
	s_barrier_signal -1
	s_barrier_wait -1
	s_wait_xcnt 0x0
	v_cvt_f32_f16_e32 v2, v2
	s_delay_alu instid0(VALU_DEP_1) | instskip(SKIP_1) | instid1(VALU_DEP_2)
	v_dual_add_f32 v3, v3, v2 :: v_dual_add_f32 v2, v52, v2
	v_dual_max_num_f32 v17, v0, v0 :: v_dual_max_num_f32 v19, v1, v1
	v_add_f32_e32 v18, 0x40051340, v3
	s_delay_alu instid0(VALU_DEP_3) | instskip(NEXT) | instid1(VALU_DEP_2)
	v_add_f32_e32 v44, 0x40051340, v2
	v_dual_max_num_f32 v17, v17, v18 :: v_dual_lshlrev_b32 v16, 2, v16
	s_delay_alu instid0(VALU_DEP_2)
	v_dual_max_num_f32 v18, v19, v44 :: v_dual_cndmask_b32 v44, v24, v31, s3
	v_cmp_gt_i32_e64 s3, 32, v30
	ds_bpermute_b32 v19, v16, v17
	ds_bpermute_b32 v16, v16, v18
	s_wait_dscnt 0x0
	v_dual_max_num_f32 v19, v19, v19 :: v_dual_max_num_f32 v16, v16, v16
	s_delay_alu instid0(VALU_DEP_1) | instskip(NEXT) | instid1(VALU_DEP_2)
	v_dual_max_num_f32 v17, v17, v19 :: v_dual_lshlrev_b32 v44, 2, v44
	v_max_num_f32_e32 v16, v18, v16
	ds_bpermute_b32 v18, v44, v17
	ds_bpermute_b32 v19, v44, v16
	v_cndmask_b32_e64 v44, v24, v30, s3
	v_cmp_gt_i32_e64 s3, 32, v29
	s_wait_dscnt 0x0
	v_dual_max_num_f32 v18, v18, v18 :: v_dual_max_num_f32 v19, v19, v19
	s_delay_alu instid0(VALU_DEP_1)
	v_dual_max_num_f32 v17, v17, v18 :: v_dual_lshlrev_b32 v44, 2, v44
	ds_bpermute_b32 v18, v44, v17
	s_wait_dscnt 0x0
	v_dual_max_num_f32 v16, v16, v19 :: v_dual_max_num_f32 v18, v18, v18
	ds_bpermute_b32 v19, v44, v16
	v_cndmask_b32_e64 v44, v24, v29, s3
	v_cmp_gt_i32_e64 s3, 32, v28
	s_wait_dscnt 0x0
	v_dual_max_num_f32 v17, v17, v18 :: v_dual_max_num_f32 v19, v19, v19
	s_delay_alu instid0(VALU_DEP_3)
	v_lshlrev_b32_e32 v44, 2, v44
	ds_bpermute_b32 v18, v44, v17
	s_wait_dscnt 0x0
	v_dual_max_num_f32 v16, v16, v19 :: v_dual_max_num_f32 v18, v18, v18
	ds_bpermute_b32 v19, v44, v16
	v_dual_cndmask_b32 v44, v24, v28, s3 :: v_dual_max_num_f32 v17, v17, v18
	s_wait_dscnt 0x0
	s_delay_alu instid0(VALU_DEP_1) | instskip(NEXT) | instid1(VALU_DEP_1)
	v_dual_max_num_f32 v19, v19, v19 :: v_dual_lshlrev_b32 v44, 2, v44
	v_max_num_f32_e32 v18, v16, v19
	ds_bpermute_b32 v16, v44, v17
	s_wait_dscnt 0x0
	v_max_num_f32_e32 v16, v16, v16
	ds_bpermute_b32 v19, v44, v18
	v_max_num_f32_e32 v16, v17, v16
	s_delay_alu instid0(VALU_DEP_1) | instskip(NEXT) | instid1(VALU_DEP_1)
	v_sub_f32_e32 v3, v3, v16
	v_cmp_ngt_f32_e64 s3, 0xc2ce8ed0, v3
	s_wait_dscnt 0x0
	v_max_num_f32_e32 v19, v19, v19
	s_delay_alu instid0(VALU_DEP_1) | instskip(NEXT) | instid1(VALU_DEP_1)
	v_max_num_f32_e32 v17, v18, v19
	v_sub_f32_e32 v2, v2, v17
	s_delay_alu instid0(VALU_DEP_1) | instskip(NEXT) | instid1(VALU_DEP_1)
	v_dual_mul_f32 v18, 0x3fb8aa3b, v3 :: v_dual_mul_f32 v19, 0x3fb8aa3b, v2
	v_fma_f32 v44, 0x3fb8aa3b, v3, -v18
	v_rndne_f32_e32 v45, v18
	s_delay_alu instid0(VALU_DEP_3) | instskip(SKIP_1) | instid1(VALU_DEP_1)
	v_fma_f32 v46, 0x3fb8aa3b, v2, -v19
	v_rndne_f32_e32 v47, v19
	v_dual_sub_f32 v18, v18, v45 :: v_dual_sub_f32 v19, v19, v47
	s_delay_alu instid0(VALU_DEP_3) | instskip(NEXT) | instid1(VALU_DEP_1)
	v_fmac_f32_e32 v46, 0x32a5705f, v2
	v_dual_fmac_f32 v44, 0x32a5705f, v3 :: v_dual_add_f32 v19, v19, v46
	s_delay_alu instid0(VALU_DEP_1) | instskip(SKIP_2) | instid1(VALU_DEP_4)
	v_add_f32_e32 v18, v18, v44
	v_cvt_i32_f32_e32 v44, v45
	v_cvt_i32_f32_e32 v45, v47
	v_exp_f32_e32 v19, v19
	s_delay_alu instid0(VALU_DEP_3) | instskip(NEXT) | instid1(TRANS32_DEP_2)
	v_exp_f32_e32 v18, v18
	v_ldexp_f32 v19, v19, v45
	s_delay_alu instid0(TRANS32_DEP_1) | instskip(NEXT) | instid1(VALU_DEP_1)
	v_ldexp_f32 v18, v18, v44
	v_cndmask_b32_e64 v18, 0, v18, s3
	v_cmp_ngt_f32_e64 s3, 0xc2ce8ed0, v2
	s_delay_alu instid0(VALU_DEP_1) | instskip(SKIP_1) | instid1(VALU_DEP_1)
	v_cndmask_b32_e64 v19, 0, v19, s3
	v_cmp_nlt_f32_e64 s3, 0x42b17218, v3
	v_cndmask_b32_e64 v18, 0x7f800000, v18, s3
	v_cmp_nlt_f32_e64 s3, 0x42b17218, v2
	s_delay_alu instid0(VALU_DEP_1) | instskip(NEXT) | instid1(VALU_DEP_1)
	v_cndmask_b32_e64 v19, 0x7f800000, v19, s3
	v_cvt_pk_f16_f32 v2, v18, v19
	ds_store_b32 v42, v2
	s_and_saveexec_b32 s3, vcc_lo
	s_cbranch_execz .LBB40_15
; %bb.14:                               ;   in Loop: Header=BB40_11 Depth=1
	v_lshl_add_u64 v[2:3], v[12:13], 2, s[26:27]
	global_load_b128 v[44:47], v[2:3], off offset:128
	s_wait_loadcnt 0x0
	ds_store_b128 v40, v[44:47]
.LBB40_15:                              ;   in Loop: Header=BB40_11 Depth=1
	s_or_b32 exec_lo, exec_lo, s3
	v_lshl_add_u64 v[2:3], v[14:15], 2, s[26:27]
	v_dual_sub_f32 v0, v0, v16 :: v_dual_sub_f32 v1, v1, v17
	v_add_nc_u32_e32 v80, 0x400, v23
	v_add_nc_u32_e32 v81, 0x800, v23
	s_delay_alu instid0(VALU_DEP_4) | instskip(NEXT) | instid1(VALU_DEP_4)
	v_add_nc_u64_e32 v[2:3], v[2:3], v[10:11]
	v_cmp_ngt_f32_e64 s3, 0xc2ce8ed0, v0
	v_add_nc_u32_e32 v82, 0xc00, v23
	v_add_nc_u32_e32 v84, 0x1000, v23
	global_load_b128 v[44:47], v[2:3], off
	s_wait_xcnt 0x0
	v_dual_mul_f32 v2, 0x3fb8aa3b, v0 :: v_dual_mul_f32 v3, 0x3fb8aa3b, v1
	s_delay_alu instid0(VALU_DEP_1) | instskip(SKIP_1) | instid1(VALU_DEP_3)
	v_fma_f32 v48, 0x3fb8aa3b, v0, -v2
	v_rndne_f32_e32 v49, v2
	v_fma_f32 v50, 0x3fb8aa3b, v1, -v3
	v_rndne_f32_e32 v51, v3
	s_delay_alu instid0(VALU_DEP_4) | instskip(NEXT) | instid1(VALU_DEP_2)
	v_fmac_f32_e32 v48, 0x32a5705f, v0
	v_dual_fmac_f32 v50, 0x32a5705f, v1 :: v_dual_sub_f32 v3, v3, v51
	s_delay_alu instid0(VALU_DEP_1) | instskip(NEXT) | instid1(VALU_DEP_1)
	v_dual_sub_f32 v2, v2, v49 :: v_dual_add_f32 v3, v3, v50
	v_add_f32_e32 v2, v2, v48
	v_cvt_i32_f32_e32 v48, v49
	v_cvt_i32_f32_e32 v49, v51
	s_delay_alu instid0(VALU_DEP_4) | instskip(NEXT) | instid1(VALU_DEP_3)
	v_exp_f32_e32 v3, v3
	v_exp_f32_e32 v2, v2
	s_delay_alu instid0(TRANS32_DEP_2) | instskip(NEXT) | instid1(TRANS32_DEP_1)
	v_ldexp_f32 v3, v3, v49
	v_ldexp_f32 v2, v2, v48
	s_delay_alu instid0(VALU_DEP_1) | instskip(SKIP_1) | instid1(VALU_DEP_1)
	v_cndmask_b32_e64 v2, 0, v2, s3
	v_cmp_ngt_f32_e64 s3, 0xc2ce8ed0, v1
	v_cndmask_b32_e64 v3, 0, v3, s3
	v_cmp_nlt_f32_e64 s3, 0x42b17218, v0
	s_delay_alu instid0(VALU_DEP_1) | instskip(SKIP_1) | instid1(VALU_DEP_2)
	v_cndmask_b32_e64 v48, 0x7f800000, v2, s3
	v_cmp_nlt_f32_e64 s3, 0x42b17218, v1
	v_cvt_f16_f32_e32 v50, v48
	s_delay_alu instid0(VALU_DEP_2) | instskip(NEXT) | instid1(VALU_DEP_1)
	v_cndmask_b32_e64 v49, 0x7f800000, v3, s3
	v_cvt_f16_f32_e32 v51, v49
	v_pk_fma_f32 v[4:5], v[4:5], v[48:49], v[18:19]
	s_wait_loadcnt 0x0
	ds_store_b128 v41, v[44:47]
	s_wait_dscnt 0x0
	s_barrier_signal -1
	s_barrier_wait -1
	ds_load_b128 v[0:3], v39
	v_and_b32_e32 v44, 0xffff, v50
	v_and_b32_e32 v50, 0xffff, v51
	s_delay_alu instid0(VALU_DEP_2)
	v_mul_u32_u24_e32 v83, 0x10001, v44
	ds_load_b128 v[44:47], v39 offset:16
	v_mul_u32_u24_e32 v18, 0x10001, v50
	ds_load_2addr_b64 v[48:51], v23 offset1:18
	ds_load_b128 v[52:55], v39 offset:32
	ds_load_b128 v[56:59], v39 offset:48
	ds_load_2addr_b64 v[60:63], v23 offset0:36 offset1:54
	ds_load_b128 v[64:67], v39 offset:64
	ds_load_b128 v[68:71], v39 offset:80
	;; [unrolled: 1-line block ×4, first 2 shown]
	v_pk_mul_f16 v19, v43, v83
	v_pk_mul_f16 v26, v26, v18
	s_wait_dscnt 0x9
	v_and_b32_e32 v43, 0xffff, v0
	v_lshrrev_b32_e32 v0, 16, v0
	v_and_b32_e32 v85, 0xffff, v1
	v_dual_lshrrev_b32 v86, 16, v1 :: v_dual_lshrrev_b32 v88, 16, v2
	s_delay_alu instid0(VALU_DEP_4)
	v_mul_u32_u24_e32 v1, 0x10001, v43
	v_and_b32_e32 v87, 0xffff, v2
	s_wait_dscnt 0x8
	v_and_b32_e32 v91, 0xffff, v44
	v_dual_lshrrev_b32 v92, 16, v44 :: v_dual_lshrrev_b32 v94, 16, v45
	v_mul_u32_u24_e32 v44, 0x10001, v0
	v_and_b32_e32 v95, 0xffff, v46
	v_dual_lshrrev_b32 v96, 16, v46 :: v_dual_lshrrev_b32 v97, 16, v47
	s_wait_dscnt 0x7
	v_pk_mul_f16 v0, v48, v1
	v_pk_mul_f16 v46, v48, v44
	v_lshrrev_b32_e32 v89, 16, v3
	v_and_b32_e32 v90, 0xffff, v3
	v_and_b32_e32 v93, 0xffff, v45
	v_mul_u32_u24_e32 v45, 0x10001, v85
	v_pk_fma_f16 v19, v49, v1, v19
	v_pk_fma_f16 v33, v33, v83, v0
	ds_load_2addr_b64 v[0:3], v23 offset0:72 offset1:90
	v_mul_u32_u24_e32 v48, 0x10001, v86
	v_pk_fma_f16 v26, v49, v44, v26
	v_pk_fma_f16 v18, v25, v18, v46
	s_wait_dscnt 0x7
	v_dual_lshrrev_b32 v99, 16, v52 :: v_dual_lshrrev_b32 v101, 16, v53
	v_and_b32_e32 v100, 0xffff, v52
	v_pk_fma_f16 v19, v51, v45, v19
	v_pk_fma_f16 v25, v50, v45, v33
	v_mul_u32_u24_e32 v33, 0x10001, v87
	v_pk_fma_f16 v26, v51, v48, v26
	v_pk_fma_f16 v18, v50, v48, v18
	v_mul_u32_u24_e32 v52, 0x10001, v88
	v_and_b32_e32 v98, 0xffff, v47
	v_and_b32_e32 v102, 0xffff, v53
	ds_load_2addr_b64 v[44:47], v23 offset0:108 offset1:126
	v_mul_u32_u24_e32 v53, 0x10001, v90
	s_wait_dscnt 0x6
	v_pk_fma_f16 v19, v61, v33, v19
	v_pk_fma_f16 v25, v60, v33, v25
	v_mul_u32_u24_e32 v33, 0x10001, v89
	v_pk_fma_f16 v26, v61, v52, v26
	v_pk_fma_f16 v18, v60, v52, v18
	;; [unrolled: 1-line block ×4, first 2 shown]
	v_mul_u32_u24_e32 v60, 0x10001, v91
	v_mul_u32_u24_e32 v61, 0x10001, v92
	v_pk_fma_f16 v26, v63, v33, v26
	v_pk_fma_f16 v18, v62, v33, v18
	s_wait_dscnt 0x5
	v_dual_lshrrev_b32 v115, 16, v64 :: v_dual_lshrrev_b32 v117, 16, v65
	v_and_b32_e32 v116, 0xffff, v64
	ds_load_2addr_b64 v[48:51], v23 offset0:144 offset1:162
	v_mul_u32_u24_e32 v33, 0x10001, v93
	v_mul_u32_u24_e32 v64, 0x10001, v94
	s_wait_dscnt 0x2
	v_pk_fma_f16 v19, v1, v60, v19
	v_pk_fma_f16 v1, v1, v61, v26
	;; [unrolled: 1-line block ×4, first 2 shown]
	v_and_b32_e32 v118, 0xffff, v65
	v_mul_u32_u24_e32 v18, 0x10001, v95
	v_mul_u32_u24_e32 v26, 0x10001, v96
	v_pk_fma_f16 v19, v3, v33, v19
	v_pk_fma_f16 v65, v3, v64, v1
	;; [unrolled: 1-line block ×4, first 2 shown]
	v_dual_lshrrev_b32 v103, 16, v54 :: v_dual_lshrrev_b32 v105, 16, v55
	v_and_b32_e32 v104, 0xffff, v54
	v_and_b32_e32 v106, 0xffff, v55
	v_dual_lshrrev_b32 v123, 16, v68 :: v_dual_lshrrev_b32 v125, 16, v69
	v_and_b32_e32 v124, 0xffff, v68
	v_and_b32_e32 v126, 0xffff, v69
	ds_load_2addr_b64 v[52:55], v23 offset0:180 offset1:198
	v_mul_u32_u24_e32 v68, 0x10001, v98
	v_mul_u32_u24_e32 v69, 0x10001, v97
	s_wait_dscnt 0x2
	v_pk_fma_f16 v19, v45, v18, v19
	v_pk_fma_f16 v45, v45, v26, v65
	;; [unrolled: 1-line block ×4, first 2 shown]
	v_dual_lshrrev_b32 v127, 16, v70 :: v_dual_lshrrev_b32 v129, 16, v71
	v_and_b32_e32 v128, 0xffff, v70
	v_mul_u32_u24_e32 v26, 0x10001, v100
	v_mul_u32_u24_e32 v33, 0x10001, v99
	v_pk_fma_f16 v19, v47, v68, v19
	v_pk_fma_f16 v70, v47, v69, v45
	;; [unrolled: 1-line block ×4, first 2 shown]
	v_dual_lshrrev_b32 v107, 16, v56 :: v_dual_lshrrev_b32 v109, 16, v57
	v_and_b32_e32 v108, 0xffff, v56
	v_and_b32_e32 v110, 0xffff, v57
	v_dual_lshrrev_b32 v111, 16, v58 :: v_dual_lshrrev_b32 v113, 16, v59
	v_and_b32_e32 v112, 0xffff, v58
	v_and_b32_e32 v114, 0xffff, v59
	;; [unrolled: 3-line block ×3, first 2 shown]
	ds_load_2addr_b64 v[56:59], v23 offset0:216 offset1:234
	v_mul_u32_u24_e32 v72, 0x10001, v102
	v_mul_u32_u24_e32 v73, 0x10001, v101
	s_wait_dscnt 0x2
	v_pk_fma_f16 v19, v49, v26, v19
	v_pk_fma_f16 v49, v49, v33, v70
	;; [unrolled: 1-line block ×4, first 2 shown]
	ds_load_2addr_b64 v[60:63], v80 offset0:124 offset1:142
	v_mul_u32_u24_e32 v26, 0x10001, v104
	v_pk_fma_f16 v19, v51, v72, v19
	v_pk_fma_f16 v33, v51, v73, v49
	;; [unrolled: 1-line block ×4, first 2 shown]
	v_mul_u32_u24_e32 v80, 0x10001, v103
	v_dual_lshrrev_b32 v119, 16, v66 :: v_dual_lshrrev_b32 v121, 16, v67
	v_and_b32_e32 v120, 0xffff, v66
	v_and_b32_e32 v122, 0xffff, v67
	;; [unrolled: 1-line block ×3, first 2 shown]
	v_dual_lshrrev_b32 v135, 16, v74 :: v_dual_lshrrev_b32 v136, 16, v75
	v_and_b32_e32 v43, 0xffff, v74
	v_and_b32_e32 v137, 0xffff, v75
	ds_load_2addr_b64 v[0:3], v81 offset0:32 offset1:50
	ds_load_2addr_b64 v[64:67], v81 offset0:68 offset1:86
	;; [unrolled: 1-line block ×5, first 2 shown]
	s_wait_dscnt 0x7
	v_pk_fma_f16 v19, v53, v26, v19
	v_pk_fma_f16 v18, v52, v26, v18
	ds_load_2addr_b64 v[72:75], v81 offset0:212 offset1:230
	v_mul_u32_u24_e32 v26, 0x10001, v106
	v_mul_u32_u24_e32 v81, 0x10001, v105
	v_pk_fma_f16 v33, v53, v80, v33
	v_pk_fma_f16 v25, v52, v80, v25
	v_lshrrev_b32_e32 v80, 16, v76
	v_pk_fma_f16 v19, v55, v26, v19
	v_pk_fma_f16 v18, v54, v26, v18
	v_and_b32_e32 v26, 0xffff, v76
	v_pk_fma_f16 v33, v55, v81, v33
	v_pk_fma_f16 v25, v54, v81, v25
	v_mul_u32_u24_e32 v52, 0x10001, v108
	v_mul_u32_u24_e32 v76, 0x10001, v107
	v_lshrrev_b32_e32 v81, 16, v77
	v_and_b32_e32 v83, 0xffff, v77
	v_mul_u32_u24_e32 v77, 0x10001, v110
	s_wait_dscnt 0x7
	v_pk_fma_f16 v19, v57, v52, v19
	v_pk_fma_f16 v18, v56, v52, v18
	;; [unrolled: 1-line block ×4, first 2 shown]
	v_mul_u32_u24_e32 v56, 0x10001, v109
	ds_load_2addr_b64 v[52:55], v82 offset0:120 offset1:138
	v_pk_fma_f16 v19, v59, v77, v19
	v_pk_fma_f16 v18, v58, v77, v18
	v_mul_u32_u24_e32 v57, 0x10001, v112
	v_mul_u32_u24_e32 v82, 0x10001, v111
	v_pk_fma_f16 v33, v59, v56, v33
	v_pk_fma_f16 v25, v58, v56, v25
	v_dual_lshrrev_b32 v85, 16, v78 :: v_dual_lshrrev_b32 v87, 16, v79
	v_and_b32_e32 v86, 0xffff, v78
	v_and_b32_e32 v88, 0xffff, v79
	ds_load_2addr_b64 v[76:79], v84 offset0:28 offset1:46
	v_mul_u32_u24_e32 v84, 0x10001, v114
	v_mul_u32_u24_e32 v89, 0x10001, v113
	s_wait_dscnt 0x8
	v_pk_fma_f16 v19, v61, v57, v19
	v_pk_fma_f16 v33, v61, v82, v33
	v_pk_fma_f16 v18, v60, v57, v18
	v_pk_fma_f16 v25, v60, v82, v25
	v_mul_u32_u24_e32 v90, 0x10001, v116
	v_mul_u32_u24_e32 v91, 0x10001, v115
	v_pk_fma_f16 v19, v63, v84, v19
	v_pk_fma_f16 v33, v63, v89, v33
	v_pk_fma_f16 v18, v62, v84, v18
	v_pk_fma_f16 v25, v62, v89, v25
	v_mul_u32_u24_e32 v92, 0x10001, v118
	v_mul_u32_u24_e32 v93, 0x10001, v117
	s_wait_dscnt 0x7
	v_pk_fma_f16 v19, v1, v90, v19
	v_pk_fma_f16 v1, v1, v91, v33
	v_pk_fma_f16 v18, v0, v90, v18
	v_pk_fma_f16 v0, v0, v91, v25
	v_mul_u32_u24_e32 v94, 0x10001, v120
	v_mul_u32_u24_e32 v95, 0x10001, v119
	v_pk_fma_f16 v19, v3, v92, v19
	v_pk_fma_f16 v1, v3, v93, v1
	v_pk_fma_f16 v3, v2, v92, v18
	v_pk_fma_f16 v0, v2, v93, v0
	;; [unrolled: 13-line block ×6, first 2 shown]
	v_mul_u32_u24_e32 v43, 0x10001, v137
	v_mul_u32_u24_e32 v44, 0x10001, v136
	s_wait_dscnt 0x2
	v_pk_fma_f16 v18, v73, v19, v18
	v_pk_fma_f16 v1, v73, v33, v1
	;; [unrolled: 1-line block ×4, first 2 shown]
	s_wait_dscnt 0x0
	s_barrier_signal -1
	s_barrier_wait -1
	s_load_b32 s3, s[24:25], 0x4
	v_mul_u32_u24_e32 v26, 0x10001, v26
	v_mul_u32_u24_e32 v45, 0x10001, v80
	v_pk_fma_f16 v18, v75, v43, v18
	v_pk_fma_f16 v1, v75, v44, v1
	v_pk_fma_f16 v3, v74, v43, v3
	v_pk_fma_f16 v0, v74, v44, v0
	v_mul_u32_u24_e32 v46, 0x10001, v83
	v_mul_u32_u24_e32 v2, 0x10001, v81
	v_pk_fma_f16 v18, v53, v26, v18
	v_pk_fma_f16 v1, v53, v45, v1
	v_pk_fma_f16 v3, v52, v26, v3
	v_pk_fma_f16 v0, v52, v45, v0
	;; [unrolled: 6-line block ×4, first 2 shown]
	s_wait_kmcnt 0x0
	s_lshl_b32 s3, s3, 5
	v_pk_fma_f16 v43, v79, v33, v18
	v_pk_fma_f16 v26, v79, v2, v1
	;; [unrolled: 1-line block ×4, first 2 shown]
	s_add_co_i32 s4, s3, s4
	s_delay_alu instid0(SALU_CYCLE_1)
	s_cmp_ge_i32 s4, s30
	s_cbranch_scc1 .LBB40_17
; %bb.16:                               ;   in Loop: Header=BB40_11 Depth=1
	v_dual_mov_b32 v0, v16 :: v_dual_mov_b32 v1, v17
	s_branch .LBB40_11
.LBB40_17:
	v_mov_b32_e32 v1, v24
.LBB40_18:
	v_cmp_lt_i32_e32 vcc_lo, v32, v27
	s_cmp_lg_u64 s[12:13], 0
	s_cselect_b32 s3, -1, 0
	s_cmp_eq_u32 s31, 0
	v_cndmask_b32_e32 v0, v1, v32, vcc_lo
	v_cmp_lt_i32_e32 vcc_lo, v31, v27
	s_cselect_b32 s4, -1, 0
	s_delay_alu instid0(SALU_CYCLE_1) | instskip(NEXT) | instid1(VALU_DEP_2)
	s_and_b32 s3, s4, s3
	v_lshlrev_b32_e32 v0, 2, v0
	ds_bpermute_b32 v2, v0, v4
	ds_bpermute_b32 v3, v0, v5
	v_cndmask_b32_e32 v0, v1, v31, vcc_lo
	v_cmp_lt_i32_e32 vcc_lo, v30, v27
	s_delay_alu instid0(VALU_DEP_2)
	v_lshlrev_b32_e32 v0, 2, v0
	s_wait_dscnt 0x0
	v_pk_add_f32 v[2:3], v[4:5], v[2:3]
	ds_bpermute_b32 v4, v0, v2
	ds_bpermute_b32 v5, v0, v3
	v_cndmask_b32_e32 v0, v1, v30, vcc_lo
	v_cmp_lt_i32_e32 vcc_lo, v29, v27
	s_delay_alu instid0(VALU_DEP_2)
	v_lshlrev_b32_e32 v0, 2, v0
	s_wait_dscnt 0x0
	v_pk_add_f32 v[2:3], v[2:3], v[4:5]
	;; [unrolled: 8-line block ×3, first 2 shown]
	ds_bpermute_b32 v4, v0, v2
	ds_bpermute_b32 v5, v0, v3
	v_cndmask_b32_e32 v0, v1, v28, vcc_lo
	s_and_b32 vcc_lo, exec_lo, s3
	s_delay_alu instid0(VALU_DEP_1)
	v_lshlrev_b32_e32 v6, 2, v0
	s_wait_dscnt 0x0
	v_pk_add_f32 v[0:1], v[2:3], v[4:5]
	ds_bpermute_b32 v2, v6, v0
	ds_bpermute_b32 v3, v6, v1
	s_wait_dscnt 0x0
	v_pk_add_f32 v[0:1], v[0:1], v[2:3]
	s_cbranch_vccz .LBB40_20
; %bb.19:
	s_ashr_i32 s11, s10, 31
	v_dual_mov_b32 v2, 0 :: v_dual_max_num_f32 v4, v16, v16
	s_lshl_b64 s[4:5], s[10:11], 2
	v_max_num_f32_e32 v6, v17, v17
	s_add_nc_u64 s[4:5], s[12:13], s[4:5]
	global_load_b64 v[2:3], v2, s[4:5]
	s_wait_loadcnt 0x0
	v_dual_max_num_f32 v5, v2, v2 :: v_dual_max_num_f32 v7, v3, v3
	s_delay_alu instid0(VALU_DEP_1) | instskip(NEXT) | instid1(VALU_DEP_1)
	v_dual_max_num_f32 v4, v4, v5 :: v_dual_max_num_f32 v5, v6, v7
	v_dual_sub_f32 v6, v16, v4 :: v_dual_sub_f32 v7, v2, v4
	s_delay_alu instid0(VALU_DEP_2) | instskip(NEXT) | instid1(VALU_DEP_2)
	v_dual_sub_f32 v8, v17, v5 :: v_dual_sub_f32 v9, v3, v5
	v_dual_mul_f32 v2, 0x3fb8aa3b, v6 :: v_dual_mul_f32 v3, 0x3fb8aa3b, v7
	s_delay_alu instid0(VALU_DEP_2) | instskip(SKIP_1) | instid1(VALU_DEP_3)
	v_mul_f32_e32 v10, 0x3fb8aa3b, v8
	v_cmp_ngt_f32_e32 vcc_lo, 0xc2ce8ed0, v6
	v_fma_f32 v12, 0x3fb8aa3b, v6, -v2
	v_rndne_f32_e32 v13, v2
	v_rndne_f32_e32 v15, v3
	v_fma_f32 v14, 0x3fb8aa3b, v7, -v3
	v_fma_f32 v16, 0x3fb8aa3b, v8, -v10
	v_fmac_f32_e32 v12, 0x32a5705f, v6
	s_delay_alu instid0(VALU_DEP_4) | instskip(SKIP_3) | instid1(VALU_DEP_4)
	v_dual_sub_f32 v2, v2, v13 :: v_dual_sub_f32 v3, v3, v15
	v_mul_f32_e32 v11, 0x3fb8aa3b, v9
	v_rndne_f32_e32 v17, v10
	v_cvt_i32_f32_e32 v13, v13
	v_add_f32_e32 v2, v2, v12
	v_fmac_f32_e32 v14, 0x32a5705f, v7
	v_fma_f32 v18, 0x3fb8aa3b, v9, -v11
	v_rndne_f32_e32 v19, v11
	v_fmac_f32_e32 v16, 0x32a5705f, v8
	v_exp_f32_e32 v2, v2
	s_delay_alu instid0(VALU_DEP_3) | instskip(NEXT) | instid1(VALU_DEP_3)
	v_dual_add_f32 v3, v3, v14 :: v_dual_fmac_f32 v18, 0x32a5705f, v9
	v_dual_sub_f32 v11, v11, v19 :: v_dual_sub_f32 v10, v10, v17
	v_cvt_i32_f32_e32 v14, v17
	s_delay_alu instid0(VALU_DEP_3) | instskip(NEXT) | instid1(TRANS32_DEP_2)
	v_exp_f32_e32 v3, v3
	v_ldexp_f32 v2, v2, v13
	s_delay_alu instid0(VALU_DEP_3) | instskip(SKIP_2) | instid1(VALU_DEP_4)
	v_dual_add_f32 v11, v11, v18 :: v_dual_add_f32 v10, v10, v16
	v_cvt_i32_f32_e32 v12, v15
	v_cvt_i32_f32_e32 v15, v19
	v_cndmask_b32_e32 v2, 0, v2, vcc_lo
	v_cmp_ngt_f32_e32 vcc_lo, 0xc2ce8ed0, v8
	v_exp_f32_e32 v10, v10
	v_exp_f32_e32 v11, v11
	v_mov_b64_e32 v[16:17], v[4:5]
	s_delay_alu instid0(TRANS32_DEP_2) | instskip(NEXT) | instid1(VALU_DEP_1)
	v_ldexp_f32 v10, v10, v14
	v_cndmask_b32_e32 v10, 0, v10, vcc_lo
	v_cmp_nlt_f32_e32 vcc_lo, 0x42b17218, v6
	v_ldexp_f32 v6, v3, v12
	v_cndmask_b32_e32 v2, 0x7f800000, v2, vcc_lo
	v_cmp_nlt_f32_e32 vcc_lo, 0x42b17218, v8
	v_ldexp_f32 v8, v11, v15
	v_cndmask_b32_e32 v3, 0x7f800000, v10, vcc_lo
	v_cmp_ngt_f32_e32 vcc_lo, 0xc2ce8ed0, v7
	v_cvt_f16_f32_e32 v10, v2
	s_delay_alu instid0(VALU_DEP_3) | instskip(SKIP_2) | instid1(VALU_DEP_4)
	v_cvt_f16_f32_e32 v11, v3
	v_cndmask_b32_e32 v6, 0, v6, vcc_lo
	v_cmp_ngt_f32_e32 vcc_lo, 0xc2ce8ed0, v9
	v_and_b32_e32 v10, 0xffff, v10
	s_delay_alu instid0(VALU_DEP_4)
	v_and_b32_e32 v11, 0xffff, v11
	v_cndmask_b32_e32 v8, 0, v8, vcc_lo
	v_cmp_nlt_f32_e32 vcc_lo, 0x42b17218, v7
	v_cndmask_b32_e32 v6, 0x7f800000, v6, vcc_lo
	v_cmp_nlt_f32_e32 vcc_lo, 0x42b17218, v9
	v_mul_u32_u24_e32 v9, 0x10001, v11
	v_cndmask_b32_e32 v7, 0x7f800000, v8, vcc_lo
	v_mul_u32_u24_e32 v8, 0x10001, v10
	s_delay_alu instid0(VALU_DEP_3) | instskip(SKIP_1) | instid1(VALU_DEP_4)
	v_pk_mul_f16 v25, v25, v9
	v_pk_mul_f16 v26, v26, v9
	v_pk_fma_f32 v[0:1], v[0:1], v[2:3], v[6:7]
	s_delay_alu instid0(VALU_DEP_4)
	v_pk_mul_f16 v33, v33, v8
	v_pk_mul_f16 v43, v43, v8
.LBB40_20:
	s_mov_b32 s3, exec_lo
	v_cmpx_gt_i32_e64 s22, v22
	s_cbranch_execz .LBB40_30
; %bb.21:
	s_load_b32 s0, s[0:1], 0xd4
	v_mov_b32_e32 v2, 1.0
	s_wait_kmcnt 0x0
	s_cmp_lg_u32 s0, 1
	s_cselect_b32 s3, -1, 0
	s_cmp_eq_u32 s0, 1
	s_cselect_b32 s1, -1, 0
	s_and_b32 vcc_lo, exec_lo, s3
	s_cbranch_vccnz .LBB40_23
; %bb.22:
	v_div_scale_f32 v2, null, v0, v0, 1.0
	s_delay_alu instid0(VALU_DEP_1) | instskip(SKIP_1) | instid1(TRANS32_DEP_1)
	v_rcp_f32_e32 v3, v2
	v_nop
	v_fma_f32 v4, -v2, v3, 1.0
	s_delay_alu instid0(VALU_DEP_1) | instskip(SKIP_1) | instid1(VALU_DEP_1)
	v_fmac_f32_e32 v3, v4, v3
	v_div_scale_f32 v4, vcc_lo, 1.0, v0, 1.0
	v_mul_f32_e32 v5, v4, v3
	s_delay_alu instid0(VALU_DEP_1) | instskip(NEXT) | instid1(VALU_DEP_1)
	v_fma_f32 v6, -v2, v5, v4
	v_fmac_f32_e32 v5, v6, v3
	s_delay_alu instid0(VALU_DEP_1) | instskip(NEXT) | instid1(VALU_DEP_1)
	v_fma_f32 v2, -v2, v5, v4
	v_div_fmas_f32 v2, v2, v3, v5
	s_delay_alu instid0(VALU_DEP_1)
	v_div_fixup_f32 v2, v2, v0, 1.0
.LBB40_23:
	v_mad_u32 v3, s28, s22, v22
	s_delay_alu instid0(VALU_DEP_1) | instskip(NEXT) | instid1(VALU_DEP_1)
	v_mad_u32 v3, v3, s23, s10
	v_mad_u32 v3, s0, v3, s31
	s_and_saveexec_b32 s4, s2
	s_cbranch_execz .LBB40_25
; %bb.24:
	s_delay_alu instid0(VALU_DEP_1) | instskip(SKIP_4) | instid1(VALU_DEP_4)
	v_mad_u32 v6, 0x48, v3, v20
	v_dual_lshrrev_b32 v5, 16, v33 :: v_dual_lshrrev_b32 v9, 16, v43
	v_mov_b32_e32 v7, 0
	v_cvt_f32_f16_e32 v4, v33
	v_cvt_f32_f16_e32 v8, v43
	;; [unrolled: 1-line block ×4, first 2 shown]
	s_delay_alu instid0(VALU_DEP_2) | instskip(SKIP_1) | instid1(VALU_DEP_3)
	v_pk_mul_f32 v[4:5], v[2:3], v[4:5] op_sel_hi:[0,1]
	v_lshl_add_u64 v[10:11], v[6:7], 2, s[16:17]
	v_pk_mul_f32 v[6:7], v[2:3], v[8:9] op_sel_hi:[0,1]
	global_store_b128 v[10:11], v[4:7], off
.LBB40_25:
	s_wait_xcnt 0x0
	s_or_b32 exec_lo, exec_lo, s4
	v_cmp_eq_u32_e32 vcc_lo, 0, v21
	s_and_b32 s3, vcc_lo, s3
	s_delay_alu instid0(SALU_CYCLE_1)
	s_and_saveexec_b32 s4, s3
	s_cbranch_execnz .LBB40_31
; %bb.26:
	s_or_b32 exec_lo, exec_lo, s4
	v_mov_b32_e32 v0, 1.0
	s_and_not1_b32 vcc_lo, exec_lo, s1
	s_cbranch_vccz .LBB40_32
.LBB40_27:
	v_add_nc_u32_e32 v2, s0, v3
	s_and_saveexec_b32 s0, s2
	s_cbranch_execnz .LBB40_33
.LBB40_28:
	s_or_b32 exec_lo, exec_lo, s0
	s_delay_alu instid0(SALU_CYCLE_1)
	s_and_b32 exec_lo, exec_lo, s3
	s_cbranch_execz .LBB40_30
.LBB40_29:
	v_mov_b32_e32 v0, v17
	global_store_b64 v2, v[0:1], s[18:19] scale_offset
.LBB40_30:
	s_sendmsg sendmsg(MSG_DEALLOC_VGPRS)
	s_endpgm
.LBB40_31:
	v_dual_mov_b32 v4, v16 :: v_dual_mov_b32 v5, v0
	global_store_b64 v3, v[4:5], s[18:19] scale_offset
	s_wait_xcnt 0x0
	s_or_b32 exec_lo, exec_lo, s4
	v_mov_b32_e32 v0, 1.0
	s_and_not1_b32 vcc_lo, exec_lo, s1
	s_cbranch_vccnz .LBB40_27
.LBB40_32:
	v_div_scale_f32 v0, null, v1, v1, 1.0
	s_delay_alu instid0(VALU_DEP_1) | instskip(SKIP_1) | instid1(TRANS32_DEP_1)
	v_rcp_f32_e32 v2, v0
	v_nop
	v_fma_f32 v4, -v0, v2, 1.0
	s_delay_alu instid0(VALU_DEP_1) | instskip(SKIP_1) | instid1(VALU_DEP_1)
	v_fmac_f32_e32 v2, v4, v2
	v_div_scale_f32 v4, vcc_lo, 1.0, v1, 1.0
	v_mul_f32_e32 v5, v4, v2
	s_delay_alu instid0(VALU_DEP_1) | instskip(NEXT) | instid1(VALU_DEP_1)
	v_fma_f32 v6, -v0, v5, v4
	v_fmac_f32_e32 v5, v6, v2
	s_delay_alu instid0(VALU_DEP_1) | instskip(NEXT) | instid1(VALU_DEP_1)
	v_fma_f32 v0, -v0, v5, v4
	v_div_fmas_f32 v0, v0, v2, v5
	s_delay_alu instid0(VALU_DEP_1)
	v_div_fixup_f32 v0, v0, v1, 1.0
	v_add_nc_u32_e32 v2, s0, v3
	s_and_saveexec_b32 s0, s2
	s_cbranch_execz .LBB40_28
.LBB40_33:
	s_delay_alu instid0(VALU_DEP_1) | instskip(SKIP_4) | instid1(VALU_DEP_4)
	v_mad_u32 v6, 0x48, v2, v20
	v_dual_lshrrev_b32 v3, 16, v25 :: v_dual_lshrrev_b32 v9, 16, v26
	v_mov_b32_e32 v7, 0
	v_cvt_f32_f16_e32 v4, v25
	v_cvt_f32_f16_e32 v8, v26
	;; [unrolled: 1-line block ×4, first 2 shown]
	s_delay_alu instid0(VALU_DEP_2) | instskip(SKIP_1) | instid1(VALU_DEP_3)
	v_pk_mul_f32 v[4:5], v[0:1], v[4:5] op_sel_hi:[0,1]
	v_lshl_add_u64 v[10:11], v[6:7], 2, s[16:17]
	v_pk_mul_f32 v[6:7], v[0:1], v[8:9] op_sel_hi:[0,1]
	global_store_b128 v[10:11], v[4:7], off
	s_wait_xcnt 0x0
	s_or_b32 exec_lo, exec_lo, s0
	s_delay_alu instid0(SALU_CYCLE_1)
	s_and_b32 exec_lo, exec_lo, s3
	s_cbranch_execnz .LBB40_29
	s_branch .LBB40_30
	.section	.rodata,"a",@progbits
	.p2align	6, 0x0
	.amdhsa_kernel _ZL15flash_attn_tileILi72ELi72ELi8ELi2ELb0EEvPKcS1_S1_S1_S1_PKiPfP15HIP_vector_typeIfLj2EEffffjfiS5_IjLj3EEiiiiiiiiiiiliiliiiiil
		.amdhsa_group_segment_fixed_size 8672
		.amdhsa_private_segment_fixed_size 0
		.amdhsa_kernarg_size 464
		.amdhsa_user_sgpr_count 2
		.amdhsa_user_sgpr_dispatch_ptr 0
		.amdhsa_user_sgpr_queue_ptr 0
		.amdhsa_user_sgpr_kernarg_segment_ptr 1
		.amdhsa_user_sgpr_dispatch_id 0
		.amdhsa_user_sgpr_kernarg_preload_length 0
		.amdhsa_user_sgpr_kernarg_preload_offset 0
		.amdhsa_user_sgpr_private_segment_size 0
		.amdhsa_wavefront_size32 1
		.amdhsa_uses_dynamic_stack 0
		.amdhsa_enable_private_segment 0
		.amdhsa_system_sgpr_workgroup_id_x 1
		.amdhsa_system_sgpr_workgroup_id_y 1
		.amdhsa_system_sgpr_workgroup_id_z 1
		.amdhsa_system_sgpr_workgroup_info 0
		.amdhsa_system_vgpr_workitem_id 1
		.amdhsa_next_free_vgpr 138
		.amdhsa_next_free_sgpr 43
		.amdhsa_named_barrier_count 0
		.amdhsa_reserve_vcc 1
		.amdhsa_float_round_mode_32 0
		.amdhsa_float_round_mode_16_64 0
		.amdhsa_float_denorm_mode_32 3
		.amdhsa_float_denorm_mode_16_64 3
		.amdhsa_fp16_overflow 0
		.amdhsa_memory_ordered 1
		.amdhsa_forward_progress 1
		.amdhsa_inst_pref_size 56
		.amdhsa_round_robin_scheduling 0
		.amdhsa_exception_fp_ieee_invalid_op 0
		.amdhsa_exception_fp_denorm_src 0
		.amdhsa_exception_fp_ieee_div_zero 0
		.amdhsa_exception_fp_ieee_overflow 0
		.amdhsa_exception_fp_ieee_underflow 0
		.amdhsa_exception_fp_ieee_inexact 0
		.amdhsa_exception_int_div_zero 0
	.end_amdhsa_kernel
	.section	.text._ZL15flash_attn_tileILi72ELi72ELi8ELi2ELb0EEvPKcS1_S1_S1_S1_PKiPfP15HIP_vector_typeIfLj2EEffffjfiS5_IjLj3EEiiiiiiiiiiiliiliiiiil,"axG",@progbits,_ZL15flash_attn_tileILi72ELi72ELi8ELi2ELb0EEvPKcS1_S1_S1_S1_PKiPfP15HIP_vector_typeIfLj2EEffffjfiS5_IjLj3EEiiiiiiiiiiiliiliiiiil,comdat
.Lfunc_end40:
	.size	_ZL15flash_attn_tileILi72ELi72ELi8ELi2ELb0EEvPKcS1_S1_S1_S1_PKiPfP15HIP_vector_typeIfLj2EEffffjfiS5_IjLj3EEiiiiiiiiiiiliiliiiiil, .Lfunc_end40-_ZL15flash_attn_tileILi72ELi72ELi8ELi2ELb0EEvPKcS1_S1_S1_S1_PKiPfP15HIP_vector_typeIfLj2EEffffjfiS5_IjLj3EEiiiiiiiiiiiliiliiiiil
                                        ; -- End function
	.set _ZL15flash_attn_tileILi72ELi72ELi8ELi2ELb0EEvPKcS1_S1_S1_S1_PKiPfP15HIP_vector_typeIfLj2EEffffjfiS5_IjLj3EEiiiiiiiiiiiliiliiiiil.num_vgpr, 138
	.set _ZL15flash_attn_tileILi72ELi72ELi8ELi2ELb0EEvPKcS1_S1_S1_S1_PKiPfP15HIP_vector_typeIfLj2EEffffjfiS5_IjLj3EEiiiiiiiiiiiliiliiiiil.num_agpr, 0
	.set _ZL15flash_attn_tileILi72ELi72ELi8ELi2ELb0EEvPKcS1_S1_S1_S1_PKiPfP15HIP_vector_typeIfLj2EEffffjfiS5_IjLj3EEiiiiiiiiiiiliiliiiiil.numbered_sgpr, 43
	.set _ZL15flash_attn_tileILi72ELi72ELi8ELi2ELb0EEvPKcS1_S1_S1_S1_PKiPfP15HIP_vector_typeIfLj2EEffffjfiS5_IjLj3EEiiiiiiiiiiiliiliiiiil.num_named_barrier, 0
	.set _ZL15flash_attn_tileILi72ELi72ELi8ELi2ELb0EEvPKcS1_S1_S1_S1_PKiPfP15HIP_vector_typeIfLj2EEffffjfiS5_IjLj3EEiiiiiiiiiiiliiliiiiil.private_seg_size, 0
	.set _ZL15flash_attn_tileILi72ELi72ELi8ELi2ELb0EEvPKcS1_S1_S1_S1_PKiPfP15HIP_vector_typeIfLj2EEffffjfiS5_IjLj3EEiiiiiiiiiiiliiliiiiil.uses_vcc, 1
	.set _ZL15flash_attn_tileILi72ELi72ELi8ELi2ELb0EEvPKcS1_S1_S1_S1_PKiPfP15HIP_vector_typeIfLj2EEffffjfiS5_IjLj3EEiiiiiiiiiiiliiliiiiil.uses_flat_scratch, 0
	.set _ZL15flash_attn_tileILi72ELi72ELi8ELi2ELb0EEvPKcS1_S1_S1_S1_PKiPfP15HIP_vector_typeIfLj2EEffffjfiS5_IjLj3EEiiiiiiiiiiiliiliiiiil.has_dyn_sized_stack, 0
	.set _ZL15flash_attn_tileILi72ELi72ELi8ELi2ELb0EEvPKcS1_S1_S1_S1_PKiPfP15HIP_vector_typeIfLj2EEffffjfiS5_IjLj3EEiiiiiiiiiiiliiliiiiil.has_recursion, 0
	.set _ZL15flash_attn_tileILi72ELi72ELi8ELi2ELb0EEvPKcS1_S1_S1_S1_PKiPfP15HIP_vector_typeIfLj2EEffffjfiS5_IjLj3EEiiiiiiiiiiiliiliiiiil.has_indirect_call, 0
	.section	.AMDGPU.csdata,"",@progbits
; Kernel info:
; codeLenInByte = 7048
; TotalNumSgprs: 45
; NumVgprs: 138
; ScratchSize: 0
; MemoryBound: 0
; FloatMode: 240
; IeeeMode: 1
; LDSByteSize: 8672 bytes/workgroup (compile time only)
; SGPRBlocks: 0
; VGPRBlocks: 8
; NumSGPRsForWavesPerEU: 45
; NumVGPRsForWavesPerEU: 138
; NamedBarCnt: 0
; Occupancy: 7
; WaveLimiterHint : 1
; COMPUTE_PGM_RSRC2:SCRATCH_EN: 0
; COMPUTE_PGM_RSRC2:USER_SGPR: 2
; COMPUTE_PGM_RSRC2:TRAP_HANDLER: 0
; COMPUTE_PGM_RSRC2:TGID_X_EN: 1
; COMPUTE_PGM_RSRC2:TGID_Y_EN: 1
; COMPUTE_PGM_RSRC2:TGID_Z_EN: 1
; COMPUTE_PGM_RSRC2:TIDIG_COMP_CNT: 1
	.section	.text._ZL33flash_attn_stream_k_fixup_uniformILi72ELi8ELi2EEvPfPK15HIP_vector_typeIfLj2EEiiiiiiS1_IjLj3EES5_S5_,"axG",@progbits,_ZL33flash_attn_stream_k_fixup_uniformILi72ELi8ELi2EEvPfPK15HIP_vector_typeIfLj2EEiiiiiiS1_IjLj3EES5_S5_,comdat
	.globl	_ZL33flash_attn_stream_k_fixup_uniformILi72ELi8ELi2EEvPfPK15HIP_vector_typeIfLj2EEiiiiiiS1_IjLj3EES5_S5_ ; -- Begin function _ZL33flash_attn_stream_k_fixup_uniformILi72ELi8ELi2EEvPfPK15HIP_vector_typeIfLj2EEiiiiiiS1_IjLj3EES5_S5_
	.p2align	8
	.type	_ZL33flash_attn_stream_k_fixup_uniformILi72ELi8ELi2EEvPfPK15HIP_vector_typeIfLj2EEiiiiiiS1_IjLj3EES5_S5_,@function
_ZL33flash_attn_stream_k_fixup_uniformILi72ELi8ELi2EEvPfPK15HIP_vector_typeIfLj2EEiiiiiiS1_IjLj3EES5_S5_: ; @_ZL33flash_attn_stream_k_fixup_uniformILi72ELi8ELi2EEvPfPK15HIP_vector_typeIfLj2EEiiiiiiS1_IjLj3EES5_S5_
; %bb.0:
	s_load_b256 s[4:11], s[0:1], 0x1c
	s_bfe_u32 s2, ttmp6, 0x40014
	s_lshr_b32 s3, ttmp7, 16
	s_add_co_i32 s2, s2, 1
	s_bfe_u32 s13, ttmp6, 0x40010
	s_mul_i32 s2, s3, s2
	s_bfe_u32 s12, ttmp6, 0x40008
	s_and_b32 s15, ttmp7, 0xffff
	s_add_co_i32 s13, s13, 1
	s_bfe_u32 s14, ttmp6, 0x4000c
	s_add_co_i32 s2, s12, s2
	s_mul_i32 s12, s15, s13
	s_bfe_u32 s13, ttmp6, 0x40004
	s_add_co_i32 s14, s14, 1
	s_add_co_i32 s13, s13, s12
	s_and_b32 s12, ttmp6, 15
	s_mul_i32 s14, ttmp9, s14
	s_getreg_b32 s20, hwreg(HW_REG_IB_STS2, 6, 4)
	s_add_co_i32 s12, s12, s14
	s_load_b128 s[16:19], s[0:1], 0x3c
	s_cmp_eq_u32 s20, 0
	s_cselect_b32 s14, ttmp9, s12
	s_cselect_b32 s12, s15, s13
	s_wait_kmcnt 0x0
	s_mul_hi_u32 s7, s7, s14
	s_cselect_b32 s13, s3, s2
	s_add_co_i32 s2, s14, s7
	s_delay_alu instid0(SALU_CYCLE_1) | instskip(NEXT) | instid1(SALU_CYCLE_1)
	s_lshr_b32 s7, s2, s8
	s_mul_i32 s2, s7, s9
	s_delay_alu instid0(SALU_CYCLE_1) | instskip(NEXT) | instid1(SALU_CYCLE_1)
	s_sub_co_i32 s8, s14, s2
	s_mul_hi_u32 s2, s8, s10
	s_delay_alu instid0(SALU_CYCLE_1) | instskip(SKIP_2) | instid1(SALU_CYCLE_1)
	s_add_co_i32 s9, s8, s2
	s_load_b64 s[2:3], s[0:1], 0x10
	s_lshr_b32 s15, s9, s11
	s_mul_i32 s9, s15, s16
	s_delay_alu instid0(SALU_CYCLE_1) | instskip(NEXT) | instid1(SALU_CYCLE_1)
	s_sub_co_i32 s8, s8, s9
	s_mul_hi_u32 s9, s8, s17
	s_delay_alu instid0(SALU_CYCLE_1) | instskip(NEXT) | instid1(SALU_CYCLE_1)
	s_add_co_i32 s9, s8, s9
	s_lshr_b32 s9, s9, s18
	s_delay_alu instid0(SALU_CYCLE_1) | instskip(SKIP_2) | instid1(SALU_CYCLE_1)
	s_mul_i32 s10, s9, s19
	s_lshl_b32 s17, s9, 1
	s_sub_co_i32 s16, s8, s10
	s_lshl_b32 s8, s16, 3
	s_delay_alu instid0(SALU_CYCLE_1) | instskip(SKIP_4) | instid1(SALU_CYCLE_1)
	s_add_co_i32 s8, s8, s12
	s_wait_kmcnt 0x0
	s_cmp_lt_i32 s8, s2
	s_cselect_b32 s8, -1, 0
	s_add_co_i32 s17, s17, s13
	s_cmp_lt_i32 s17, s5
	s_cselect_b32 s9, -1, 0
	s_delay_alu instid0(SALU_CYCLE_1) | instskip(NEXT) | instid1(SALU_CYCLE_1)
	s_and_b32 s8, s8, s9
	s_and_not1_b32 vcc_lo, exec_lo, s8
	s_cbranch_vccnz .LBB41_6
; %bb.1:
	s_load_b128 s[8:11], s[0:1], 0x0
	s_wait_xcnt 0x0
	s_mul_i32 s0, s7, s2
	s_mul_i32 s15, s15, s5
	s_add_co_i32 s0, s0, s12
	s_add_co_i32 s1, s17, s15
	s_mul_i32 s0, s0, s3
	s_mul_i32 s2, s3, s16
	s_add_co_i32 s0, s1, s0
	s_mulk_i32 s2, 0x240
	s_mulk_i32 s0, 0x48
	s_mul_i32 s7, s6, s14
	v_add3_u32 v4, s0, s2, v0
	s_lshl_b32 s5, s12, 1
	s_add_co_i32 s15, s7, s6
	s_add_co_i32 s0, s5, s13
	s_lshl_b32 s1, s15, 4
	v_ashrrev_i32_e32 v5, 31, v4
	s_add_co_i32 s0, s0, s1
	s_add_co_i32 s2, s15, -2
	s_add_co_i32 s0, s0, -16
	s_wait_kmcnt 0x0
	global_load_b32 v3, v4, s[8:9] scale_offset
	s_ashr_i32 s1, s0, 31
	s_delay_alu instid0(SALU_CYCLE_1)
	s_lshl_b64 s[0:1], s[0:1], 3
	s_cmp_lt_i32 s2, s7
	s_add_nc_u64 s[0:1], s[10:11], s[0:1]
	s_load_b32 s16, s[0:1], 0x4
	s_cbranch_scc1 .LBB41_4
; %bb.2:
	s_wait_xcnt 0x0
	s_load_b32 s0, s[0:1], 0x0
	s_add_co_i32 s14, s14, 1
	s_mulk_i32 s12, 0x90
	s_wait_xcnt 0x0
	s_mul_i32 s1, s6, s14
	s_lshl_b32 s2, s4, 6
	s_lshl_b32 s6, s1, 4
	s_mulk_i32 s1, 0x480
	s_add_co_i32 s6, s13, s6
	s_mulk_i32 s13, 0x48
	s_lshl_b32 s4, s4, 4
	s_add_co_i32 s12, s13, s12
	s_ashr_i32 s3, s2, 31
	s_add_co_i32 s12, s12, s1
	s_add_co_i32 s1, s6, s4
	v_add3_u32 v0, s12, v0, 0xfffff700
	s_wait_kmcnt 0x0
	v_mov_b32_e32 v2, s16
	s_lshl_b64 s[2:3], s[2:3], 2
	s_add_co_i32 s4, s1, s5
	s_add_nc_u64 s[2:3], s[10:11], s[2:3]
	s_add_co_i32 s1, s15, -1
	s_sub_co_i32 s4, s4, 32
.LBB41_3:                               ; =>This Inner Loop Header: Depth=1
	global_load_b32 v7, v0, s[2:3] scale_offset
	s_ashr_i32 s5, s4, 31
	v_max_num_f32_e64 v1, s0, s0
	s_lshl_b64 s[12:13], s[4:5], 3
	s_delay_alu instid0(SALU_CYCLE_1) | instskip(SKIP_1) | instid1(VALU_DEP_1)
	s_add_nc_u64 s[12:13], s[10:11], s[12:13]
	s_load_b64 s[12:13], s[12:13], 0x0
	v_readfirstlane_b32 s5, v1
	v_add_nc_u32_e32 v0, 0xfffffb80, v0
	s_wait_kmcnt 0x0
	v_max_num_f32_e64 v1, s12, s12
	s_delay_alu instid0(VALU_DEP_1) | instskip(SKIP_1) | instid1(SALU_CYCLE_3)
	v_readfirstlane_b32 s6, v1
	s_max_num_f32 s5, s5, s6
	s_sub_f32 s0, s0, s5
	s_sub_f32 s6, s12, s5
	s_delay_alu instid0(SALU_CYCLE_2) | instskip(NEXT) | instid1(SALU_CYCLE_2)
	s_mul_f32 s12, s0, 0x3fb8aa3b
	s_mul_f32 s14, s6, 0x3fb8aa3b
	s_delay_alu instid0(SALU_CYCLE_2)
	s_xor_b32 s15, s12, 0x80000000
	s_rndne_f32 s16, s12
	s_fmamk_f32 s15, s0, 0x3fb8aa3b, s15
	s_cmp_nlt_f32 s0, 0xc2ce8ed0
	s_rndne_f32 s17, s14
	s_sub_f32 s12, s12, s16
	s_fmamk_f32 s15, s0, 0x32a5705f, s15
	s_cselect_b32 vcc_lo, -1, 0
	s_cmp_ngt_f32 s0, 0x42b17218
	s_delay_alu instid0(SALU_CYCLE_1) | instskip(SKIP_2) | instid1(SALU_CYCLE_1)
	s_add_f32 s12, s12, s15
	s_cvt_i32_f32 s15, s16
	s_sub_f32 s16, s14, s17
	v_s_exp_f32 s12, s12
	v_nop
	s_delay_alu instid0(TRANS32_DEP_1) | instskip(SKIP_1) | instid1(VALU_DEP_1)
	v_ldexp_f32 v1, s12, s15
	s_cvt_i32_f32 s12, s17
	v_cndmask_b32_e32 v1, 0, v1, vcc_lo
	s_cselect_b32 vcc_lo, -1, 0
	s_cmp_ge_f32 s0, 0xc1a00000
	s_delay_alu instid0(VALU_DEP_1)
	v_cndmask_b32_e32 v1, 0x7f800000, v1, vcc_lo
	s_cselect_b32 vcc_lo, -1, 0
	s_xor_b32 s0, s14, 0x80000000
	s_cmp_nlt_f32 s6, 0xc2ce8ed0
	s_fmamk_f32 s0, s6, 0x3fb8aa3b, s0
	v_cndmask_b32_e32 v10, 0, v1, vcc_lo
	s_delay_alu instid0(SALU_CYCLE_2) | instskip(NEXT) | instid1(SALU_CYCLE_3)
	s_fmamk_f32 s0, s6, 0x32a5705f, s0
	s_add_f32 s0, s16, s0
	s_delay_alu instid0(SALU_CYCLE_3) | instskip(SKIP_1) | instid1(TRANS32_DEP_1)
	v_s_exp_f32 s0, s0
	v_nop
	v_ldexp_f32 v6, s0, s12
	s_cselect_b32 s0, -1, 0
	s_cmp_ngt_f32 s6, 0x42b17218
	s_delay_alu instid0(VALU_DEP_1) | instskip(SKIP_2) | instid1(VALU_DEP_1)
	v_cndmask_b32_e64 v6, 0, v6, s0
	s_cselect_b32 s0, -1, 0
	s_cmp_ge_f32 s6, 0xc1a00000
	v_cndmask_b32_e64 v8, 0x7f800000, v6, s0
	s_cselect_b32 s0, -1, 0
	v_mov_b32_e32 v6, s13
	s_add_co_i32 s1, s1, -1
	s_add_co_i32 s4, s4, -16
	v_cndmask_b32_e64 v8, 0, v8, s0
	s_cmp_le_i32 s1, s7
	s_mov_b32 s0, s5
	s_wait_loadcnt 0x0
	s_delay_alu instid0(VALU_DEP_1) | instskip(NEXT) | instid1(VALU_DEP_1)
	v_pk_mul_f32 v[6:7], v[6:7], v[8:9] op_sel_hi:[1,0]
	v_pk_fma_f32 v[2:3], v[2:3], v[10:11], v[6:7] op_sel_hi:[1,0,1]
	s_cbranch_scc0 .LBB41_3
	s_branch .LBB41_5
.LBB41_4:
	s_wait_kmcnt 0x0
	v_mov_b32_e32 v2, s16
.LBB41_5:
	v_lshl_add_u64 v[0:1], v[4:5], 2, s[8:9]
	s_wait_loadcnt 0x0
	s_delay_alu instid0(VALU_DEP_2) | instskip(NEXT) | instid1(VALU_DEP_1)
	v_div_scale_f32 v4, null, v2, v2, v3
	v_rcp_f32_e32 v5, v4
	v_nop
	s_delay_alu instid0(TRANS32_DEP_1) | instskip(NEXT) | instid1(VALU_DEP_1)
	v_fma_f32 v6, -v4, v5, 1.0
	v_fmac_f32_e32 v5, v6, v5
	v_div_scale_f32 v6, vcc_lo, v3, v2, v3
	s_delay_alu instid0(VALU_DEP_1) | instskip(NEXT) | instid1(VALU_DEP_1)
	v_mul_f32_e32 v7, v6, v5
	v_fma_f32 v8, -v4, v7, v6
	s_delay_alu instid0(VALU_DEP_1) | instskip(NEXT) | instid1(VALU_DEP_1)
	v_fmac_f32_e32 v7, v8, v5
	v_fma_f32 v4, -v4, v7, v6
	s_delay_alu instid0(VALU_DEP_1) | instskip(NEXT) | instid1(VALU_DEP_1)
	v_div_fmas_f32 v4, v4, v5, v7
	v_div_fixup_f32 v2, v4, v2, v3
	global_store_b32 v[0:1], v2, off
.LBB41_6:
	s_endpgm
	.section	.rodata,"a",@progbits
	.p2align	6, 0x0
	.amdhsa_kernel _ZL33flash_attn_stream_k_fixup_uniformILi72ELi8ELi2EEvPfPK15HIP_vector_typeIfLj2EEiiiiiiS1_IjLj3EES5_S5_
		.amdhsa_group_segment_fixed_size 0
		.amdhsa_private_segment_fixed_size 0
		.amdhsa_kernarg_size 76
		.amdhsa_user_sgpr_count 2
		.amdhsa_user_sgpr_dispatch_ptr 0
		.amdhsa_user_sgpr_queue_ptr 0
		.amdhsa_user_sgpr_kernarg_segment_ptr 1
		.amdhsa_user_sgpr_dispatch_id 0
		.amdhsa_user_sgpr_kernarg_preload_length 0
		.amdhsa_user_sgpr_kernarg_preload_offset 0
		.amdhsa_user_sgpr_private_segment_size 0
		.amdhsa_wavefront_size32 1
		.amdhsa_uses_dynamic_stack 0
		.amdhsa_enable_private_segment 0
		.amdhsa_system_sgpr_workgroup_id_x 1
		.amdhsa_system_sgpr_workgroup_id_y 1
		.amdhsa_system_sgpr_workgroup_id_z 1
		.amdhsa_system_sgpr_workgroup_info 0
		.amdhsa_system_vgpr_workitem_id 0
		.amdhsa_next_free_vgpr 12
		.amdhsa_next_free_sgpr 21
		.amdhsa_named_barrier_count 0
		.amdhsa_reserve_vcc 1
		.amdhsa_float_round_mode_32 0
		.amdhsa_float_round_mode_16_64 0
		.amdhsa_float_denorm_mode_32 3
		.amdhsa_float_denorm_mode_16_64 3
		.amdhsa_fp16_overflow 0
		.amdhsa_memory_ordered 1
		.amdhsa_forward_progress 1
		.amdhsa_inst_pref_size 9
		.amdhsa_round_robin_scheduling 0
		.amdhsa_exception_fp_ieee_invalid_op 0
		.amdhsa_exception_fp_denorm_src 0
		.amdhsa_exception_fp_ieee_div_zero 0
		.amdhsa_exception_fp_ieee_overflow 0
		.amdhsa_exception_fp_ieee_underflow 0
		.amdhsa_exception_fp_ieee_inexact 0
		.amdhsa_exception_int_div_zero 0
	.end_amdhsa_kernel
	.section	.text._ZL33flash_attn_stream_k_fixup_uniformILi72ELi8ELi2EEvPfPK15HIP_vector_typeIfLj2EEiiiiiiS1_IjLj3EES5_S5_,"axG",@progbits,_ZL33flash_attn_stream_k_fixup_uniformILi72ELi8ELi2EEvPfPK15HIP_vector_typeIfLj2EEiiiiiiS1_IjLj3EES5_S5_,comdat
.Lfunc_end41:
	.size	_ZL33flash_attn_stream_k_fixup_uniformILi72ELi8ELi2EEvPfPK15HIP_vector_typeIfLj2EEiiiiiiS1_IjLj3EES5_S5_, .Lfunc_end41-_ZL33flash_attn_stream_k_fixup_uniformILi72ELi8ELi2EEvPfPK15HIP_vector_typeIfLj2EEiiiiiiS1_IjLj3EES5_S5_
                                        ; -- End function
	.set _ZL33flash_attn_stream_k_fixup_uniformILi72ELi8ELi2EEvPfPK15HIP_vector_typeIfLj2EEiiiiiiS1_IjLj3EES5_S5_.num_vgpr, 12
	.set _ZL33flash_attn_stream_k_fixup_uniformILi72ELi8ELi2EEvPfPK15HIP_vector_typeIfLj2EEiiiiiiS1_IjLj3EES5_S5_.num_agpr, 0
	.set _ZL33flash_attn_stream_k_fixup_uniformILi72ELi8ELi2EEvPfPK15HIP_vector_typeIfLj2EEiiiiiiS1_IjLj3EES5_S5_.numbered_sgpr, 21
	.set _ZL33flash_attn_stream_k_fixup_uniformILi72ELi8ELi2EEvPfPK15HIP_vector_typeIfLj2EEiiiiiiS1_IjLj3EES5_S5_.num_named_barrier, 0
	.set _ZL33flash_attn_stream_k_fixup_uniformILi72ELi8ELi2EEvPfPK15HIP_vector_typeIfLj2EEiiiiiiS1_IjLj3EES5_S5_.private_seg_size, 0
	.set _ZL33flash_attn_stream_k_fixup_uniformILi72ELi8ELi2EEvPfPK15HIP_vector_typeIfLj2EEiiiiiiS1_IjLj3EES5_S5_.uses_vcc, 1
	.set _ZL33flash_attn_stream_k_fixup_uniformILi72ELi8ELi2EEvPfPK15HIP_vector_typeIfLj2EEiiiiiiS1_IjLj3EES5_S5_.uses_flat_scratch, 0
	.set _ZL33flash_attn_stream_k_fixup_uniformILi72ELi8ELi2EEvPfPK15HIP_vector_typeIfLj2EEiiiiiiS1_IjLj3EES5_S5_.has_dyn_sized_stack, 0
	.set _ZL33flash_attn_stream_k_fixup_uniformILi72ELi8ELi2EEvPfPK15HIP_vector_typeIfLj2EEiiiiiiS1_IjLj3EES5_S5_.has_recursion, 0
	.set _ZL33flash_attn_stream_k_fixup_uniformILi72ELi8ELi2EEvPfPK15HIP_vector_typeIfLj2EEiiiiiiS1_IjLj3EES5_S5_.has_indirect_call, 0
	.section	.AMDGPU.csdata,"",@progbits
; Kernel info:
; codeLenInByte = 1084
; TotalNumSgprs: 23
; NumVgprs: 12
; ScratchSize: 0
; MemoryBound: 0
; FloatMode: 240
; IeeeMode: 1
; LDSByteSize: 0 bytes/workgroup (compile time only)
; SGPRBlocks: 0
; VGPRBlocks: 0
; NumSGPRsForWavesPerEU: 23
; NumVGPRsForWavesPerEU: 12
; NamedBarCnt: 0
; Occupancy: 16
; WaveLimiterHint : 0
; COMPUTE_PGM_RSRC2:SCRATCH_EN: 0
; COMPUTE_PGM_RSRC2:USER_SGPR: 2
; COMPUTE_PGM_RSRC2:TRAP_HANDLER: 0
; COMPUTE_PGM_RSRC2:TGID_X_EN: 1
; COMPUTE_PGM_RSRC2:TGID_Y_EN: 1
; COMPUTE_PGM_RSRC2:TGID_Z_EN: 1
; COMPUTE_PGM_RSRC2:TIDIG_COMP_CNT: 0
	.section	.text._ZL33flash_attn_stream_k_fixup_generalILi72ELi8ELi2EEvPfPK15HIP_vector_typeIfLj2EEiiiiS1_IjLj3EES5_S5_S5_,"axG",@progbits,_ZL33flash_attn_stream_k_fixup_generalILi72ELi8ELi2EEvPfPK15HIP_vector_typeIfLj2EEiiiiS1_IjLj3EES5_S5_S5_,comdat
	.globl	_ZL33flash_attn_stream_k_fixup_generalILi72ELi8ELi2EEvPfPK15HIP_vector_typeIfLj2EEiiiiS1_IjLj3EES5_S5_S5_ ; -- Begin function _ZL33flash_attn_stream_k_fixup_generalILi72ELi8ELi2EEvPfPK15HIP_vector_typeIfLj2EEiiiiS1_IjLj3EES5_S5_S5_
	.p2align	8
	.type	_ZL33flash_attn_stream_k_fixup_generalILi72ELi8ELi2EEvPfPK15HIP_vector_typeIfLj2EEiiiiS1_IjLj3EES5_S5_S5_,@function
_ZL33flash_attn_stream_k_fixup_generalILi72ELi8ELi2EEvPfPK15HIP_vector_typeIfLj2EEiiiiS1_IjLj3EES5_S5_S5_: ; @_ZL33flash_attn_stream_k_fixup_generalILi72ELi8ELi2EEvPfPK15HIP_vector_typeIfLj2EEiiiiS1_IjLj3EES5_S5_S5_
; %bb.0:
	s_clause 0x1
	s_load_b128 s[4:7], s[0:1], 0x10
	s_load_b32 s16, s[0:1], 0x50
	s_bfe_u32 s2, ttmp6, 0x4000c
	s_and_b32 s3, ttmp6, 15
	s_add_co_i32 s2, s2, 1
	s_getreg_b32 s15, hwreg(HW_REG_IB_STS2, 6, 4)
	s_mul_i32 s2, ttmp9, s2
	s_mov_b32 s17, 0
	s_add_co_i32 s3, s3, s2
	s_cmp_eq_u32 s15, 0
	s_cselect_b32 s2, ttmp9, s3
	s_delay_alu instid0(SALU_CYCLE_1) | instskip(SKIP_3) | instid1(SALU_CYCLE_1)
	s_ashr_i32 s3, s2, 31
	s_wait_kmcnt 0x0
	s_ashr_i32 s19, s7, 31
	s_mov_b32 s18, s7
	s_mul_u64 s[8:9], s[18:19], s[2:3]
	s_delay_alu instid0(SALU_CYCLE_1) | instskip(NEXT) | instid1(SALU_CYCLE_1)
	s_and_b64 s[10:11], s[8:9], 0xffffffff00000000
	s_cmp_lg_u64 s[10:11], 0
	s_cbranch_scc0 .LBB42_21
; %bb.1:
	s_add_nc_u64 s[10:11], s[16:17], 0
	s_mov_b32 s23, s17
	s_xor_b64 s[10:11], s[10:11], 0
	s_mov_b32 s27, s17
	s_cvt_f32_u32 s3, s10
	s_cvt_f32_u32 s7, s11
	s_sub_nc_u64 s[20:21], 0, s[10:11]
	s_delay_alu instid0(SALU_CYCLE_2) | instskip(NEXT) | instid1(SALU_CYCLE_3)
	s_fmamk_f32 s3, s7, 0x4f800000, s3
	v_s_rcp_f32 s3, s3
	s_delay_alu instid0(TRANS32_DEP_1) | instskip(NEXT) | instid1(SALU_CYCLE_3)
	s_mul_f32 s3, s3, 0x5f7ffffc
	s_mul_f32 s7, s3, 0x2f800000
	s_delay_alu instid0(SALU_CYCLE_3) | instskip(NEXT) | instid1(SALU_CYCLE_3)
	s_trunc_f32 s7, s7
	s_fmamk_f32 s3, s7, 0xcf800000, s3
	s_cvt_u32_f32 s13, s7
	s_delay_alu instid0(SALU_CYCLE_2) | instskip(NEXT) | instid1(SALU_CYCLE_3)
	s_cvt_u32_f32 s12, s3
	s_mul_u64 s[24:25], s[20:21], s[12:13]
	s_delay_alu instid0(SALU_CYCLE_1)
	s_mul_hi_u32 s29, s12, s25
	s_mul_i32 s28, s12, s25
	s_mul_hi_u32 s22, s12, s24
	s_mul_i32 s7, s13, s24
	s_add_nc_u64 s[22:23], s[22:23], s[28:29]
	s_mul_hi_u32 s3, s13, s24
	s_mul_hi_u32 s14, s13, s25
	s_add_co_u32 s7, s22, s7
	s_add_co_ci_u32 s26, s23, s3
	s_mul_i32 s24, s13, s25
	s_add_co_ci_u32 s25, s14, 0
	s_delay_alu instid0(SALU_CYCLE_1) | instskip(SKIP_3) | instid1(SALU_CYCLE_1)
	s_add_nc_u64 s[22:23], s[26:27], s[24:25]
	s_mov_b32 s25, s17
	s_add_co_u32 s12, s12, s22
	s_cselect_b32 s3, -1, 0
	s_cmp_lg_u32 s3, 0
	s_add_co_ci_u32 s13, s13, s23
	s_mov_b32 s23, s17
	s_mul_u64 s[20:21], s[20:21], s[12:13]
	s_delay_alu instid0(SALU_CYCLE_1)
	s_mul_hi_u32 s27, s12, s21
	s_mul_i32 s26, s12, s21
	s_mul_hi_u32 s22, s12, s20
	s_mul_i32 s7, s13, s20
	s_add_nc_u64 s[22:23], s[22:23], s[26:27]
	s_mul_hi_u32 s3, s13, s20
	s_mul_hi_u32 s14, s13, s21
	s_add_co_u32 s7, s22, s7
	s_add_co_ci_u32 s24, s23, s3
	s_mul_i32 s20, s13, s21
	s_add_co_ci_u32 s21, s14, 0
	s_mov_b32 s23, s17
	s_add_nc_u64 s[20:21], s[24:25], s[20:21]
	s_delay_alu instid0(SALU_CYCLE_1) | instskip(SKIP_1) | instid1(SALU_CYCLE_1)
	s_add_co_u32 s3, s12, s20
	s_cselect_b32 s7, -1, 0
	s_cmp_lg_u32 s7, 0
	s_add_co_ci_u32 s7, s13, s21
	s_ashr_i32 s12, s9, 31
	s_delay_alu instid0(SALU_CYCLE_1) | instskip(NEXT) | instid1(SALU_CYCLE_1)
	s_mov_b32 s13, s12
	s_add_nc_u64 s[20:21], s[8:9], s[12:13]
	s_delay_alu instid0(SALU_CYCLE_1) | instskip(NEXT) | instid1(SALU_CYCLE_1)
	s_xor_b64 s[20:21], s[20:21], s[12:13]
	s_mul_hi_u32 s27, s20, s7
	s_mul_i32 s26, s20, s7
	s_mul_hi_u32 s22, s20, s3
	s_mul_hi_u32 s14, s21, s3
	s_mul_i32 s3, s21, s3
	s_add_nc_u64 s[22:23], s[22:23], s[26:27]
	s_mul_hi_u32 s9, s21, s7
	s_add_co_u32 s3, s22, s3
	s_add_co_ci_u32 s24, s23, s14
	s_mul_i32 s26, s21, s7
	s_add_co_ci_u32 s27, s9, 0
	s_delay_alu instid0(SALU_CYCLE_1) | instskip(NEXT) | instid1(SALU_CYCLE_1)
	s_add_nc_u64 s[22:23], s[24:25], s[26:27]
	s_and_b64 s[24:25], s[22:23], 0xffffffff00000000
	s_delay_alu instid0(SALU_CYCLE_1) | instskip(NEXT) | instid1(SALU_CYCLE_1)
	s_or_b32 s24, s24, s22
	s_mul_u64 s[22:23], s[10:11], s[24:25]
	s_add_nc_u64 s[26:27], s[24:25], 1
	s_sub_co_u32 s3, s20, s22
	s_cselect_b32 s7, -1, 0
	s_sub_co_i32 s9, s21, s23
	s_cmp_lg_u32 s7, 0
	s_add_nc_u64 s[28:29], s[24:25], 2
	s_sub_co_ci_u32 s9, s9, s11
	s_sub_co_u32 s14, s3, s10
	s_cselect_b32 s20, -1, 0
	s_delay_alu instid0(SALU_CYCLE_1) | instskip(SKIP_1) | instid1(SALU_CYCLE_1)
	s_cmp_lg_u32 s20, 0
	s_sub_co_ci_u32 s9, s9, 0
	s_cmp_ge_u32 s9, s11
	s_cselect_b32 s20, -1, 0
	s_cmp_ge_u32 s14, s10
	s_cselect_b32 s14, -1, 0
	s_cmp_eq_u32 s9, s11
	s_cselect_b32 s9, s14, s20
	s_delay_alu instid0(SALU_CYCLE_1) | instskip(SKIP_4) | instid1(SALU_CYCLE_1)
	s_cmp_lg_u32 s9, 0
	s_cselect_b32 s9, s28, s26
	s_cselect_b32 s14, s29, s27
	s_cmp_lg_u32 s7, 0
	s_sub_co_ci_u32 s7, s21, s23
	s_cmp_ge_u32 s7, s11
	s_cselect_b32 s20, -1, 0
	s_cmp_ge_u32 s3, s10
	s_cselect_b32 s3, -1, 0
	s_cmp_eq_u32 s7, s11
	s_cselect_b32 s3, s3, s20
	s_delay_alu instid0(SALU_CYCLE_1) | instskip(SKIP_4) | instid1(SALU_CYCLE_1)
	s_cmp_lg_u32 s3, 0
	s_mov_b32 s3, s17
	s_cselect_b32 s11, s14, s25
	s_cselect_b32 s10, s9, s24
	s_xor_b64 s[12:13], s[12:13], 0
	s_xor_b64 s[10:11], s[10:11], s[12:13]
	s_delay_alu instid0(SALU_CYCLE_1)
	s_sub_nc_u64 s[20:21], s[10:11], s[12:13]
	s_and_not1_b32 vcc_lo, exec_lo, s3
	s_cbranch_vccnz .LBB42_3
.LBB42_2:
	v_cvt_f32_u32_e32 v1, s16
	s_sub_co_i32 s7, 0, s16
	s_mov_b32 s21, 0
	s_delay_alu instid0(VALU_DEP_1) | instskip(SKIP_1) | instid1(TRANS32_DEP_1)
	v_rcp_iflag_f32_e32 v1, v1
	v_nop
	v_mul_f32_e32 v1, 0x4f7ffffe, v1
	s_delay_alu instid0(VALU_DEP_1) | instskip(NEXT) | instid1(VALU_DEP_1)
	v_cvt_u32_f32_e32 v1, v1
	v_readfirstlane_b32 s3, v1
	s_mul_i32 s7, s7, s3
	s_delay_alu instid0(SALU_CYCLE_1) | instskip(NEXT) | instid1(SALU_CYCLE_1)
	s_mul_hi_u32 s7, s3, s7
	s_add_co_i32 s3, s3, s7
	s_delay_alu instid0(SALU_CYCLE_1) | instskip(NEXT) | instid1(SALU_CYCLE_1)
	s_mul_hi_u32 s3, s8, s3
	s_mul_i32 s7, s3, s16
	s_delay_alu instid0(SALU_CYCLE_1)
	s_sub_co_i32 s7, s8, s7
	s_add_co_i32 s8, s3, 1
	s_sub_co_i32 s9, s7, s16
	s_cmp_ge_u32 s7, s16
	s_cselect_b32 s3, s8, s3
	s_cselect_b32 s7, s9, s7
	s_add_co_i32 s8, s3, 1
	s_cmp_ge_u32 s7, s16
	s_cselect_b32 s20, s8, s3
.LBB42_3:
	s_add_co_i32 s8, s2, 1
	s_delay_alu instid0(SALU_CYCLE_1) | instskip(NEXT) | instid1(SALU_CYCLE_1)
	s_ashr_i32 s9, s8, 31
	s_mul_u64 s[8:9], s[18:19], s[8:9]
	s_delay_alu instid0(SALU_CYCLE_1) | instskip(NEXT) | instid1(SALU_CYCLE_1)
	s_and_b64 s[10:11], s[8:9], 0xffffffff00000000
	s_cmp_lg_u64 s[10:11], 0
	s_cbranch_scc0 .LBB42_22
; %bb.4:
	s_add_nc_u64 s[10:11], s[16:17], 0
	s_delay_alu instid0(SALU_CYCLE_1) | instskip(SKIP_4) | instid1(SALU_CYCLE_2)
	s_xor_b64 s[12:13], s[10:11], 0
	s_mov_b32 s11, 0
	s_cvt_f32_u32 s3, s12
	s_cvt_f32_u32 s7, s13
	s_sub_nc_u64 s[24:25], 0, s[12:13]
	s_fmamk_f32 s3, s7, 0x4f800000, s3
	s_delay_alu instid0(SALU_CYCLE_3) | instskip(NEXT) | instid1(TRANS32_DEP_1)
	v_s_rcp_f32 s3, s3
	s_mul_f32 s3, s3, 0x5f7ffffc
	s_delay_alu instid0(SALU_CYCLE_3) | instskip(NEXT) | instid1(SALU_CYCLE_3)
	s_mul_f32 s7, s3, 0x2f800000
	s_trunc_f32 s7, s7
	s_delay_alu instid0(SALU_CYCLE_3) | instskip(SKIP_1) | instid1(SALU_CYCLE_2)
	s_fmamk_f32 s3, s7, 0xcf800000, s3
	s_cvt_u32_f32 s23, s7
	s_cvt_u32_f32 s22, s3
	s_delay_alu instid0(SALU_CYCLE_3) | instskip(NEXT) | instid1(SALU_CYCLE_1)
	s_mul_u64 s[26:27], s[24:25], s[22:23]
	s_mul_hi_u32 s29, s22, s27
	s_mul_i32 s28, s22, s27
	s_mul_hi_u32 s10, s22, s26
	s_mul_i32 s7, s23, s26
	s_add_nc_u64 s[28:29], s[10:11], s[28:29]
	s_mul_hi_u32 s3, s23, s26
	s_mul_hi_u32 s14, s23, s27
	s_add_co_u32 s7, s28, s7
	s_add_co_ci_u32 s10, s29, s3
	s_mul_i32 s26, s23, s27
	s_add_co_ci_u32 s27, s14, 0
	s_delay_alu instid0(SALU_CYCLE_1) | instskip(NEXT) | instid1(SALU_CYCLE_1)
	s_add_nc_u64 s[26:27], s[10:11], s[26:27]
	s_add_co_u32 s22, s22, s26
	s_cselect_b32 s3, -1, 0
	s_delay_alu instid0(SALU_CYCLE_1) | instskip(SKIP_1) | instid1(SALU_CYCLE_1)
	s_cmp_lg_u32 s3, 0
	s_add_co_ci_u32 s23, s23, s27
	s_mul_u64 s[24:25], s[24:25], s[22:23]
	s_delay_alu instid0(SALU_CYCLE_1)
	s_mul_hi_u32 s27, s22, s25
	s_mul_i32 s26, s22, s25
	s_mul_hi_u32 s10, s22, s24
	s_mul_i32 s7, s23, s24
	s_add_nc_u64 s[26:27], s[10:11], s[26:27]
	s_mul_hi_u32 s3, s23, s24
	s_mul_hi_u32 s14, s23, s25
	s_add_co_u32 s7, s26, s7
	s_add_co_ci_u32 s10, s27, s3
	s_mul_i32 s24, s23, s25
	s_add_co_ci_u32 s25, s14, 0
	s_delay_alu instid0(SALU_CYCLE_1) | instskip(NEXT) | instid1(SALU_CYCLE_1)
	s_add_nc_u64 s[24:25], s[10:11], s[24:25]
	s_add_co_u32 s3, s22, s24
	s_cselect_b32 s7, -1, 0
	s_delay_alu instid0(SALU_CYCLE_1) | instskip(SKIP_2) | instid1(SALU_CYCLE_1)
	s_cmp_lg_u32 s7, 0
	s_add_co_ci_u32 s7, s23, s25
	s_ashr_i32 s22, s9, 31
	s_mov_b32 s23, s22
	s_delay_alu instid0(SALU_CYCLE_1) | instskip(NEXT) | instid1(SALU_CYCLE_1)
	s_add_nc_u64 s[24:25], s[8:9], s[22:23]
	s_xor_b64 s[24:25], s[24:25], s[22:23]
	s_delay_alu instid0(SALU_CYCLE_1)
	s_mul_hi_u32 s27, s24, s7
	s_mul_i32 s26, s24, s7
	s_mul_hi_u32 s10, s24, s3
	s_mul_hi_u32 s14, s25, s3
	s_mul_i32 s3, s25, s3
	s_add_nc_u64 s[26:27], s[10:11], s[26:27]
	s_mul_hi_u32 s9, s25, s7
	s_add_co_u32 s3, s26, s3
	s_add_co_ci_u32 s10, s27, s14
	s_mul_i32 s28, s25, s7
	s_add_co_ci_u32 s29, s9, 0
	s_delay_alu instid0(SALU_CYCLE_1) | instskip(NEXT) | instid1(SALU_CYCLE_1)
	s_add_nc_u64 s[26:27], s[10:11], s[28:29]
	s_and_b64 s[28:29], s[26:27], 0xffffffff00000000
	s_delay_alu instid0(SALU_CYCLE_1) | instskip(NEXT) | instid1(SALU_CYCLE_1)
	s_or_b32 s28, s28, s26
	s_mul_u64 s[26:27], s[12:13], s[28:29]
	s_add_nc_u64 s[30:31], s[28:29], 1
	s_sub_co_u32 s3, s24, s26
	s_cselect_b32 s7, -1, 0
	s_sub_co_i32 s9, s25, s27
	s_cmp_lg_u32 s7, 0
	s_add_nc_u64 s[34:35], s[28:29], 2
	s_sub_co_ci_u32 s9, s9, s13
	s_sub_co_u32 s10, s3, s12
	s_cselect_b32 s14, -1, 0
	s_delay_alu instid0(SALU_CYCLE_1) | instskip(SKIP_1) | instid1(SALU_CYCLE_1)
	s_cmp_lg_u32 s14, 0
	s_sub_co_ci_u32 s9, s9, 0
	s_cmp_ge_u32 s9, s13
	s_cselect_b32 s14, -1, 0
	s_cmp_ge_u32 s10, s12
	s_cselect_b32 s10, -1, 0
	s_cmp_eq_u32 s9, s13
	s_cselect_b32 s9, s10, s14
	s_delay_alu instid0(SALU_CYCLE_1) | instskip(SKIP_4) | instid1(SALU_CYCLE_1)
	s_cmp_lg_u32 s9, 0
	s_cselect_b32 s9, s34, s30
	s_cselect_b32 s10, s35, s31
	s_cmp_lg_u32 s7, 0
	s_sub_co_ci_u32 s7, s25, s27
	s_cmp_ge_u32 s7, s13
	s_cselect_b32 s14, -1, 0
	s_cmp_ge_u32 s3, s12
	s_cselect_b32 s3, -1, 0
	s_cmp_eq_u32 s7, s13
	s_cselect_b32 s3, s3, s14
	s_delay_alu instid0(SALU_CYCLE_1) | instskip(SKIP_3) | instid1(SALU_CYCLE_1)
	s_cmp_lg_u32 s3, 0
	s_cselect_b32 s13, s10, s29
	s_cselect_b32 s12, s9, s28
	s_xor_b64 s[22:23], s[22:23], 0
	s_xor_b64 s[12:13], s[12:13], s[22:23]
	s_delay_alu instid0(SALU_CYCLE_1)
	s_sub_nc_u64 s[24:25], s[12:13], s[22:23]
	s_load_b96 s[12:14], s[0:1], 0x44
	s_cbranch_execnz .LBB42_6
.LBB42_5:
	v_cvt_f32_u32_e32 v1, s16
	s_sub_co_i32 s7, 0, s16
	s_delay_alu instid0(VALU_DEP_1) | instskip(SKIP_1) | instid1(TRANS32_DEP_1)
	v_rcp_iflag_f32_e32 v1, v1
	v_nop
	v_mul_f32_e32 v1, 0x4f7ffffe, v1
	s_delay_alu instid0(VALU_DEP_1) | instskip(NEXT) | instid1(VALU_DEP_1)
	v_cvt_u32_f32_e32 v1, v1
	v_readfirstlane_b32 s3, v1
	s_mul_i32 s7, s7, s3
	s_delay_alu instid0(SALU_CYCLE_1) | instskip(NEXT) | instid1(SALU_CYCLE_1)
	s_mul_hi_u32 s7, s3, s7
	s_add_co_i32 s3, s3, s7
	s_delay_alu instid0(SALU_CYCLE_1) | instskip(NEXT) | instid1(SALU_CYCLE_1)
	s_mul_hi_u32 s3, s8, s3
	s_mul_i32 s7, s3, s16
	s_delay_alu instid0(SALU_CYCLE_1)
	s_sub_co_i32 s7, s8, s7
	s_add_co_i32 s8, s3, 1
	s_sub_co_i32 s9, s7, s16
	s_cmp_ge_u32 s7, s16
	s_cselect_b32 s3, s8, s3
	s_cselect_b32 s7, s9, s7
	s_add_co_i32 s8, s3, 1
	s_cmp_ge_u32 s7, s16
	s_cselect_b32 s24, s8, s3
.LBB42_6:
	s_delay_alu instid0(SALU_CYCLE_1)
	s_cmp_eq_u32 s20, s24
	s_mov_b64 s[8:9], 0xffffffff
	s_cselect_b32 s3, -1, 0
	s_and_b64 s[8:9], s[20:21], s[8:9]
	s_mov_b32 s23, 0
	s_wait_kmcnt 0x0
	s_mov_b32 s22, s12
	s_mov_b32 s25, s23
	s_mul_u64 s[10:11], s[8:9], s[22:23]
	s_delay_alu instid0(SALU_CYCLE_1) | instskip(SKIP_2) | instid1(SALU_CYCLE_1)
	s_add_co_i32 s7, s11, s20
	s_mul_u64 s[10:11], s[24:25], s[22:23]
	s_lshr_b32 s12, s7, s13
	s_mul_i32 s7, s12, s14
	s_delay_alu instid0(SALU_CYCLE_1) | instskip(SKIP_2) | instid1(SALU_CYCLE_1)
	s_cmp_eq_u32 s7, s20
	s_cselect_b32 s7, -1, 0
	s_add_co_i32 s10, s11, s24
	s_lshr_b32 s10, s10, s13
	s_delay_alu instid0(SALU_CYCLE_1)
	s_cmp_eq_u32 s12, s10
	s_mul_i32 s10, s10, s14
	s_cselect_b32 s11, -1, 0
	s_cmp_lg_u32 s10, s24
	s_cselect_b32 s10, -1, 0
	s_or_b32 s3, s3, s7
	s_and_b32 s10, s11, s10
	s_delay_alu instid0(SALU_CYCLE_1) | instskip(NEXT) | instid1(SALU_CYCLE_1)
	s_or_b32 s3, s3, s10
	s_and_b32 vcc_lo, exec_lo, s3
	s_cbranch_vccnz .LBB42_24
; %bb.7:
	s_load_b256 s[24:31], s[0:1], 0x20
	s_bfe_u32 s7, ttmp6, 0x40014
	s_bfe_u32 s33, ttmp6, 0x40010
	s_lshr_b32 s3, ttmp7, 16
	s_add_co_i32 s7, s7, 1
	s_and_b32 s21, ttmp7, 0xffff
	s_add_co_i32 s33, s33, 1
	s_bfe_u32 s10, ttmp6, 0x40008
	s_mul_i32 s7, s3, s7
	s_bfe_u32 s34, ttmp6, 0x40004
	s_mul_i32 s33, s21, s33
	s_mov_b32 s11, s23
	s_add_co_i32 s35, s10, s7
	s_add_co_i32 s34, s34, s33
	s_cmp_eq_u32 s15, 0
	s_cselect_b32 s7, s21, s34
	s_cselect_b32 s3, s3, s35
	s_wait_kmcnt 0x0
	s_mov_b32 s10, s24
	s_delay_alu instid0(SALU_CYCLE_1) | instskip(NEXT) | instid1(SALU_CYCLE_1)
	s_mul_u64 s[8:9], s[8:9], s[10:11]
	s_add_co_i32 s8, s9, s20
	s_delay_alu instid0(SALU_CYCLE_1) | instskip(SKIP_2) | instid1(SALU_CYCLE_1)
	s_lshr_b32 s15, s8, s25
	s_load_b32 s8, s[0:1], 0x40
	s_mul_i32 s9, s15, s26
	s_sub_co_i32 s9, s20, s9
	s_delay_alu instid0(SALU_CYCLE_1) | instskip(NEXT) | instid1(SALU_CYCLE_1)
	s_mul_hi_u32 s10, s9, s27
	s_add_co_i32 s10, s9, s10
	s_delay_alu instid0(SALU_CYCLE_1) | instskip(NEXT) | instid1(SALU_CYCLE_1)
	s_lshr_b32 s21, s10, s28
	s_mul_i32 s10, s21, s29
	s_delay_alu instid0(SALU_CYCLE_1) | instskip(NEXT) | instid1(SALU_CYCLE_1)
	s_sub_co_i32 s10, s9, s10
	s_mul_hi_u32 s9, s10, s30
	s_delay_alu instid0(SALU_CYCLE_1) | instskip(NEXT) | instid1(SALU_CYCLE_1)
	s_add_co_i32 s9, s10, s9
	s_lshr_b32 s25, s9, s31
	s_mov_b32 s9, s23
	s_wait_kmcnt 0x0
	s_mul_i32 s8, s25, s8
	s_lshl_b32 s25, s25, 1
	s_sub_co_i32 s8, s10, s8
	s_delay_alu instid0(SALU_CYCLE_1) | instskip(NEXT) | instid1(SALU_CYCLE_1)
	s_mul_u64 s[10:11], s[8:9], s[22:23]
	s_add_co_i32 s8, s8, s11
	s_delay_alu instid0(SALU_CYCLE_1) | instskip(NEXT) | instid1(SALU_CYCLE_1)
	s_lshr_b32 s24, s8, s13
	s_lshl_b32 s8, s24, 3
	s_delay_alu instid0(SALU_CYCLE_1) | instskip(NEXT) | instid1(SALU_CYCLE_1)
	s_add_co_i32 s8, s8, s7
	s_cmp_lt_i32 s8, s4
	s_cselect_b32 s8, -1, 0
	s_add_co_i32 s25, s25, s3
	s_delay_alu instid0(SALU_CYCLE_1) | instskip(SKIP_1) | instid1(SALU_CYCLE_1)
	s_cmp_lt_i32 s25, s6
	s_cselect_b32 s9, -1, 0
	s_and_b32 s8, s8, s9
	s_delay_alu instid0(SALU_CYCLE_1)
	s_and_not1_b32 vcc_lo, exec_lo, s8
	s_cbranch_vccnz .LBB42_24
; %bb.8:
	s_load_b128 s[8:11], s[0:1], 0x0
	s_wait_xcnt 0x0
	s_mul_i32 s0, s15, s4
	s_mul_i32 s21, s21, s6
	s_add_co_i32 s0, s0, s7
	s_add_co_i32 s1, s25, s21
	s_mul_i32 s0, s0, s5
	s_mul_i32 s4, s5, s24
	s_add_co_i32 s0, s1, s0
	s_mulk_i32 s4, 0x240
	s_mulk_i32 s0, 0x48
	s_lshl_b32 s15, s7, 1
	v_add3_u32 v2, s4, s0, v0
	s_add_nc_u64 s[0:1], s[16:17], 0
	s_add_co_i32 s15, s15, s3
	s_xor_b64 s[6:7], s[0:1], 0
	s_lshl_b32 s0, s2, 4
	s_cvt_f32_u32 s3, s6
	s_cvt_f32_u32 s4, s7
	s_add_co_i32 s0, s15, s0
	v_cvt_f32_u32_e32 v4, s16
	s_wait_kmcnt 0x0
	global_load_b32 v1, v2, s[8:9] scale_offset
	s_fmamk_f32 s3, s4, 0x4f800000, s3
	s_ashr_i32 s1, s0, 31
	s_lshl_b32 s24, s16, 6
	s_lshl_b64 s[0:1], s[0:1], 3
	v_s_rcp_f32 s3, s3
	s_add_nc_u64 s[0:1], s[10:11], s[0:1]
	v_rcp_iflag_f32_e32 v4, v4
	s_load_b64 s[28:29], s[0:1], 0x0
	s_mov_b32 s25, 0
	v_mad_u32 v6, 0x48, s15, v0
	v_ashrrev_i32_e32 v3, 31, v2
	s_wait_xcnt 0x0
	s_lshl_b64 s[0:1], s[24:25], 2
	s_mul_f32 s3, s3, 0x5f7ffffc
	v_mul_f32_e32 v4, 0x4f7ffffe, v4
	s_add_nc_u64 s[26:27], s[10:11], s[0:1]
	v_lshl_add_u64 v[2:3], v[2:3], 2, s[8:9]
	s_mul_f32 s4, s3, 0x2f800000
	s_mov_b64 s[8:9], 0xffffffff
	v_cvt_u32_f32_e32 v7, v4
	s_add_co_i32 s36, s2, -1
	s_trunc_f32 s4, s4
	s_sub_nc_u64 s[34:35], 0, s[6:7]
	s_delay_alu instid0(SALU_CYCLE_2)
	s_fmamk_f32 s0, s4, 0xcf800000, s3
	s_cvt_u32_f32 s31, s4
	s_wait_kmcnt 0x0
	v_mov_b32_e32 v0, s29
	s_cvt_u32_f32 s30, s0
.LBB42_9:                               ; =>This Inner Loop Header: Depth=1
	s_ashr_i32 s37, s36, 31
                                        ; implicit-def: $sgpr40_sgpr41
	s_delay_alu instid0(SALU_CYCLE_1) | instskip(NEXT) | instid1(SALU_CYCLE_1)
	s_mul_u64 s[0:1], s[36:37], s[18:19]
	s_and_b64 s[2:3], s[0:1], 0xffffffff00000000
	s_delay_alu instid0(SALU_CYCLE_1)
	s_cmp_lg_u64 s[2:3], 0
	s_mov_b32 s2, -1
	s_cbranch_scc0 .LBB42_11
; %bb.10:                               ;   in Loop: Header=BB42_9 Depth=1
	s_mul_u64 s[2:3], s[34:35], s[30:31]
	s_delay_alu instid0(SALU_CYCLE_1)
	s_mul_hi_u32 s5, s30, s3
	s_mul_i32 s4, s30, s3
	s_mul_hi_u32 s24, s30, s2
	s_mul_hi_u32 s17, s31, s2
	s_add_nc_u64 s[4:5], s[24:25], s[4:5]
	s_mul_i32 s2, s31, s2
	s_mul_hi_u32 s21, s31, s3
	s_add_co_u32 s2, s4, s2
	s_add_co_ci_u32 s24, s5, s17
	s_add_co_ci_u32 s5, s21, 0
	s_mul_i32 s4, s31, s3
	s_delay_alu instid0(SALU_CYCLE_1) | instskip(NEXT) | instid1(SALU_CYCLE_1)
	s_add_nc_u64 s[2:3], s[24:25], s[4:5]
	s_add_co_u32 s2, s30, s2
	s_cselect_b32 s4, -1, 0
	s_delay_alu instid0(SALU_CYCLE_1) | instskip(SKIP_1) | instid1(SALU_CYCLE_1)
	s_cmp_lg_u32 s4, 0
	s_add_co_ci_u32 s3, s31, s3
	s_mul_u64 s[4:5], s[34:35], s[2:3]
	s_delay_alu instid0(SALU_CYCLE_1)
	s_mul_hi_u32 s39, s2, s5
	s_mul_i32 s38, s2, s5
	s_mul_hi_u32 s24, s2, s4
	s_mul_hi_u32 s17, s3, s4
	s_mul_i32 s4, s3, s4
	s_add_nc_u64 s[38:39], s[24:25], s[38:39]
	s_mul_hi_u32 s21, s3, s5
	s_add_co_u32 s4, s38, s4
	s_add_co_ci_u32 s24, s39, s17
	s_mul_i32 s4, s3, s5
	s_add_co_ci_u32 s5, s21, 0
	s_delay_alu instid0(SALU_CYCLE_1) | instskip(NEXT) | instid1(SALU_CYCLE_1)
	s_add_nc_u64 s[4:5], s[24:25], s[4:5]
	s_add_co_u32 s17, s2, s4
	s_cselect_b32 s2, -1, 0
	s_delay_alu instid0(SALU_CYCLE_1) | instskip(SKIP_2) | instid1(SALU_CYCLE_1)
	s_cmp_lg_u32 s2, 0
	s_add_co_ci_u32 s21, s3, s5
	s_ashr_i32 s2, s1, 31
	s_mov_b32 s3, s2
	s_delay_alu instid0(SALU_CYCLE_1) | instskip(NEXT) | instid1(SALU_CYCLE_1)
	s_add_nc_u64 s[4:5], s[0:1], s[2:3]
	s_xor_b64 s[4:5], s[4:5], s[2:3]
	s_delay_alu instid0(SALU_CYCLE_1)
	s_mul_hi_u32 s39, s4, s21
	s_mul_i32 s38, s4, s21
	s_mul_hi_u32 s24, s4, s17
	s_mul_hi_u32 s29, s5, s17
	s_mul_i32 s17, s5, s17
	s_add_nc_u64 s[38:39], s[24:25], s[38:39]
	s_mul_hi_u32 s1, s5, s21
	s_add_co_u32 s17, s38, s17
	s_add_co_ci_u32 s24, s39, s29
	s_mul_i32 s40, s5, s21
	s_add_co_ci_u32 s41, s1, 0
	s_delay_alu instid0(SALU_CYCLE_1) | instskip(NEXT) | instid1(SALU_CYCLE_1)
	s_add_nc_u64 s[38:39], s[24:25], s[40:41]
	s_and_b64 s[40:41], s[38:39], 0xffffffff00000000
	s_delay_alu instid0(SALU_CYCLE_1) | instskip(NEXT) | instid1(SALU_CYCLE_1)
	s_or_b32 s40, s40, s38
	s_mul_u64 s[38:39], s[6:7], s[40:41]
	s_add_nc_u64 s[42:43], s[40:41], 1
	s_sub_co_u32 s1, s4, s38
	s_cselect_b32 s4, -1, 0
	s_sub_co_i32 s17, s5, s39
	s_cmp_lg_u32 s4, 0
	s_add_nc_u64 s[44:45], s[40:41], 2
	s_sub_co_ci_u32 s17, s17, s7
	s_sub_co_u32 s21, s1, s6
	s_cselect_b32 s24, -1, 0
	s_delay_alu instid0(SALU_CYCLE_1) | instskip(SKIP_1) | instid1(SALU_CYCLE_1)
	s_cmp_lg_u32 s24, 0
	s_sub_co_ci_u32 s17, s17, 0
	s_cmp_ge_u32 s17, s7
	s_cselect_b32 s24, -1, 0
	s_cmp_ge_u32 s21, s6
	s_cselect_b32 s21, -1, 0
	s_cmp_eq_u32 s17, s7
	s_cselect_b32 s17, s21, s24
	s_delay_alu instid0(SALU_CYCLE_1) | instskip(SKIP_4) | instid1(SALU_CYCLE_1)
	s_cmp_lg_u32 s17, 0
	s_cselect_b32 s17, s44, s42
	s_cselect_b32 s21, s45, s43
	s_cmp_lg_u32 s4, 0
	s_sub_co_ci_u32 s4, s5, s39
	s_cmp_ge_u32 s4, s7
	s_cselect_b32 s5, -1, 0
	s_cmp_ge_u32 s1, s6
	s_cselect_b32 s1, -1, 0
	s_cmp_eq_u32 s4, s7
	s_cselect_b32 s1, s1, s5
	s_delay_alu instid0(SALU_CYCLE_1) | instskip(SKIP_3) | instid1(SALU_CYCLE_1)
	s_cmp_lg_u32 s1, 0
	s_cselect_b32 s5, s21, s41
	s_cselect_b32 s4, s17, s40
	s_xor_b64 s[2:3], s[2:3], 0
	s_xor_b64 s[4:5], s[4:5], s[2:3]
	s_delay_alu instid0(SALU_CYCLE_1)
	s_sub_nc_u64 s[40:41], s[4:5], s[2:3]
	s_mov_b32 s2, 0
.LBB42_11:                              ;   in Loop: Header=BB42_9 Depth=1
	s_delay_alu instid0(SALU_CYCLE_1)
	s_and_not1_b32 vcc_lo, exec_lo, s2
	s_cbranch_vccnz .LBB42_13
; %bb.12:                               ;   in Loop: Header=BB42_9 Depth=1
	v_readfirstlane_b32 s1, v7
	s_sub_co_i32 s2, 0, s16
	s_delay_alu instid0(SALU_CYCLE_1) | instskip(NEXT) | instid1(SALU_CYCLE_1)
	s_mul_i32 s2, s2, s1
	s_mul_hi_u32 s2, s1, s2
	s_delay_alu instid0(SALU_CYCLE_1) | instskip(NEXT) | instid1(SALU_CYCLE_1)
	s_add_co_i32 s1, s1, s2
	s_mul_hi_u32 s1, s0, s1
	s_delay_alu instid0(SALU_CYCLE_1) | instskip(NEXT) | instid1(SALU_CYCLE_1)
	s_mul_i32 s2, s1, s16
	s_sub_co_i32 s0, s0, s2
	s_add_co_i32 s2, s1, 1
	s_sub_co_i32 s3, s0, s16
	s_cmp_ge_u32 s0, s16
	s_cselect_b32 s1, s2, s1
	s_cselect_b32 s0, s3, s0
	s_add_co_i32 s2, s1, 1
	s_cmp_ge_u32 s0, s16
	s_cselect_b32 s24, s2, s1
	s_delay_alu instid0(SALU_CYCLE_1)
	s_mov_b64 s[40:41], s[24:25]
.LBB42_13:                              ;   in Loop: Header=BB42_9 Depth=1
	s_delay_alu instid0(SALU_CYCLE_1)
	s_cmp_lg_u32 s20, s40
	s_mov_b32 s0, -1
                                        ; implicit-def: $vgpr4_vgpr5
                                        ; implicit-def: $sgpr24
                                        ; implicit-def: $sgpr17
                                        ; implicit-def: $sgpr21
                                        ; implicit-def: $sgpr29
	s_cbranch_scc0 .LBB42_18
; %bb.14:                               ;   in Loop: Header=BB42_9 Depth=1
	s_add_co_i32 s0, s36, s16
	v_max_num_f32_e64 v4, s28, s28
	s_lshl_b32 s0, s0, 4
	s_mov_b32 s29, s20
	s_add_co_i32 s0, s0, s15
	s_load_b64 s[38:39], s[10:11], s0 offset:0x0 scale_offset
	s_wait_xcnt 0x0
	v_readfirstlane_b32 s0, v4
	s_wait_kmcnt 0x0
	v_max_num_f32_e64 v5, s38, s38
	s_delay_alu instid0(VALU_DEP_1) | instskip(SKIP_1) | instid1(SALU_CYCLE_3)
	v_readfirstlane_b32 s1, v5
	s_max_num_f32 s17, s0, s1
	s_sub_f32 s33, s28, s17
	s_sub_f32 s37, s38, s17
	s_delay_alu instid0(SALU_CYCLE_2)
	s_cmp_nlt_f32 s33, 0xc2ce8ed0
	s_cselect_b32 s1, -1, 0
	s_cmp_ngt_f32 s33, 0x42b17218
	s_cselect_b32 s2, -1, 0
	s_cmp_ge_f32 s33, 0xc1a00000
	s_cselect_b32 s0, -1, 0
	s_cmp_nlt_f32 s37, 0xc2ce8ed0
	s_cselect_b32 s3, -1, 0
	s_cmp_ngt_f32 s37, 0x42b17218
	s_cselect_b32 s4, -1, 0
	s_cmp_ge_f32 s37, 0xc1a00000
	s_cselect_b32 s5, -1, 0
	s_and_b64 s[42:43], s[40:41], s[8:9]
	s_delay_alu instid0(SALU_CYCLE_1) | instskip(NEXT) | instid1(SALU_CYCLE_1)
	s_mul_u64 s[42:43], s[42:43], s[22:23]
	s_add_co_i32 s21, s43, s40
	s_delay_alu instid0(SALU_CYCLE_1) | instskip(NEXT) | instid1(SALU_CYCLE_1)
	s_lshr_b32 s21, s21, s13
	s_mul_i32 s24, s21, s14
	s_delay_alu instid0(SALU_CYCLE_1) | instskip(SKIP_3) | instid1(SALU_CYCLE_1)
	s_cmp_eq_u32 s24, s40
	s_cselect_b32 s24, -1, 0
	s_cmp_lt_u32 s21, s12
	s_cselect_b32 s21, -1, 0
	s_or_b32 s21, s21, s24
	s_mov_b32 s24, -1
	s_and_b32 vcc_lo, exec_lo, s21
	s_mov_b32 s21, s36
	s_cbranch_vccnz .LBB42_16
; %bb.15:                               ;   in Loop: Header=BB42_9 Depth=1
	s_add_co_i32 s21, s36, -1
	s_mov_b32 s24, 0
	s_mov_b32 s29, s40
.LBB42_16:                              ;   in Loop: Header=BB42_9 Depth=1
	v_mad_u32 v4, 0x480, s36, v6
	s_mul_f32 s40, s33, 0x3fb8aa3b
	s_mul_f32 s38, s37, 0x3fb8aa3b
	s_delay_alu instid0(SALU_CYCLE_2)
	s_xor_b32 s42, s40, 0x80000000
	s_rndne_f32 s44, s40
	s_fmamk_f32 s42, s33, 0x3fb8aa3b, s42
	s_xor_b32 s41, s38, 0x80000000
	s_rndne_f32 s43, s38
	s_sub_f32 s40, s40, s44
	global_load_b32 v5, v4, s[26:27] scale_offset
	s_fmamk_f32 s33, s33, 0x32a5705f, s42
	s_fmamk_f32 s41, s37, 0x3fb8aa3b, s41
	s_sub_f32 s38, s38, s43
	s_delay_alu instid0(SALU_CYCLE_1) | instskip(NEXT) | instid1(SALU_CYCLE_1)
	s_add_f32 s33, s40, s33
	s_fmamk_f32 s37, s37, 0x32a5705f, s41
	s_cvt_i32_f32 s40, s44
	s_delay_alu instid0(SALU_CYCLE_1) | instskip(NEXT) | instid1(SALU_CYCLE_1)
	v_s_exp_f32 s33, s33
	s_add_f32 s37, s38, s37
	s_cvt_i32_f32 s38, s43
	s_delay_alu instid0(SALU_CYCLE_2) | instskip(NEXT) | instid1(TRANS32_DEP_2)
	v_s_exp_f32 s37, s37
	v_ldexp_f32 v8, s33, s40
	s_wait_xcnt 0x0
	s_delay_alu instid0(TRANS32_DEP_1) | instskip(NEXT) | instid1(VALU_DEP_2)
	v_ldexp_f32 v4, s37, s38
	v_cndmask_b32_e64 v8, 0, v8, s1
	s_delay_alu instid0(VALU_DEP_1) | instskip(NEXT) | instid1(VALU_DEP_1)
	v_cndmask_b32_e64 v9, 0x7f800000, v8, s2
	v_dual_cndmask_b32 v4, 0, v4, s3 :: v_dual_cndmask_b32 v10, 0, v9, s0
	s_delay_alu instid0(VALU_DEP_1) | instskip(NEXT) | instid1(VALU_DEP_1)
	v_cndmask_b32_e64 v4, 0x7f800000, v4, s4
	v_dual_cndmask_b32 v8, 0, v4, s5 :: v_dual_mov_b32 v4, s39
	s_wait_loadcnt 0x0
	s_delay_alu instid0(VALU_DEP_1) | instskip(NEXT) | instid1(VALU_DEP_1)
	v_pk_mul_f32 v[4:5], v[4:5], v[8:9] op_sel_hi:[1,0]
	v_pk_fma_f32 v[4:5], v[0:1], v[10:11], v[4:5] op_sel_hi:[1,0,1]
	s_cbranch_execz .LBB42_19
.LBB42_17:                              ;   in Loop: Header=BB42_9 Depth=1
	s_and_not1_b32 vcc_lo, exec_lo, s24
	s_cbranch_vccnz .LBB42_20
	s_branch .LBB42_23
.LBB42_18:                              ;   in Loop: Header=BB42_9 Depth=1
	s_and_not1_b32 vcc_lo, exec_lo, s0
	s_cbranch_vccnz .LBB42_17
.LBB42_19:                              ;   in Loop: Header=BB42_9 Depth=1
	s_wait_loadcnt 0x0
	v_mov_b64_e32 v[4:5], v[0:1]
	s_add_co_i32 s21, s36, -1
	s_mov_b32 s29, s20
	s_mov_b32 s17, s28
	s_cbranch_execz .LBB42_23
.LBB42_20:                              ;   in Loop: Header=BB42_9 Depth=1
	s_wait_loadcnt 0x0
	s_delay_alu instid0(VALU_DEP_1)
	v_mov_b64_e32 v[0:1], v[4:5]
	s_mov_b32 s20, s29
	s_mov_b32 s36, s21
	;; [unrolled: 1-line block ×3, first 2 shown]
	s_branch .LBB42_9
.LBB42_21:
                                        ; implicit-def: $sgpr20_sgpr21
	s_branch .LBB42_2
.LBB42_22:
                                        ; implicit-def: $sgpr24_sgpr25
	s_load_b96 s[12:14], s[0:1], 0x44
	s_branch .LBB42_5
.LBB42_23:
	s_delay_alu instid0(VALU_DEP_1) | instskip(SKIP_1) | instid1(VALU_DEP_1)
	v_div_scale_f32 v0, null, v4, v4, v5
	s_wait_loadcnt 0x0
	v_rcp_f32_e32 v1, v0
	v_nop
	s_delay_alu instid0(TRANS32_DEP_1) | instskip(NEXT) | instid1(VALU_DEP_1)
	v_fma_f32 v6, -v0, v1, 1.0
	v_fmac_f32_e32 v1, v6, v1
	v_div_scale_f32 v6, vcc_lo, v5, v4, v5
	s_delay_alu instid0(VALU_DEP_1) | instskip(NEXT) | instid1(VALU_DEP_1)
	v_mul_f32_e32 v7, v6, v1
	v_fma_f32 v8, -v0, v7, v6
	s_delay_alu instid0(VALU_DEP_1) | instskip(NEXT) | instid1(VALU_DEP_1)
	v_fmac_f32_e32 v7, v8, v1
	v_fma_f32 v0, -v0, v7, v6
	s_delay_alu instid0(VALU_DEP_1) | instskip(NEXT) | instid1(VALU_DEP_1)
	v_div_fmas_f32 v0, v0, v1, v7
	v_div_fixup_f32 v0, v0, v4, v5
	global_store_b32 v[2:3], v0, off
.LBB42_24:
	s_endpgm
	.section	.rodata,"a",@progbits
	.p2align	6, 0x0
	.amdhsa_kernel _ZL33flash_attn_stream_k_fixup_generalILi72ELi8ELi2EEvPfPK15HIP_vector_typeIfLj2EEiiiiS1_IjLj3EES5_S5_S5_
		.amdhsa_group_segment_fixed_size 0
		.amdhsa_private_segment_fixed_size 0
		.amdhsa_kernarg_size 336
		.amdhsa_user_sgpr_count 2
		.amdhsa_user_sgpr_dispatch_ptr 0
		.amdhsa_user_sgpr_queue_ptr 0
		.amdhsa_user_sgpr_kernarg_segment_ptr 1
		.amdhsa_user_sgpr_dispatch_id 0
		.amdhsa_user_sgpr_kernarg_preload_length 0
		.amdhsa_user_sgpr_kernarg_preload_offset 0
		.amdhsa_user_sgpr_private_segment_size 0
		.amdhsa_wavefront_size32 1
		.amdhsa_uses_dynamic_stack 0
		.amdhsa_enable_private_segment 0
		.amdhsa_system_sgpr_workgroup_id_x 1
		.amdhsa_system_sgpr_workgroup_id_y 1
		.amdhsa_system_sgpr_workgroup_id_z 1
		.amdhsa_system_sgpr_workgroup_info 0
		.amdhsa_system_vgpr_workitem_id 0
		.amdhsa_next_free_vgpr 12
		.amdhsa_next_free_sgpr 46
		.amdhsa_named_barrier_count 0
		.amdhsa_reserve_vcc 1
		.amdhsa_float_round_mode_32 0
		.amdhsa_float_round_mode_16_64 0
		.amdhsa_float_denorm_mode_32 3
		.amdhsa_float_denorm_mode_16_64 3
		.amdhsa_fp16_overflow 0
		.amdhsa_memory_ordered 1
		.amdhsa_forward_progress 1
		.amdhsa_inst_pref_size 27
		.amdhsa_round_robin_scheduling 0
		.amdhsa_exception_fp_ieee_invalid_op 0
		.amdhsa_exception_fp_denorm_src 0
		.amdhsa_exception_fp_ieee_div_zero 0
		.amdhsa_exception_fp_ieee_overflow 0
		.amdhsa_exception_fp_ieee_underflow 0
		.amdhsa_exception_fp_ieee_inexact 0
		.amdhsa_exception_int_div_zero 0
	.end_amdhsa_kernel
	.section	.text._ZL33flash_attn_stream_k_fixup_generalILi72ELi8ELi2EEvPfPK15HIP_vector_typeIfLj2EEiiiiS1_IjLj3EES5_S5_S5_,"axG",@progbits,_ZL33flash_attn_stream_k_fixup_generalILi72ELi8ELi2EEvPfPK15HIP_vector_typeIfLj2EEiiiiS1_IjLj3EES5_S5_S5_,comdat
.Lfunc_end42:
	.size	_ZL33flash_attn_stream_k_fixup_generalILi72ELi8ELi2EEvPfPK15HIP_vector_typeIfLj2EEiiiiS1_IjLj3EES5_S5_S5_, .Lfunc_end42-_ZL33flash_attn_stream_k_fixup_generalILi72ELi8ELi2EEvPfPK15HIP_vector_typeIfLj2EEiiiiS1_IjLj3EES5_S5_S5_
                                        ; -- End function
	.set _ZL33flash_attn_stream_k_fixup_generalILi72ELi8ELi2EEvPfPK15HIP_vector_typeIfLj2EEiiiiS1_IjLj3EES5_S5_S5_.num_vgpr, 12
	.set _ZL33flash_attn_stream_k_fixup_generalILi72ELi8ELi2EEvPfPK15HIP_vector_typeIfLj2EEiiiiS1_IjLj3EES5_S5_S5_.num_agpr, 0
	.set _ZL33flash_attn_stream_k_fixup_generalILi72ELi8ELi2EEvPfPK15HIP_vector_typeIfLj2EEiiiiS1_IjLj3EES5_S5_S5_.numbered_sgpr, 46
	.set _ZL33flash_attn_stream_k_fixup_generalILi72ELi8ELi2EEvPfPK15HIP_vector_typeIfLj2EEiiiiS1_IjLj3EES5_S5_S5_.num_named_barrier, 0
	.set _ZL33flash_attn_stream_k_fixup_generalILi72ELi8ELi2EEvPfPK15HIP_vector_typeIfLj2EEiiiiS1_IjLj3EES5_S5_S5_.private_seg_size, 0
	.set _ZL33flash_attn_stream_k_fixup_generalILi72ELi8ELi2EEvPfPK15HIP_vector_typeIfLj2EEiiiiS1_IjLj3EES5_S5_S5_.uses_vcc, 1
	.set _ZL33flash_attn_stream_k_fixup_generalILi72ELi8ELi2EEvPfPK15HIP_vector_typeIfLj2EEiiiiS1_IjLj3EES5_S5_S5_.uses_flat_scratch, 0
	.set _ZL33flash_attn_stream_k_fixup_generalILi72ELi8ELi2EEvPfPK15HIP_vector_typeIfLj2EEiiiiS1_IjLj3EES5_S5_S5_.has_dyn_sized_stack, 0
	.set _ZL33flash_attn_stream_k_fixup_generalILi72ELi8ELi2EEvPfPK15HIP_vector_typeIfLj2EEiiiiS1_IjLj3EES5_S5_S5_.has_recursion, 0
	.set _ZL33flash_attn_stream_k_fixup_generalILi72ELi8ELi2EEvPfPK15HIP_vector_typeIfLj2EEiiiiS1_IjLj3EES5_S5_S5_.has_indirect_call, 0
	.section	.AMDGPU.csdata,"",@progbits
; Kernel info:
; codeLenInByte = 3352
; TotalNumSgprs: 48
; NumVgprs: 12
; ScratchSize: 0
; MemoryBound: 0
; FloatMode: 240
; IeeeMode: 1
; LDSByteSize: 0 bytes/workgroup (compile time only)
; SGPRBlocks: 0
; VGPRBlocks: 0
; NumSGPRsForWavesPerEU: 48
; NumVGPRsForWavesPerEU: 12
; NamedBarCnt: 0
; Occupancy: 16
; WaveLimiterHint : 0
; COMPUTE_PGM_RSRC2:SCRATCH_EN: 0
; COMPUTE_PGM_RSRC2:USER_SGPR: 2
; COMPUTE_PGM_RSRC2:TRAP_HANDLER: 0
; COMPUTE_PGM_RSRC2:TGID_X_EN: 1
; COMPUTE_PGM_RSRC2:TGID_Y_EN: 1
; COMPUTE_PGM_RSRC2:TGID_Z_EN: 1
; COMPUTE_PGM_RSRC2:TIDIG_COMP_CNT: 0
	.section	.text._ZL15flash_attn_tileILi72ELi72ELi4ELi2ELb0EEvPKcS1_S1_S1_S1_PKiPfP15HIP_vector_typeIfLj2EEffffjfiS5_IjLj3EEiiiiiiiiiiiliiliiiiil,"axG",@progbits,_ZL15flash_attn_tileILi72ELi72ELi4ELi2ELb0EEvPKcS1_S1_S1_S1_PKiPfP15HIP_vector_typeIfLj2EEffffjfiS5_IjLj3EEiiiiiiiiiiiliiliiiiil,comdat
	.globl	_ZL15flash_attn_tileILi72ELi72ELi4ELi2ELb0EEvPKcS1_S1_S1_S1_PKiPfP15HIP_vector_typeIfLj2EEffffjfiS5_IjLj3EEiiiiiiiiiiiliiliiiiil ; -- Begin function _ZL15flash_attn_tileILi72ELi72ELi4ELi2ELb0EEvPKcS1_S1_S1_S1_PKiPfP15HIP_vector_typeIfLj2EEffffjfiS5_IjLj3EEiiiiiiiiiiiliiliiiiil
	.p2align	8
	.type	_ZL15flash_attn_tileILi72ELi72ELi4ELi2ELb0EEvPKcS1_S1_S1_S1_PKiPfP15HIP_vector_typeIfLj2EEffffjfiS5_IjLj3EEiiiiiiiiiiiliiliiiiil,@function
_ZL15flash_attn_tileILi72ELi72ELi4ELi2ELb0EEvPKcS1_S1_S1_S1_PKiPfP15HIP_vector_typeIfLj2EEffffjfiS5_IjLj3EEiiiiiiiiiiiliiliiiiil: ; @_ZL15flash_attn_tileILi72ELi72ELi4ELi2ELb0EEvPKcS1_S1_S1_S1_PKiPfP15HIP_vector_typeIfLj2EEffffjfiS5_IjLj3EEiiiiiiiiiiiliiliiiiil
; %bb.0:
	s_clause 0x1
	s_load_b128 s[20:23], s[0:1], 0x5c
	s_load_b64 s[30:31], s[0:1], 0x80
	s_bfe_u32 s5, ttmp6, 0x40014
	s_lshr_b32 s4, ttmp7, 16
	s_add_co_i32 s5, s5, 1
	s_bfe_u32 s6, ttmp6, 0x40008
	s_mul_i32 s5, s4, s5
	s_getreg_b32 s24, hwreg(HW_REG_IB_STS2, 6, 4)
	s_add_co_i32 s6, s6, s5
	s_mov_b32 s37, 0
	s_mov_b64 s[34:35], 0
	s_wait_kmcnt 0x0
	s_lshr_b32 s2, s23, 31
	s_delay_alu instid0(SALU_CYCLE_1) | instskip(NEXT) | instid1(SALU_CYCLE_1)
	s_add_co_i32 s2, s23, s2
	s_ashr_i32 s2, s2, 1
	s_delay_alu instid0(SALU_CYCLE_1) | instskip(SKIP_1) | instid1(SALU_CYCLE_2)
	s_cvt_f32_u32 s3, s2
	s_sub_co_i32 s7, 0, s2
	v_rcp_iflag_f32_e32 v1, s3
	v_nop
	s_delay_alu instid0(TRANS32_DEP_1) | instskip(SKIP_1) | instid1(SALU_CYCLE_3)
	v_readfirstlane_b32 s3, v1
	s_mul_f32 s3, s3, 0x4f7ffffe
	s_cvt_u32_f32 s3, s3
	s_delay_alu instid0(SALU_CYCLE_3) | instskip(NEXT) | instid1(SALU_CYCLE_1)
	s_mul_i32 s7, s7, s3
	s_mul_hi_u32 s7, s3, s7
	s_delay_alu instid0(SALU_CYCLE_1) | instskip(SKIP_2) | instid1(SALU_CYCLE_1)
	s_add_co_i32 s3, s3, s7
	s_cmp_eq_u32 s24, 0
	s_cselect_b32 s4, s4, s6
	s_mul_hi_u32 s3, s4, s3
	s_delay_alu instid0(SALU_CYCLE_1) | instskip(SKIP_2) | instid1(SALU_CYCLE_1)
	s_mul_i32 s5, s3, s2
	s_add_co_i32 s6, s3, 1
	s_sub_co_i32 s5, s4, s5
	s_sub_co_i32 s7, s5, s2
	s_cmp_ge_u32 s5, s2
	s_cselect_b32 s3, s6, s3
	s_cselect_b32 s5, s7, s5
	s_add_co_i32 s6, s3, 1
	s_cmp_ge_u32 s5, s2
	s_cselect_b32 s28, s6, s3
	s_abs_i32 s2, s31
	s_abs_i32 s6, s23
	s_cvt_f32_u32 s3, s2
	s_sub_co_i32 s5, 0, s2
	s_lshl_b32 s25, s4, 1
	s_xor_b32 s4, s23, s31
	v_rcp_iflag_f32_e32 v1, s3
	s_ashr_i32 s26, s4, 31
	v_nop
	s_delay_alu instid0(TRANS32_DEP_1) | instskip(SKIP_1) | instid1(SALU_CYCLE_3)
	v_readfirstlane_b32 s3, v1
	s_mul_f32 s3, s3, 0x4f7ffffe
	s_cvt_u32_f32 s3, s3
	s_delay_alu instid0(SALU_CYCLE_3) | instskip(NEXT) | instid1(SALU_CYCLE_1)
	s_mul_i32 s5, s5, s3
	s_mul_hi_u32 s5, s3, s5
	s_delay_alu instid0(SALU_CYCLE_1) | instskip(NEXT) | instid1(SALU_CYCLE_1)
	s_add_co_i32 s3, s3, s5
	s_mul_hi_u32 s3, s6, s3
	s_delay_alu instid0(SALU_CYCLE_1) | instskip(NEXT) | instid1(SALU_CYCLE_1)
	s_mul_i32 s5, s3, s2
	s_sub_co_i32 s4, s6, s5
	s_add_co_i32 s5, s3, 1
	s_sub_co_i32 s6, s4, s2
	s_cmp_ge_u32 s4, s2
	s_cselect_b32 s3, s5, s3
	s_cselect_b32 s4, s6, s4
	s_add_co_i32 s5, s3, 1
	s_cmp_ge_u32 s4, s2
	s_cselect_b32 s2, s5, s3
	s_load_b512 s[4:19], s[0:1], 0x0
	s_xor_b32 s27, s2, s26
	s_load_b64 s[2:3], s[0:1], 0xb8
	s_sub_co_i32 s29, s27, s26
	s_delay_alu instid0(SALU_CYCLE_1) | instskip(NEXT) | instid1(SALU_CYCLE_1)
	s_abs_i32 s39, s29
	s_cvt_f32_u32 s26, s39
	s_delay_alu instid0(SALU_CYCLE_3) | instskip(SKIP_2) | instid1(TRANS32_DEP_1)
	v_rcp_iflag_f32_e32 v1, s26
	s_mul_i32 s26, s28, s23
	v_nop
	v_readfirstlane_b32 s36, v1
	s_wait_kmcnt 0x0
	s_cmp_eq_u64 s[10:11], 0
	s_cbranch_scc1 .LBB43_2
; %bb.1:
	s_abs_i32 s2, s2
	s_abs_i32 s33, s28
	s_cvt_f32_u32 s27, s2
	s_sub_co_i32 s31, 0, s2
	s_load_b64 s[34:35], s[0:1], 0xc8
	s_delay_alu instid0(SALU_CYCLE_1) | instskip(SKIP_1) | instid1(TRANS32_DEP_1)
	v_rcp_iflag_f32_e32 v1, s27
	v_nop
	v_readfirstlane_b32 s27, v1
	s_mul_f32 s27, s27, 0x4f7ffffe
	s_delay_alu instid0(SALU_CYCLE_3) | instskip(NEXT) | instid1(SALU_CYCLE_3)
	s_cvt_u32_f32 s27, s27
	s_mul_i32 s31, s31, s27
	s_delay_alu instid0(SALU_CYCLE_1) | instskip(NEXT) | instid1(SALU_CYCLE_1)
	s_mul_hi_u32 s31, s27, s31
	s_add_co_i32 s27, s27, s31
	s_ashr_i32 s31, s28, 31
	s_mul_hi_u32 s27, s33, s27
	s_delay_alu instid0(SALU_CYCLE_1) | instskip(NEXT) | instid1(SALU_CYCLE_1)
	s_mul_i32 s27, s27, s2
	s_sub_co_i32 s27, s33, s27
	s_delay_alu instid0(SALU_CYCLE_1) | instskip(SKIP_2) | instid1(SALU_CYCLE_1)
	s_sub_co_i32 s33, s27, s2
	s_cmp_ge_u32 s27, s2
	s_cselect_b32 s27, s33, s27
	s_sub_co_i32 s33, s27, s2
	s_cmp_ge_u32 s27, s2
	s_cselect_b32 s2, s33, s27
	s_delay_alu instid0(SALU_CYCLE_1) | instskip(NEXT) | instid1(SALU_CYCLE_1)
	s_xor_b32 s2, s2, s31
	s_sub_co_i32 s40, s2, s31
	s_delay_alu instid0(SALU_CYCLE_1) | instskip(SKIP_2) | instid1(SALU_CYCLE_1)
	s_ashr_i32 s41, s40, 31
	s_wait_kmcnt 0x0
	s_mul_u64 s[34:35], s[34:35], s[40:41]
	s_add_nc_u64 s[34:35], s[10:11], s[34:35]
.LBB43_2:
	s_bfe_u32 s2, ttmp6, 0x4000c
	v_and_b32_e32 v14, 0x3ff, v0
	s_add_co_i32 s2, s2, 1
	v_bfe_u32 v5, v0, 10, 10
	s_and_b32 s10, ttmp6, 15
	s_mul_i32 s2, ttmp9, s2
	s_sub_co_i32 s31, s25, s26
	s_add_co_i32 s10, s10, s2
	s_movk_i32 s11, 0x90
	s_cmp_eq_u32 s24, 0
	v_cmp_gt_u32_e64 s2, 18, v14
	v_mad_u32_u24 v13, v5, s11, 0x14e0
	v_dual_lshlrev_b32 v16, 3, v14 :: v_dual_bitop2_b32 v0, 1, v5 bitop3:0x40
	v_lshrrev_b32_e32 v15, 1, v5
	s_cselect_b32 s10, ttmp9, s10
	s_delay_alu instid0(SALU_CYCLE_1)
	s_lshl_b32 s33, s10, 2
	s_and_saveexec_b32 s11, s2
	s_cbranch_execz .LBB43_4
; %bb.3:
	v_add_nc_u32_e32 v2, s33, v15
	s_load_b96 s[40:42], s[0:1], 0x70
	v_lshlrev_b32_e32 v8, 4, v14
	s_delay_alu instid0(VALU_DEP_2) | instskip(NEXT) | instid1(VALU_DEP_1)
	v_mul_hi_u32 v1, s20, v2
	v_add_nc_u32_e32 v1, v2, v1
	s_delay_alu instid0(VALU_DEP_1)
	v_lshrrev_b32_e32 v1, s21, v1
	s_wait_kmcnt 0x0
	s_ashr_i32 s27, s41, 31
	s_mov_b32 s26, s41
	s_mul_i32 s44, s31, s41
	s_lshr_b64 s[26:27], s[26:27], 2
	v_mul_lo_u32 v4, v1, s22
	v_mov_b32_e32 v1, 0
	s_ashr_i32 s41, s40, 31
	s_ashr_i32 s45, s44, 31
	s_delay_alu instid0(VALU_DEP_1) | instskip(SKIP_2) | instid1(VALU_DEP_4)
	v_dual_mov_b32 v3, v1 :: v_dual_mov_b32 v9, v1
	v_mul_u64_e32 v[6:7], s[26:27], v[0:1]
	s_lshr_b64 s[26:27], s[40:41], 2
	v_sub_nc_u32_e32 v2, v2, v4
	s_delay_alu instid0(VALU_DEP_1) | instskip(SKIP_1) | instid1(SALU_CYCLE_1)
	v_mul_u64_e32 v[2:3], s[26:27], v[2:3]
	s_mul_i32 s26, s28, s42
	s_ashr_i32 s27, s26, 31
	s_delay_alu instid0(SALU_CYCLE_1) | instskip(NEXT) | instid1(SALU_CYCLE_1)
	s_add_nc_u64 s[4:5], s[4:5], s[26:27]
	s_add_nc_u64 s[4:5], s[4:5], s[44:45]
	s_delay_alu instid0(VALU_DEP_3) | instid1(SALU_CYCLE_1)
	v_lshl_add_u64 v[6:7], v[6:7], 2, s[4:5]
	s_load_b32 s4, s[0:1], 0x40
	s_delay_alu instid0(VALU_DEP_1) | instskip(NEXT) | instid1(VALU_DEP_1)
	v_lshl_add_u64 v[2:3], v[2:3], 2, v[6:7]
	v_add_nc_u64_e32 v[2:3], v[2:3], v[8:9]
	global_load_b128 v[6:9], v[2:3], off
	s_wait_loadcnt 0x0
	s_wait_kmcnt 0x0
	v_fma_mixlo_f16 v1, s4, v6, 0
	v_mov_b32_e32 v6, v9
	s_delay_alu instid0(VALU_DEP_2) | instskip(NEXT) | instid1(VALU_DEP_2)
	v_and_b32_e32 v1, 0xffff, v1
	v_pk_mul_f32 v[2:3], s[4:5], v[6:7] op_sel_hi:[0,1]
	s_delay_alu instid0(VALU_DEP_1) | instskip(SKIP_1) | instid1(VALU_DEP_2)
	v_cvt_pk_f16_f32 v2, v2, v3
	v_fma_mixlo_f16 v3, s4, v8, 0
	v_and_b32_e32 v4, 0xffff0000, v2
	s_delay_alu instid0(VALU_DEP_2) | instskip(NEXT) | instid1(VALU_DEP_2)
	v_and_b32_e32 v3, 0xffff, v3
	v_dual_lshlrev_b32 v2, 16, v2 :: v_dual_bitop2_b32 v1, v4, v1 bitop3:0x54
	v_add_nc_u32_e32 v4, v13, v16
	s_delay_alu instid0(VALU_DEP_2) | instskip(NEXT) | instid1(VALU_DEP_3)
	v_or3_b32 v3, v2, v3, 0
	v_or3_b32 v2, 0, 0, v1
	ds_store_b64 v4, v[2:3]
.LBB43_4:
	s_or_b32 exec_lo, exec_lo, s11
	s_cmp_eq_u64 s[14:15], 0
	s_wait_dscnt 0x0
	s_barrier_signal -1
	s_barrier_wait -1
	s_cbranch_scc1 .LBB43_6
; %bb.5:
	s_load_b32 s4, s[0:1], 0xd0
	s_wait_kmcnt 0x0
	s_mul_i32 s4, s4, s28
	s_delay_alu instid0(SALU_CYCLE_1)
	s_add_co_i32 s4, s4, s10
	s_load_b32 s30, s[14:15], s4 offset:0x0 scale_offset
.LBB43_6:
	s_wait_xcnt 0x0
	s_bfe_u32 s4, ttmp6, 0x40010
	s_and_b32 s5, ttmp7, 0xffff
	s_add_co_i32 s4, s4, 1
	s_bfe_u32 s10, ttmp6, 0x40004
	s_mul_i32 s4, s5, s4
	v_mbcnt_lo_u32_b32 v1, -1, 0
	s_add_co_i32 s10, s10, s4
	s_cmp_eq_u32 s24, 0
	s_cselect_b32 s38, s5, s10
	s_mov_b32 s5, 0
	s_lshl_b32 s4, s38, 5
	s_wait_kmcnt 0x0
	s_cmp_lt_i32 s4, s30
	s_cbranch_scc1 .LBB43_9
; %bb.7:
	v_mbcnt_lo_u32_b32 v2, -1, 0
	s_delay_alu instid0(VALU_DEP_1)
	v_dual_mov_b32 v17, 32 :: v_dual_bitop2_b32 v22, 16, v2 bitop3:0x14
	v_xor_b32_e32 v21, 8, v2
	v_xor_b32_e32 v20, 4, v2
	;; [unrolled: 1-line block ×4, first 2 shown]
	s_and_not1_b32 vcc_lo, exec_lo, s5
	s_cbranch_vccz .LBB43_10
; %bb.8:
	v_dual_mov_b32 v32, 0 :: v_dual_mov_b32 v34, 0
	v_dual_mov_b32 v12, 0xfeffffff :: v_dual_mov_b32 v33, 0
	s_branch .LBB43_18
.LBB43_9:
                                        ; implicit-def: $vgpr2
                                        ; implicit-def: $vgpr17
                                        ; implicit-def: $vgpr22
                                        ; implicit-def: $vgpr21
                                        ; implicit-def: $vgpr20
                                        ; implicit-def: $vgpr19
                                        ; implicit-def: $vgpr18
.LBB43_10:
	v_dual_add_nc_u32 v9, s33, v15 :: v_dual_lshrrev_b32 v3, 3, v14
	s_clause 0x1
	s_load_b64 s[14:15], s[0:1], 0x8c
	s_load_b128 s[24:27], s[0:1], 0x98
	s_mul_f32 s5, s36, 0x4f7ffffe
	v_dual_mov_b32 v7, 0 :: v_dual_lshlrev_b32 v4, 2, v14
	v_mul_hi_u32 v2, s20, v9
	s_delay_alu instid0(SALU_CYCLE_1)
	s_cvt_u32_f32 s5, s5
	s_sub_co_i32 s10, 0, s39
	v_lshl_add_u32 v12, v5, 2, v3
	s_abs_i32 s36, s31
	s_mul_i32 s10, s10, s5
	s_mov_b32 s11, s37
	s_mul_hi_u32 s10, s5, s10
	s_load_b64 s[40:41], s[0:1], 0xa8
	s_add_co_i32 s10, s5, s10
	s_delay_alu instid0(VALU_DEP_2)
	v_dual_add_nc_u32 v2, v9, v2 :: v_dual_bitop2_b32 v6, 28, v4 bitop3:0x40
	s_mul_u64 s[10:11], s[36:37], s[10:11]
	s_ashr_i32 s42, s31, 31
	s_mul_i32 s5, s11, s39
	s_ashr_i32 s43, s29, 31
	v_lshrrev_b32_e32 v3, s21, v2
	s_sub_co_i32 s5, s36, s5
	s_ashr_i32 s3, s3, 1
	s_ashr_i32 s29, s28, 31
	s_xor_b32 s37, s42, s43
	v_mul_lo_u32 v17, v3, s22
	s_wait_kmcnt 0x0
	s_ashr_i32 s10, s26, 2
	s_ashr_i32 s14, s14, 2
	s_add_co_i32 s26, s11, 1
	s_sub_co_i32 s36, s5, s39
	v_lshl_add_u32 v11, v5, 5, v14
	s_cmp_ge_u32 s5, s39
	v_mul_lo_u32 v2, s14, v12
	s_cselect_b32 s11, s26, s11
	s_cselect_b32 s5, s36, s5
	s_add_co_i32 s26, s11, 1
	v_mul_lo_u32 v4, s14, v11
	v_mul_lo_u32 v8, s10, v11
	;; [unrolled: 1-line block ×3, first 2 shown]
	v_sub_nc_u32_e32 v9, v9, v17
	s_cmp_ge_u32 s5, s39
	v_lshlrev_b32_e32 v18, 2, v6
	s_cselect_b32 s5, s26, s11
	v_lshl_add_u32 v25, v5, 6, 0x1960
	s_xor_b32 s5, s5, s37
	v_mad_u32 v27, v9, s3, v14
	s_mul_u64 s[24:25], s[24:25], s[28:29]
	s_sub_co_i32 s5, s5, s37
	s_add_nc_u64 s[6:7], s[6:7], s[24:25]
	s_mul_i32 s24, s5, s15
	s_mul_i32 s20, s5, s27
	s_movk_i32 s5, 0x80
	s_movk_i32 s3, 0x90
	s_mul_u64 s[36:37], s[40:41], s[28:29]
	v_cmp_gt_u32_e32 vcc_lo, 32, v11
	v_dual_ashrrev_i32 v3, 31, v2 :: v_dual_ashrrev_i32 v9, 31, v8
	v_mul_u32_u24_e32 v24, 0xa0, v14
	v_ashrrev_i32_e32 v5, 31, v4
	v_mad_u32_u24 v23, 0xa0, v12, v18
	v_mad_u32_u24 v26, 0xa0, v11, s5
	v_lshl_add_u32 v28, v14, 1, v25
	v_mad_u32_u24 v29, v11, s3, 0x80
	v_dual_ashrrev_i32 v11, 31, v10 :: v_dual_mov_b32 v17, 32
	v_mad_u32_u24 v30, 0x90, v12, v18
	v_dual_mov_b32 v35, 0xfeffffff :: v_dual_lshlrev_b32 v6, 2, v6
	v_dual_mov_b32 v33, v7 :: v_dual_bitop2_b32 v22, 16, v1 bitop3:0x14
	v_dual_mov_b32 v32, v7 :: v_dual_bitop2_b32 v21, 8, v1 bitop3:0x14
	;; [unrolled: 1-line block ×3, first 2 shown]
	v_xor_b32_e32 v19, 2, v1
	v_xor_b32_e32 v18, 1, v1
	s_ashr_i32 s25, s24, 31
	s_add_nc_u64 s[8:9], s[8:9], s[36:37]
	s_ashr_i32 s21, s20, 31
	s_add_nc_u64 s[6:7], s[6:7], s[24:25]
	s_add_nc_u64 s[8:9], s[8:9], s[20:21]
	s_ashr_i32 s15, s14, 31
	s_ashr_i32 s11, s10, 31
	s_add_nc_u64 s[20:21], s[0:1], 0xd0
.LBB43_11:                              ; =>This Inner Loop Header: Depth=1
	s_ashr_i32 s5, s4, 31
	s_delay_alu instid0(SALU_CYCLE_1) | instskip(NEXT) | instid1(SALU_CYCLE_1)
	s_mul_u64 s[24:25], s[4:5], s[14:15]
	s_lshl_b64 s[24:25], s[24:25], 2
	s_delay_alu instid0(SALU_CYCLE_1)
	s_add_nc_u64 s[24:25], s[6:7], s[24:25]
	s_and_saveexec_b32 s3, vcc_lo
	s_cbranch_execz .LBB43_13
; %bb.12:                               ;   in Loop: Header=BB43_11 Depth=1
	v_lshl_add_u64 v[36:37], v[4:5], 2, s[24:25]
	global_load_b128 v[36:39], v[36:37], off offset:128
	s_wait_loadcnt 0x0
	ds_store_b128 v26, v[36:39]
.LBB43_13:                              ;   in Loop: Header=BB43_11 Depth=1
	s_or_b32 exec_lo, exec_lo, s3
	v_lshl_add_u64 v[36:37], v[2:3], 2, s[24:25]
	v_dual_mov_b32 v34, 0 :: v_dual_add_nc_u32 v12, s4, v27
	v_cmp_gt_i32_e64 s3, 32, v22
	s_mul_u64 s[24:25], s[4:5], s[10:11]
	v_add_nc_u64_e32 v[36:37], v[36:37], v[6:7]
	s_lshl_b64 s[24:25], s[24:25], 2
	s_delay_alu instid0(SALU_CYCLE_1)
	s_add_nc_u64 s[24:25], s[8:9], s[24:25]
	global_load_b128 v[36:39], v[36:37], off
	s_wait_loadcnt 0x0
	ds_store_b128 v23, v[36:39]
	s_wait_dscnt 0x0
	s_barrier_signal -1
	s_barrier_wait -1
	ds_load_b128 v[36:39], v24
	ds_load_b128 v[40:43], v13
	s_wait_dscnt 0x0
	;;#ASMSTART
	v_dot2_f32_f16 v34, v36, v40, v34
	;;#ASMEND
	;;#ASMSTART
	v_dot2_f32_f16 v34, v37, v41, v34
	;;#ASMEND
	;;#ASMSTART
	v_dot2_f32_f16 v34, v38, v42, v34
	;;#ASMEND
	;;#ASMSTART
	v_dot2_f32_f16 v34, v39, v43, v34
	;;#ASMEND
	ds_load_b128 v[36:39], v24 offset:16
	ds_load_b128 v[40:43], v13 offset:16
	s_wait_dscnt 0x0
	;;#ASMSTART
	v_dot2_f32_f16 v34, v36, v40, v34
	;;#ASMEND
	;;#ASMSTART
	v_dot2_f32_f16 v34, v37, v41, v34
	;;#ASMEND
	;;#ASMSTART
	v_dot2_f32_f16 v34, v38, v42, v34
	;;#ASMEND
	;;#ASMSTART
	v_dot2_f32_f16 v34, v39, v43, v34
	;;#ASMEND
	ds_load_b128 v[36:39], v24 offset:32
	ds_load_b128 v[40:43], v13 offset:32
	;; [unrolled: 15-line block ×8, first 2 shown]
	s_wait_dscnt 0x0
	;;#ASMSTART
	v_dot2_f32_f16 v34, v36, v40, v34
	;;#ASMEND
	;;#ASMSTART
	v_dot2_f32_f16 v34, v37, v41, v34
	;;#ASMEND
	;; [unrolled: 3-line block ×4, first 2 shown]
	global_load_u16 v12, v12, s[34:35] scale_offset
	s_wait_loadcnt 0x0
	s_barrier_signal -1
	s_barrier_wait -1
	s_wait_xcnt 0x0
	v_cvt_f32_f16_e32 v12, v12
	s_delay_alu instid0(VALU_DEP_1) | instskip(SKIP_2) | instid1(VALU_DEP_3)
	v_dual_add_f32 v34, v34, v12 :: v_dual_cndmask_b32 v12, v1, v22, s3
	v_max_num_f32_e32 v36, v35, v35
	v_cmp_gt_i32_e64 s3, 32, v21
	v_dual_add_f32 v37, 0x40051340, v34 :: v_dual_lshlrev_b32 v12, 2, v12
	s_delay_alu instid0(VALU_DEP_1) | instskip(SKIP_4) | instid1(VALU_DEP_2)
	v_max_num_f32_e32 v36, v36, v37
	ds_bpermute_b32 v12, v12, v36
	v_cndmask_b32_e64 v37, v1, v21, s3
	v_cmp_gt_i32_e64 s3, 32, v20
	s_wait_dscnt 0x0
	v_dual_max_num_f32 v12, v12, v12 :: v_dual_lshlrev_b32 v37, 2, v37
	s_delay_alu instid0(VALU_DEP_1) | instskip(SKIP_4) | instid1(VALU_DEP_2)
	v_max_num_f32_e32 v12, v36, v12
	ds_bpermute_b32 v36, v37, v12
	v_cndmask_b32_e64 v37, v1, v20, s3
	v_cmp_gt_i32_e64 s3, 32, v19
	s_wait_dscnt 0x0
	v_dual_max_num_f32 v36, v36, v36 :: v_dual_lshlrev_b32 v37, 2, v37
	;; [unrolled: 7-line block ×3, first 2 shown]
	s_delay_alu instid0(VALU_DEP_1) | instskip(SKIP_3) | instid1(VALU_DEP_1)
	v_max_num_f32_e32 v12, v12, v36
	ds_bpermute_b32 v36, v37, v12
	v_cndmask_b32_e64 v37, v1, v18, s3
	s_wait_dscnt 0x0
	v_dual_max_num_f32 v36, v36, v36 :: v_dual_lshlrev_b32 v37, 2, v37
	s_delay_alu instid0(VALU_DEP_1) | instskip(SKIP_3) | instid1(VALU_DEP_1)
	v_max_num_f32_e32 v12, v12, v36
	ds_bpermute_b32 v36, v37, v12
	s_wait_dscnt 0x0
	v_max_num_f32_e32 v36, v36, v36
	v_max_num_f32_e32 v12, v12, v36
	s_delay_alu instid0(VALU_DEP_1) | instskip(NEXT) | instid1(VALU_DEP_1)
	v_sub_f32_e32 v34, v34, v12
	v_mul_f32_e32 v36, 0x3fb8aa3b, v34
	s_delay_alu instid0(VALU_DEP_1) | instskip(SKIP_1) | instid1(VALU_DEP_2)
	v_fma_f32 v37, 0x3fb8aa3b, v34, -v36
	v_rndne_f32_e32 v38, v36
	v_fmac_f32_e32 v37, 0x32a5705f, v34
	s_delay_alu instid0(VALU_DEP_2) | instskip(NEXT) | instid1(VALU_DEP_1)
	v_sub_f32_e32 v36, v36, v38
	v_add_f32_e32 v36, v36, v37
	v_cvt_i32_f32_e32 v37, v38
	v_cmp_ngt_f32_e64 s3, 0xc2ce8ed0, v34
	s_delay_alu instid0(VALU_DEP_3) | instskip(SKIP_1) | instid1(TRANS32_DEP_1)
	v_exp_f32_e32 v36, v36
	v_nop
	v_ldexp_f32 v36, v36, v37
	s_delay_alu instid0(VALU_DEP_1) | instskip(SKIP_1) | instid1(VALU_DEP_1)
	v_cndmask_b32_e64 v36, 0, v36, s3
	v_cmp_nlt_f32_e64 s3, 0x42b17218, v34
	v_cndmask_b32_e64 v34, 0x7f800000, v36, s3
	s_delay_alu instid0(VALU_DEP_1)
	v_cvt_f16_f32_e32 v36, v34
	ds_store_b16 v28, v36
	s_and_saveexec_b32 s3, vcc_lo
	s_cbranch_execz .LBB43_15
; %bb.14:                               ;   in Loop: Header=BB43_11 Depth=1
	v_lshl_add_u64 v[36:37], v[8:9], 2, s[24:25]
	global_load_b128 v[36:39], v[36:37], off offset:128
	s_wait_loadcnt 0x0
	ds_store_b128 v29, v[36:39]
.LBB43_15:                              ;   in Loop: Header=BB43_11 Depth=1
	s_or_b32 exec_lo, exec_lo, s3
	v_lshl_add_u64 v[36:37], v[10:11], 2, s[24:25]
	v_sub_f32_e32 v35, v35, v12
	v_add_nc_u32_e32 v60, 0x800, v16
	s_delay_alu instid0(VALU_DEP_3)
	v_add_nc_u64_e32 v[36:37], v[36:37], v[6:7]
	global_load_b128 v[36:39], v[36:37], off
	s_wait_loadcnt 0x0
	ds_store_b128 v30, v[36:39]
	s_wait_dscnt 0x0
	s_barrier_signal -1
	s_barrier_wait -1
	ds_load_b128 v[36:39], v25
	v_mul_f32_e32 v40, 0x3fb8aa3b, v35
	s_delay_alu instid0(VALU_DEP_1) | instskip(SKIP_1) | instid1(VALU_DEP_1)
	v_fma_f32 v41, 0x3fb8aa3b, v35, -v40
	v_rndne_f32_e32 v42, v40
	v_dual_sub_f32 v40, v40, v42 :: v_dual_fmac_f32 v41, 0x32a5705f, v35
	v_cmp_ngt_f32_e64 s3, 0xc2ce8ed0, v35
	s_delay_alu instid0(VALU_DEP_2) | instskip(SKIP_1) | instid1(VALU_DEP_2)
	v_add_f32_e32 v40, v40, v41
	v_cvt_i32_f32_e32 v41, v42
	v_exp_f32_e32 v40, v40
	v_nop
	s_delay_alu instid0(TRANS32_DEP_1) | instskip(NEXT) | instid1(VALU_DEP_1)
	v_ldexp_f32 v40, v40, v41
	v_cndmask_b32_e64 v44, 0, v40, s3
	ds_load_2addr_b64 v[40:43], v16 offset1:18
	v_cmp_nlt_f32_e64 s3, 0x42b17218, v35
	s_delay_alu instid0(VALU_DEP_1)
	v_cndmask_b32_e64 v35, 0x7f800000, v44, s3
	ds_load_b128 v[44:47], v25 offset:16
	s_wait_dscnt 0x2
	v_and_b32_e32 v52, 0xffff, v36
	v_lshrrev_b32_e32 v36, 16, v36
	v_and_b32_e32 v57, 0xffff, v37
	v_cvt_f16_f32_e32 v48, v35
	v_lshrrev_b32_e32 v37, 16, v37
	v_mul_u32_u24_e32 v52, 0x10001, v52
	v_mul_u32_u24_e32 v36, 0x10001, v36
	v_dual_fmac_f32 v34, v31, v35 :: v_dual_add_nc_u32 v61, 0xc00, v16
	v_and_b32_e32 v53, 0xffff, v48
	ds_load_2addr_b64 v[48:51], v16 offset0:36 offset1:54
	v_mul_u32_u24_e32 v37, 0x10001, v37
	s_wait_dscnt 0x2
	v_pk_mul_f16 v40, v40, v52
	v_pk_mul_f16 v41, v41, v52
	v_mul_u32_u24_e32 v56, 0x10001, v53
	ds_load_2addr_b64 v[52:55], v16 offset0:72 offset1:90
	v_pk_fma_f16 v33, v33, v56, v40
	v_pk_fma_f16 v32, v32, v56, v41
	v_mul_u32_u24_e32 v56, 0x10001, v57
	s_wait_dscnt 0x2
	v_and_b32_e32 v57, 0xffff, v45
	v_lshrrev_b32_e32 v45, 16, v45
	v_pk_fma_f16 v33, v42, v36, v33
	v_pk_fma_f16 v32, v43, v36, v32
	ds_load_2addr_b64 v[40:43], v16 offset0:108 offset1:126
	v_and_b32_e32 v36, 0xffff, v38
	v_lshrrev_b32_e32 v38, 16, v38
	v_mul_u32_u24_e32 v57, 0x10001, v57
	s_wait_dscnt 0x2
	v_pk_fma_f16 v33, v48, v56, v33
	v_pk_fma_f16 v32, v49, v56, v32
	v_mul_u32_u24_e32 v36, 0x10001, v36
	v_mul_u32_u24_e32 v38, 0x10001, v38
	v_add_nc_u32_e32 v56, 0x400, v16
	v_pk_fma_f16 v33, v50, v37, v33
	v_pk_fma_f16 v32, v51, v37, v32
	ds_load_2addr_b64 v[48:51], v16 offset0:144 offset1:162
	v_and_b32_e32 v37, 0xffff, v39
	v_mul_u32_u24_e32 v45, 0x10001, v45
	s_wait_dscnt 0x2
	v_pk_fma_f16 v33, v52, v36, v33
	v_pk_fma_f16 v32, v53, v36, v32
	v_lshrrev_b32_e32 v52, 16, v39
	v_mul_u32_u24_e32 v53, 0x10001, v37
	s_delay_alu instid0(VALU_DEP_4) | instskip(NEXT) | instid1(VALU_DEP_4)
	v_pk_fma_f16 v33, v54, v38, v33
	v_pk_fma_f16 v32, v55, v38, v32
	ds_load_2addr_b64 v[36:39], v16 offset0:180 offset1:198
	v_and_b32_e32 v54, 0xffff, v44
	v_mul_u32_u24_e32 v52, 0x10001, v52
	s_wait_dscnt 0x2
	v_pk_fma_f16 v33, v40, v53, v33
	v_pk_fma_f16 v32, v41, v53, v32
	v_lshrrev_b32_e32 v44, 16, v44
	v_mul_u32_u24_e32 v53, 0x10001, v54
	s_delay_alu instid0(VALU_DEP_4) | instskip(NEXT) | instid1(VALU_DEP_4)
	v_pk_fma_f16 v33, v42, v52, v33
	v_pk_fma_f16 v32, v43, v52, v32
	ds_load_2addr_b64 v[40:43], v16 offset0:216 offset1:234
	v_mul_u32_u24_e32 v44, 0x10001, v44
	s_wait_dscnt 0x2
	v_pk_fma_f16 v33, v48, v53, v33
	v_pk_fma_f16 v32, v49, v53, v32
	ds_load_b128 v[52:55], v25 offset:32
	v_pk_fma_f16 v33, v50, v44, v33
	v_pk_fma_f16 v32, v51, v44, v32
	ds_load_2addr_b64 v[48:51], v56 offset0:124 offset1:142
	v_and_b32_e32 v44, 0xffff, v46
	v_lshrrev_b32_e32 v46, 16, v46
	s_wait_dscnt 0x3
	v_pk_fma_f16 v33, v36, v57, v33
	v_pk_fma_f16 v32, v37, v57, v32
	ds_load_b128 v[56:59], v25 offset:48
	v_mul_u32_u24_e32 v44, 0x10001, v44
	v_pk_fma_f16 v33, v38, v45, v33
	v_pk_fma_f16 v32, v39, v45, v32
	ds_load_2addr_b64 v[36:39], v60 offset0:32 offset1:50
	v_and_b32_e32 v45, 0xffff, v47
	s_wait_dscnt 0x4
	v_pk_fma_f16 v33, v40, v44, v33
	v_pk_fma_f16 v32, v41, v44, v32
	v_lshrrev_b32_e32 v44, 16, v47
	v_mul_u32_u24_e32 v46, 0x10001, v46
	v_mul_u32_u24_e32 v45, 0x10001, v45
	s_wait_dscnt 0x3
	v_and_b32_e32 v64, 0xffff, v55
	v_mul_u32_u24_e32 v44, 0x10001, v44
	v_pk_fma_f16 v33, v42, v46, v33
	v_pk_fma_f16 v32, v43, v46, v32
	ds_load_2addr_b64 v[40:43], v60 offset0:68 offset1:86
	v_and_b32_e32 v46, 0xffff, v52
	s_wait_dscnt 0x3
	v_pk_fma_f16 v33, v48, v45, v33
	v_pk_fma_f16 v32, v49, v45, v32
	v_lshrrev_b32_e32 v48, 16, v52
	v_mul_u32_u24_e32 v49, 0x10001, v46
	v_add_nc_u32_e32 v52, 0x1000, v16
	v_pk_fma_f16 v33, v50, v44, v33
	v_pk_fma_f16 v32, v51, v44, v32
	ds_load_2addr_b64 v[44:47], v60 offset0:104 offset1:122
	v_and_b32_e32 v50, 0xffff, v53
	s_wait_dscnt 0x2
	v_pk_fma_f16 v33, v36, v49, v33
	v_pk_fma_f16 v32, v37, v49, v32
	v_lshrrev_b32_e32 v49, 16, v53
	v_mul_u32_u24_e32 v48, 0x10001, v48
	v_mul_u32_u24_e32 v50, 0x10001, v50
	v_and_b32_e32 v53, 0xffff, v54
	v_lshrrev_b32_e32 v54, 16, v54
	v_mul_u32_u24_e32 v62, 0x10001, v49
	v_pk_fma_f16 v33, v38, v48, v33
	v_pk_fma_f16 v32, v39, v48, v32
	ds_load_2addr_b64 v[36:39], v60 offset0:140 offset1:158
	v_mul_u32_u24_e32 v53, 0x10001, v53
	s_wait_dscnt 0x2
	v_pk_fma_f16 v33, v40, v50, v33
	v_pk_fma_f16 v32, v41, v50, v32
	ds_load_2addr_b64 v[48:51], v60 offset0:176 offset1:194
	v_pk_fma_f16 v33, v42, v62, v33
	v_pk_fma_f16 v32, v43, v62, v32
	ds_load_2addr_b64 v[40:43], v60 offset0:212 offset1:230
	ds_load_2addr_b64 v[60:63], v61 offset0:120 offset1:138
	s_wait_dscnt 0x4
	v_pk_fma_f16 v33, v44, v53, v33
	v_pk_fma_f16 v32, v45, v53, v32
	v_lshrrev_b32_e32 v53, 16, v55
	v_mul_u32_u24_e32 v54, 0x10001, v54
	v_mul_u32_u24_e32 v55, 0x10001, v64
	s_delay_alu instid0(VALU_DEP_3) | instskip(NEXT) | instid1(VALU_DEP_3)
	v_mul_u32_u24_e32 v53, 0x10001, v53
	v_pk_fma_f16 v33, v46, v54, v33
	v_pk_fma_f16 v32, v47, v54, v32
	ds_load_2addr_b64 v[44:47], v52 offset0:28 offset1:46
	v_and_b32_e32 v52, 0xffff, v56
	s_wait_dscnt 0x0
	v_pk_fma_f16 v33, v36, v55, v33
	v_pk_fma_f16 v32, v37, v55, v32
	v_lshrrev_b32_e32 v36, 16, v56
	v_mul_u32_u24_e32 v37, 0x10001, v52
	s_barrier_signal -1
	v_pk_fma_f16 v33, v38, v53, v33
	v_pk_fma_f16 v32, v39, v53, v32
	v_and_b32_e32 v38, 0xffff, v57
	s_barrier_wait -1
	s_delay_alu instid0(VALU_DEP_3) | instskip(NEXT) | instid1(VALU_DEP_3)
	v_pk_fma_f16 v33, v48, v37, v33
	v_pk_fma_f16 v32, v49, v37, v32
	v_lshrrev_b32_e32 v37, 16, v57
	v_mul_u32_u24_e32 v36, 0x10001, v36
	v_mul_u32_u24_e32 v38, 0x10001, v38
	s_load_b32 s3, s[20:21], 0x4
	s_delay_alu instid0(VALU_DEP_3) | instskip(NEXT) | instid1(VALU_DEP_3)
	v_mul_u32_u24_e32 v37, 0x10001, v37
	v_pk_fma_f16 v33, v50, v36, v33
	v_pk_fma_f16 v32, v51, v36, v32
	v_and_b32_e32 v36, 0xffff, v58
	s_delay_alu instid0(VALU_DEP_3) | instskip(NEXT) | instid1(VALU_DEP_3)
	v_pk_fma_f16 v33, v40, v38, v33
	v_pk_fma_f16 v32, v41, v38, v32
	v_lshrrev_b32_e32 v38, 16, v58
	s_delay_alu instid0(VALU_DEP_4) | instskip(NEXT) | instid1(VALU_DEP_4)
	v_mul_u32_u24_e32 v36, 0x10001, v36
	v_pk_fma_f16 v33, v42, v37, v33
	s_delay_alu instid0(VALU_DEP_4) | instskip(SKIP_1) | instid1(VALU_DEP_3)
	v_pk_fma_f16 v32, v43, v37, v32
	v_and_b32_e32 v37, 0xffff, v59
	v_pk_fma_f16 v33, v60, v36, v33
	s_delay_alu instid0(VALU_DEP_3)
	v_pk_fma_f16 v32, v61, v36, v32
	v_lshrrev_b32_e32 v36, 16, v59
	v_mul_u32_u24_e32 v38, 0x10001, v38
	v_mul_u32_u24_e32 v37, 0x10001, v37
	s_wait_kmcnt 0x0
	s_lshl_b32 s3, s3, 5
	v_mul_u32_u24_e32 v36, 0x10001, v36
	v_pk_fma_f16 v33, v62, v38, v33
	v_pk_fma_f16 v32, v63, v38, v32
	s_add_co_i32 s4, s3, s4
	s_delay_alu instid0(SALU_CYCLE_1) | instskip(NEXT) | instid1(VALU_DEP_2)
	s_cmp_ge_i32 s4, s30
	v_pk_fma_f16 v33, v44, v37, v33
	s_delay_alu instid0(VALU_DEP_2) | instskip(NEXT) | instid1(VALU_DEP_2)
	v_pk_fma_f16 v32, v45, v37, v32
	v_pk_fma_f16 v33, v46, v36, v33
	s_delay_alu instid0(VALU_DEP_2)
	v_pk_fma_f16 v32, v47, v36, v32
	s_cbranch_scc1 .LBB43_17
; %bb.16:                               ;   in Loop: Header=BB43_11 Depth=1
	v_dual_mov_b32 v35, v12 :: v_dual_mov_b32 v31, v34
	s_branch .LBB43_11
.LBB43_17:
	v_mov_b32_e32 v2, v1
.LBB43_18:
	v_cmp_lt_i32_e32 vcc_lo, v22, v17
	s_cmp_lg_u64 s[12:13], 0
	s_cselect_b32 s3, -1, 0
	s_cmp_eq_u32 s38, 0
	v_cndmask_b32_e32 v1, v2, v22, vcc_lo
	v_cmp_lt_i32_e32 vcc_lo, v21, v17
	s_cselect_b32 s4, -1, 0
	s_delay_alu instid0(SALU_CYCLE_1) | instskip(SKIP_3) | instid1(VALU_DEP_3)
	s_and_b32 s3, s4, s3
	v_cndmask_b32_e32 v3, v2, v21, vcc_lo
	v_lshlrev_b32_e32 v1, 2, v1
	v_cmp_lt_i32_e32 vcc_lo, v20, v17
	v_lshlrev_b32_e32 v3, 2, v3
	ds_bpermute_b32 v1, v1, v34
	v_cndmask_b32_e32 v4, v2, v20, vcc_lo
	v_cmp_lt_i32_e32 vcc_lo, v19, v17
	s_wait_dscnt 0x0
	s_delay_alu instid0(VALU_DEP_2)
	v_dual_add_f32 v1, v34, v1 :: v_dual_lshlrev_b32 v4, 2, v4
	ds_bpermute_b32 v3, v3, v1
	s_wait_dscnt 0x0
	v_add_f32_e32 v1, v1, v3
	ds_bpermute_b32 v3, v4, v1
	v_cndmask_b32_e32 v4, v2, v19, vcc_lo
	v_cmp_lt_i32_e32 vcc_lo, v18, v17
	s_delay_alu instid0(VALU_DEP_2)
	v_dual_cndmask_b32 v2, v2, v18, vcc_lo :: v_dual_lshlrev_b32 v4, 2, v4
	s_and_b32 vcc_lo, exec_lo, s3
	s_wait_dscnt 0x0
	v_add_f32_e32 v1, v1, v3
	ds_bpermute_b32 v3, v4, v1
	s_wait_dscnt 0x0
	v_dual_add_f32 v1, v1, v3 :: v_dual_lshlrev_b32 v2, 2, v2
	ds_bpermute_b32 v2, v2, v1
	s_wait_dscnt 0x0
	v_add_f32_e32 v13, v1, v2
	s_cbranch_vccz .LBB43_21
; %bb.19:
	v_max_num_f32_e32 v2, v12, v12
	v_add_nc_u32_e32 v1, s31, v0
	global_load_b32 v1, v1, s[12:13] scale_offset
	s_wait_loadcnt 0x0
	v_max_num_f32_e32 v3, v1, v1
	s_delay_alu instid0(VALU_DEP_1) | instskip(NEXT) | instid1(VALU_DEP_1)
	v_max_num_f32_e32 v2, v2, v3
	v_dual_sub_f32 v3, v12, v2 :: v_dual_sub_f32 v1, v1, v2
	s_delay_alu instid0(VALU_DEP_1) | instskip(SKIP_1) | instid1(VALU_DEP_2)
	v_dual_mul_f32 v4, 0x3fb8aa3b, v3 :: v_dual_mul_f32 v7, 0x3fb8aa3b, v1
	v_cmp_ngt_f32_e32 vcc_lo, 0xc2ce8ed0, v3
	v_fma_f32 v5, 0x3fb8aa3b, v3, -v4
	v_rndne_f32_e32 v6, v4
	s_delay_alu instid0(VALU_DEP_4) | instskip(SKIP_1) | instid1(VALU_DEP_3)
	v_fma_f32 v8, 0x3fb8aa3b, v1, -v7
	v_rndne_f32_e32 v9, v7
	v_dual_fmac_f32 v5, 0x32a5705f, v3 :: v_dual_sub_f32 v4, v4, v6
	s_delay_alu instid0(VALU_DEP_3) | instskip(SKIP_1) | instid1(VALU_DEP_3)
	v_fmac_f32_e32 v8, 0x32a5705f, v1
	v_cvt_i32_f32_e32 v6, v6
	v_add_f32_e32 v4, v4, v5
	v_sub_f32_e32 v5, v7, v9
	s_delay_alu instid0(VALU_DEP_1) | instskip(NEXT) | instid1(VALU_DEP_3)
	v_add_f32_e32 v5, v5, v8
	v_exp_f32_e32 v4, v4
	s_delay_alu instid0(VALU_DEP_1) | instskip(NEXT) | instid1(TRANS32_DEP_2)
	v_exp_f32_e32 v5, v5
	v_ldexp_f32 v4, v4, v6
	v_cvt_i32_f32_e32 v6, v9
	s_delay_alu instid0(VALU_DEP_2)
	v_cndmask_b32_e32 v4, 0, v4, vcc_lo
	v_cmp_nlt_f32_e32 vcc_lo, 0x42b17218, v3
	s_delay_alu instid0(TRANS32_DEP_1) | instid1(VALU_DEP_3)
	v_ldexp_f32 v3, v5, v6
	s_delay_alu instid0(VALU_DEP_3) | instskip(SKIP_1) | instid1(VALU_DEP_2)
	v_cndmask_b32_e32 v4, 0x7f800000, v4, vcc_lo
	v_cmp_ngt_f32_e32 vcc_lo, 0xc2ce8ed0, v1
	v_cvt_f16_f32_e32 v5, v4
	s_delay_alu instid0(VALU_DEP_4) | instskip(SKIP_1) | instid1(VALU_DEP_3)
	v_cndmask_b32_e32 v3, 0, v3, vcc_lo
	v_cmp_nlt_f32_e32 vcc_lo, 0x42b17218, v1
	v_and_b32_e32 v5, 0xffff, v5
	s_delay_alu instid0(VALU_DEP_3) | instskip(NEXT) | instid1(VALU_DEP_2)
	v_cndmask_b32_e32 v3, 0x7f800000, v3, vcc_lo
	v_mul_u32_u24_e32 v1, 0x10001, v5
	s_delay_alu instid0(VALU_DEP_2) | instskip(NEXT) | instid1(VALU_DEP_2)
	v_fmac_f32_e32 v3, v13, v4
	v_pk_mul_f16 v33, v33, v1
	v_pk_mul_f16 v32, v32, v1
	s_delay_alu instid0(VALU_DEP_3) | instskip(SKIP_2) | instid1(VALU_DEP_1)
	v_mov_b64_e32 v[12:13], v[2:3]
	v_add_nc_u32_e32 v1, s33, v15
	s_mov_b32 s3, exec_lo
	v_cmpx_gt_i32_e64 s22, v1
	s_cbranch_execnz .LBB43_22
.LBB43_20:
	s_sendmsg sendmsg(MSG_DEALLOC_VGPRS)
	s_endpgm
.LBB43_21:
	s_delay_alu instid0(VALU_DEP_1) | instskip(SKIP_1) | instid1(VALU_DEP_1)
	v_dual_mov_b32 v3, v13 :: v_dual_add_nc_u32 v1, s33, v15
	s_mov_b32 s3, exec_lo
	v_cmpx_gt_i32_e64 s22, v1
	s_cbranch_execz .LBB43_20
.LBB43_22:
	v_mad_u32 v1, s28, s22, v1
	s_load_b32 s0, s[0:1], 0xd4
	v_add_nc_u32_e32 v0, s31, v0
	s_delay_alu instid0(VALU_DEP_1) | instskip(SKIP_2) | instid1(VALU_DEP_1)
	v_mad_u32 v0, v1, s23, v0
	s_wait_kmcnt 0x0
	s_cmp_lg_u32 s0, 1
	v_mad_u32 v0, s0, v0, s38
	s_cselect_b32 s0, -1, 0
	s_and_saveexec_b32 s1, s2
	s_cbranch_execz .LBB43_24
; %bb.23:
	v_div_scale_f32 v1, null, v3, v3, 1.0
	v_div_scale_f32 v5, vcc_lo, 1.0, v3, 1.0
	v_lshrrev_b32_e32 v9, 16, v32
	s_delay_alu instid0(VALU_DEP_3) | instskip(SKIP_1) | instid1(TRANS32_DEP_1)
	v_rcp_f32_e32 v2, v1
	v_lshrrev_b32_e32 v7, 16, v33
	v_fma_f32 v4, -v1, v2, 1.0
	s_delay_alu instid0(VALU_DEP_1) | instskip(NEXT) | instid1(VALU_DEP_1)
	v_fmac_f32_e32 v2, v4, v2
	v_mul_f32_e32 v4, v5, v2
	s_delay_alu instid0(VALU_DEP_1) | instskip(NEXT) | instid1(VALU_DEP_1)
	v_fma_f32 v6, -v1, v4, v5
	v_fmac_f32_e32 v4, v6, v2
	s_delay_alu instid0(VALU_DEP_1) | instskip(SKIP_1) | instid1(VALU_DEP_2)
	v_dual_lshlrev_b32 v6, 2, v14 :: v_dual_fma_f32 v1, -v1, v4, v5
	v_mov_b32_e32 v5, 0
	v_div_fmas_f32 v1, v1, v2, v4
	s_delay_alu instid0(VALU_DEP_3) | instskip(SKIP_2) | instid1(VALU_DEP_4)
	v_mad_u32 v4, 0x48, v0, v6
	v_cvt_f32_f16_e32 v2, v33
	v_cvt_f32_f16_e32 v6, v32
	v_div_fixup_f32 v1, v1, v3, 1.0
	v_cvt_f32_f16_e32 v3, v7
	v_cvt_f32_f16_e32 v7, v9
	s_delay_alu instid0(VALU_DEP_3) | instskip(SKIP_1) | instid1(VALU_DEP_2)
	v_cndmask_b32_e64 v8, v1, 1.0, s0
	v_lshl_add_u64 v[10:11], v[4:5], 2, s[16:17]
	v_pk_mul_f32 v[2:3], v[8:9], v[2:3] op_sel_hi:[0,1]
	s_delay_alu instid0(VALU_DEP_4)
	v_pk_mul_f32 v[4:5], v[8:9], v[6:7] op_sel_hi:[0,1]
	global_store_b128 v[10:11], v[2:5], off
.LBB43_24:
	s_wait_xcnt 0x0
	s_or_b32 exec_lo, exec_lo, s1
	v_cmp_eq_u32_e32 vcc_lo, 0, v14
	s_and_b32 s0, vcc_lo, s0
	s_delay_alu instid0(SALU_CYCLE_1)
	s_and_b32 exec_lo, exec_lo, s0
	s_cbranch_execz .LBB43_20
; %bb.25:
	global_store_b64 v0, v[12:13], s[18:19] scale_offset
	s_sendmsg sendmsg(MSG_DEALLOC_VGPRS)
	s_endpgm
	.section	.rodata,"a",@progbits
	.p2align	6, 0x0
	.amdhsa_kernel _ZL15flash_attn_tileILi72ELi72ELi4ELi2ELb0EEvPKcS1_S1_S1_S1_PKiPfP15HIP_vector_typeIfLj2EEffffjfiS5_IjLj3EEiiiiiiiiiiiliiliiiiil
		.amdhsa_group_segment_fixed_size 7008
		.amdhsa_private_segment_fixed_size 0
		.amdhsa_kernarg_size 464
		.amdhsa_user_sgpr_count 2
		.amdhsa_user_sgpr_dispatch_ptr 0
		.amdhsa_user_sgpr_queue_ptr 0
		.amdhsa_user_sgpr_kernarg_segment_ptr 1
		.amdhsa_user_sgpr_dispatch_id 0
		.amdhsa_user_sgpr_kernarg_preload_length 0
		.amdhsa_user_sgpr_kernarg_preload_offset 0
		.amdhsa_user_sgpr_private_segment_size 0
		.amdhsa_wavefront_size32 1
		.amdhsa_uses_dynamic_stack 0
		.amdhsa_enable_private_segment 0
		.amdhsa_system_sgpr_workgroup_id_x 1
		.amdhsa_system_sgpr_workgroup_id_y 1
		.amdhsa_system_sgpr_workgroup_id_z 1
		.amdhsa_system_sgpr_workgroup_info 0
		.amdhsa_system_vgpr_workitem_id 1
		.amdhsa_next_free_vgpr 65
		.amdhsa_next_free_sgpr 46
		.amdhsa_named_barrier_count 0
		.amdhsa_reserve_vcc 1
		.amdhsa_float_round_mode_32 0
		.amdhsa_float_round_mode_16_64 0
		.amdhsa_float_denorm_mode_32 3
		.amdhsa_float_denorm_mode_16_64 3
		.amdhsa_fp16_overflow 0
		.amdhsa_memory_ordered 1
		.amdhsa_forward_progress 1
		.amdhsa_inst_pref_size 38
		.amdhsa_round_robin_scheduling 0
		.amdhsa_exception_fp_ieee_invalid_op 0
		.amdhsa_exception_fp_denorm_src 0
		.amdhsa_exception_fp_ieee_div_zero 0
		.amdhsa_exception_fp_ieee_overflow 0
		.amdhsa_exception_fp_ieee_underflow 0
		.amdhsa_exception_fp_ieee_inexact 0
		.amdhsa_exception_int_div_zero 0
	.end_amdhsa_kernel
	.section	.text._ZL15flash_attn_tileILi72ELi72ELi4ELi2ELb0EEvPKcS1_S1_S1_S1_PKiPfP15HIP_vector_typeIfLj2EEffffjfiS5_IjLj3EEiiiiiiiiiiiliiliiiiil,"axG",@progbits,_ZL15flash_attn_tileILi72ELi72ELi4ELi2ELb0EEvPKcS1_S1_S1_S1_PKiPfP15HIP_vector_typeIfLj2EEffffjfiS5_IjLj3EEiiiiiiiiiiiliiliiiiil,comdat
.Lfunc_end43:
	.size	_ZL15flash_attn_tileILi72ELi72ELi4ELi2ELb0EEvPKcS1_S1_S1_S1_PKiPfP15HIP_vector_typeIfLj2EEffffjfiS5_IjLj3EEiiiiiiiiiiiliiliiiiil, .Lfunc_end43-_ZL15flash_attn_tileILi72ELi72ELi4ELi2ELb0EEvPKcS1_S1_S1_S1_PKiPfP15HIP_vector_typeIfLj2EEffffjfiS5_IjLj3EEiiiiiiiiiiiliiliiiiil
                                        ; -- End function
	.set _ZL15flash_attn_tileILi72ELi72ELi4ELi2ELb0EEvPKcS1_S1_S1_S1_PKiPfP15HIP_vector_typeIfLj2EEffffjfiS5_IjLj3EEiiiiiiiiiiiliiliiiiil.num_vgpr, 65
	.set _ZL15flash_attn_tileILi72ELi72ELi4ELi2ELb0EEvPKcS1_S1_S1_S1_PKiPfP15HIP_vector_typeIfLj2EEffffjfiS5_IjLj3EEiiiiiiiiiiiliiliiiiil.num_agpr, 0
	.set _ZL15flash_attn_tileILi72ELi72ELi4ELi2ELb0EEvPKcS1_S1_S1_S1_PKiPfP15HIP_vector_typeIfLj2EEffffjfiS5_IjLj3EEiiiiiiiiiiiliiliiiiil.numbered_sgpr, 46
	.set _ZL15flash_attn_tileILi72ELi72ELi4ELi2ELb0EEvPKcS1_S1_S1_S1_PKiPfP15HIP_vector_typeIfLj2EEffffjfiS5_IjLj3EEiiiiiiiiiiiliiliiiiil.num_named_barrier, 0
	.set _ZL15flash_attn_tileILi72ELi72ELi4ELi2ELb0EEvPKcS1_S1_S1_S1_PKiPfP15HIP_vector_typeIfLj2EEffffjfiS5_IjLj3EEiiiiiiiiiiiliiliiiiil.private_seg_size, 0
	.set _ZL15flash_attn_tileILi72ELi72ELi4ELi2ELb0EEvPKcS1_S1_S1_S1_PKiPfP15HIP_vector_typeIfLj2EEffffjfiS5_IjLj3EEiiiiiiiiiiiliiliiiiil.uses_vcc, 1
	.set _ZL15flash_attn_tileILi72ELi72ELi4ELi2ELb0EEvPKcS1_S1_S1_S1_PKiPfP15HIP_vector_typeIfLj2EEffffjfiS5_IjLj3EEiiiiiiiiiiiliiliiiiil.uses_flat_scratch, 0
	.set _ZL15flash_attn_tileILi72ELi72ELi4ELi2ELb0EEvPKcS1_S1_S1_S1_PKiPfP15HIP_vector_typeIfLj2EEffffjfiS5_IjLj3EEiiiiiiiiiiiliiliiiiil.has_dyn_sized_stack, 0
	.set _ZL15flash_attn_tileILi72ELi72ELi4ELi2ELb0EEvPKcS1_S1_S1_S1_PKiPfP15HIP_vector_typeIfLj2EEffffjfiS5_IjLj3EEiiiiiiiiiiiliiliiiiil.has_recursion, 0
	.set _ZL15flash_attn_tileILi72ELi72ELi4ELi2ELb0EEvPKcS1_S1_S1_S1_PKiPfP15HIP_vector_typeIfLj2EEffffjfiS5_IjLj3EEiiiiiiiiiiiliiliiiiil.has_indirect_call, 0
	.section	.AMDGPU.csdata,"",@progbits
; Kernel info:
; codeLenInByte = 4832
; TotalNumSgprs: 48
; NumVgprs: 65
; ScratchSize: 0
; MemoryBound: 0
; FloatMode: 240
; IeeeMode: 1
; LDSByteSize: 7008 bytes/workgroup (compile time only)
; SGPRBlocks: 0
; VGPRBlocks: 4
; NumSGPRsForWavesPerEU: 48
; NumVGPRsForWavesPerEU: 65
; NamedBarCnt: 0
; Occupancy: 12
; WaveLimiterHint : 1
; COMPUTE_PGM_RSRC2:SCRATCH_EN: 0
; COMPUTE_PGM_RSRC2:USER_SGPR: 2
; COMPUTE_PGM_RSRC2:TRAP_HANDLER: 0
; COMPUTE_PGM_RSRC2:TGID_X_EN: 1
; COMPUTE_PGM_RSRC2:TGID_Y_EN: 1
; COMPUTE_PGM_RSRC2:TGID_Z_EN: 1
; COMPUTE_PGM_RSRC2:TIDIG_COMP_CNT: 1
	.section	.text._ZL33flash_attn_stream_k_fixup_uniformILi72ELi4ELi2EEvPfPK15HIP_vector_typeIfLj2EEiiiiiiS1_IjLj3EES5_S5_,"axG",@progbits,_ZL33flash_attn_stream_k_fixup_uniformILi72ELi4ELi2EEvPfPK15HIP_vector_typeIfLj2EEiiiiiiS1_IjLj3EES5_S5_,comdat
	.globl	_ZL33flash_attn_stream_k_fixup_uniformILi72ELi4ELi2EEvPfPK15HIP_vector_typeIfLj2EEiiiiiiS1_IjLj3EES5_S5_ ; -- Begin function _ZL33flash_attn_stream_k_fixup_uniformILi72ELi4ELi2EEvPfPK15HIP_vector_typeIfLj2EEiiiiiiS1_IjLj3EES5_S5_
	.p2align	8
	.type	_ZL33flash_attn_stream_k_fixup_uniformILi72ELi4ELi2EEvPfPK15HIP_vector_typeIfLj2EEiiiiiiS1_IjLj3EES5_S5_,@function
_ZL33flash_attn_stream_k_fixup_uniformILi72ELi4ELi2EEvPfPK15HIP_vector_typeIfLj2EEiiiiiiS1_IjLj3EES5_S5_: ; @_ZL33flash_attn_stream_k_fixup_uniformILi72ELi4ELi2EEvPfPK15HIP_vector_typeIfLj2EEiiiiiiS1_IjLj3EES5_S5_
; %bb.0:
	s_load_b256 s[4:11], s[0:1], 0x1c
	s_bfe_u32 s2, ttmp6, 0x40014
	s_lshr_b32 s3, ttmp7, 16
	s_add_co_i32 s2, s2, 1
	s_bfe_u32 s13, ttmp6, 0x40010
	s_mul_i32 s2, s3, s2
	s_bfe_u32 s12, ttmp6, 0x40008
	s_and_b32 s15, ttmp7, 0xffff
	s_add_co_i32 s13, s13, 1
	s_bfe_u32 s14, ttmp6, 0x4000c
	s_add_co_i32 s2, s12, s2
	s_mul_i32 s12, s15, s13
	s_bfe_u32 s13, ttmp6, 0x40004
	s_add_co_i32 s14, s14, 1
	s_add_co_i32 s13, s13, s12
	s_and_b32 s12, ttmp6, 15
	s_mul_i32 s14, ttmp9, s14
	s_getreg_b32 s20, hwreg(HW_REG_IB_STS2, 6, 4)
	s_add_co_i32 s12, s12, s14
	s_load_b128 s[16:19], s[0:1], 0x3c
	s_cmp_eq_u32 s20, 0
	s_cselect_b32 s14, ttmp9, s12
	s_cselect_b32 s12, s15, s13
	s_wait_kmcnt 0x0
	s_mul_hi_u32 s7, s7, s14
	s_cselect_b32 s13, s3, s2
	s_add_co_i32 s2, s14, s7
	s_delay_alu instid0(SALU_CYCLE_1) | instskip(NEXT) | instid1(SALU_CYCLE_1)
	s_lshr_b32 s7, s2, s8
	s_mul_i32 s2, s7, s9
	s_delay_alu instid0(SALU_CYCLE_1) | instskip(NEXT) | instid1(SALU_CYCLE_1)
	s_sub_co_i32 s8, s14, s2
	s_mul_hi_u32 s2, s8, s10
	s_delay_alu instid0(SALU_CYCLE_1) | instskip(SKIP_2) | instid1(SALU_CYCLE_1)
	s_add_co_i32 s9, s8, s2
	s_load_b64 s[2:3], s[0:1], 0x10
	s_lshr_b32 s15, s9, s11
	s_mul_i32 s9, s15, s16
	s_delay_alu instid0(SALU_CYCLE_1) | instskip(NEXT) | instid1(SALU_CYCLE_1)
	s_sub_co_i32 s8, s8, s9
	s_mul_hi_u32 s9, s8, s17
	s_delay_alu instid0(SALU_CYCLE_1) | instskip(NEXT) | instid1(SALU_CYCLE_1)
	s_add_co_i32 s9, s8, s9
	s_lshr_b32 s9, s9, s18
	s_delay_alu instid0(SALU_CYCLE_1) | instskip(SKIP_2) | instid1(SALU_CYCLE_1)
	s_mul_i32 s10, s9, s19
	s_lshl_b32 s17, s9, 1
	s_sub_co_i32 s16, s8, s10
	s_lshl_b32 s8, s16, 2
	s_delay_alu instid0(SALU_CYCLE_1) | instskip(SKIP_4) | instid1(SALU_CYCLE_1)
	s_add_co_i32 s8, s8, s12
	s_wait_kmcnt 0x0
	s_cmp_lt_i32 s8, s2
	s_cselect_b32 s8, -1, 0
	s_add_co_i32 s17, s17, s13
	s_cmp_lt_i32 s17, s5
	s_cselect_b32 s9, -1, 0
	s_delay_alu instid0(SALU_CYCLE_1) | instskip(NEXT) | instid1(SALU_CYCLE_1)
	s_and_b32 s8, s8, s9
	s_and_not1_b32 vcc_lo, exec_lo, s8
	s_cbranch_vccnz .LBB44_6
; %bb.1:
	s_load_b128 s[8:11], s[0:1], 0x0
	s_wait_xcnt 0x0
	s_mul_i32 s0, s7, s2
	s_mul_i32 s15, s15, s5
	s_add_co_i32 s0, s0, s12
	s_add_co_i32 s1, s17, s15
	s_mul_i32 s0, s0, s3
	s_mul_i32 s2, s3, s16
	s_add_co_i32 s0, s1, s0
	s_mulk_i32 s2, 0x120
	s_mulk_i32 s0, 0x48
	s_mul_i32 s7, s6, s14
	v_add3_u32 v4, s0, s2, v0
	s_lshl_b32 s5, s12, 1
	s_add_co_i32 s15, s7, s6
	s_add_co_i32 s0, s5, s13
	s_lshl_b32 s1, s15, 3
	v_ashrrev_i32_e32 v5, 31, v4
	s_add_co_i32 s0, s0, s1
	s_add_co_i32 s2, s15, -2
	s_add_co_i32 s0, s0, -8
	s_wait_kmcnt 0x0
	global_load_b32 v3, v4, s[8:9] scale_offset
	s_ashr_i32 s1, s0, 31
	s_delay_alu instid0(SALU_CYCLE_1)
	s_lshl_b64 s[0:1], s[0:1], 3
	s_cmp_lt_i32 s2, s7
	s_add_nc_u64 s[0:1], s[10:11], s[0:1]
	s_load_b32 s16, s[0:1], 0x4
	s_cbranch_scc1 .LBB44_4
; %bb.2:
	s_wait_xcnt 0x0
	s_load_b32 s0, s[0:1], 0x0
	s_add_co_i32 s14, s14, 1
	s_mulk_i32 s12, 0x90
	s_wait_xcnt 0x0
	s_mul_i32 s1, s6, s14
	s_lshl_b32 s2, s4, 5
	s_lshl_b32 s6, s1, 3
	s_mulk_i32 s1, 0x240
	s_add_co_i32 s6, s13, s6
	s_mulk_i32 s13, 0x48
	s_lshl_b32 s4, s4, 3
	s_add_co_i32 s12, s13, s12
	s_ashr_i32 s3, s2, 31
	s_add_co_i32 s12, s12, s1
	s_add_co_i32 s1, s6, s4
	v_add3_u32 v0, s12, v0, 0xfffffb80
	s_wait_kmcnt 0x0
	v_mov_b32_e32 v2, s16
	s_lshl_b64 s[2:3], s[2:3], 2
	s_add_co_i32 s4, s1, s5
	s_add_nc_u64 s[2:3], s[10:11], s[2:3]
	s_add_co_i32 s1, s15, -1
	s_add_co_i32 s4, s4, -16
.LBB44_3:                               ; =>This Inner Loop Header: Depth=1
	global_load_b32 v7, v0, s[2:3] scale_offset
	s_ashr_i32 s5, s4, 31
	v_max_num_f32_e64 v1, s0, s0
	s_lshl_b64 s[12:13], s[4:5], 3
	s_delay_alu instid0(SALU_CYCLE_1) | instskip(SKIP_1) | instid1(VALU_DEP_1)
	s_add_nc_u64 s[12:13], s[10:11], s[12:13]
	s_load_b64 s[12:13], s[12:13], 0x0
	v_readfirstlane_b32 s5, v1
	v_add_nc_u32_e32 v0, 0xfffffdc0, v0
	s_wait_kmcnt 0x0
	v_max_num_f32_e64 v1, s12, s12
	s_delay_alu instid0(VALU_DEP_1) | instskip(SKIP_1) | instid1(SALU_CYCLE_3)
	v_readfirstlane_b32 s6, v1
	s_max_num_f32 s5, s5, s6
	s_sub_f32 s0, s0, s5
	s_sub_f32 s6, s12, s5
	s_delay_alu instid0(SALU_CYCLE_2) | instskip(NEXT) | instid1(SALU_CYCLE_2)
	s_mul_f32 s12, s0, 0x3fb8aa3b
	s_mul_f32 s14, s6, 0x3fb8aa3b
	s_delay_alu instid0(SALU_CYCLE_2)
	s_xor_b32 s15, s12, 0x80000000
	s_rndne_f32 s16, s12
	s_fmamk_f32 s15, s0, 0x3fb8aa3b, s15
	s_cmp_nlt_f32 s0, 0xc2ce8ed0
	s_rndne_f32 s17, s14
	s_sub_f32 s12, s12, s16
	s_fmamk_f32 s15, s0, 0x32a5705f, s15
	s_cselect_b32 vcc_lo, -1, 0
	s_cmp_ngt_f32 s0, 0x42b17218
	s_delay_alu instid0(SALU_CYCLE_1) | instskip(SKIP_2) | instid1(SALU_CYCLE_1)
	s_add_f32 s12, s12, s15
	s_cvt_i32_f32 s15, s16
	s_sub_f32 s16, s14, s17
	v_s_exp_f32 s12, s12
	v_nop
	s_delay_alu instid0(TRANS32_DEP_1) | instskip(SKIP_1) | instid1(VALU_DEP_1)
	v_ldexp_f32 v1, s12, s15
	s_cvt_i32_f32 s12, s17
	v_cndmask_b32_e32 v1, 0, v1, vcc_lo
	s_cselect_b32 vcc_lo, -1, 0
	s_cmp_ge_f32 s0, 0xc1a00000
	s_delay_alu instid0(VALU_DEP_1)
	v_cndmask_b32_e32 v1, 0x7f800000, v1, vcc_lo
	s_cselect_b32 vcc_lo, -1, 0
	s_xor_b32 s0, s14, 0x80000000
	s_cmp_nlt_f32 s6, 0xc2ce8ed0
	s_fmamk_f32 s0, s6, 0x3fb8aa3b, s0
	v_cndmask_b32_e32 v10, 0, v1, vcc_lo
	s_delay_alu instid0(SALU_CYCLE_2) | instskip(NEXT) | instid1(SALU_CYCLE_3)
	s_fmamk_f32 s0, s6, 0x32a5705f, s0
	s_add_f32 s0, s16, s0
	s_delay_alu instid0(SALU_CYCLE_3) | instskip(SKIP_1) | instid1(TRANS32_DEP_1)
	v_s_exp_f32 s0, s0
	v_nop
	v_ldexp_f32 v6, s0, s12
	s_cselect_b32 s0, -1, 0
	s_cmp_ngt_f32 s6, 0x42b17218
	s_delay_alu instid0(VALU_DEP_1) | instskip(SKIP_2) | instid1(VALU_DEP_1)
	v_cndmask_b32_e64 v6, 0, v6, s0
	s_cselect_b32 s0, -1, 0
	s_cmp_ge_f32 s6, 0xc1a00000
	v_cndmask_b32_e64 v8, 0x7f800000, v6, s0
	s_cselect_b32 s0, -1, 0
	v_mov_b32_e32 v6, s13
	s_add_co_i32 s1, s1, -1
	s_add_co_i32 s4, s4, -8
	v_cndmask_b32_e64 v8, 0, v8, s0
	s_cmp_le_i32 s1, s7
	s_mov_b32 s0, s5
	s_wait_loadcnt 0x0
	s_delay_alu instid0(VALU_DEP_1) | instskip(NEXT) | instid1(VALU_DEP_1)
	v_pk_mul_f32 v[6:7], v[6:7], v[8:9] op_sel_hi:[1,0]
	v_pk_fma_f32 v[2:3], v[2:3], v[10:11], v[6:7] op_sel_hi:[1,0,1]
	s_cbranch_scc0 .LBB44_3
	s_branch .LBB44_5
.LBB44_4:
	s_wait_kmcnt 0x0
	v_mov_b32_e32 v2, s16
.LBB44_5:
	v_lshl_add_u64 v[0:1], v[4:5], 2, s[8:9]
	s_wait_loadcnt 0x0
	s_delay_alu instid0(VALU_DEP_2) | instskip(NEXT) | instid1(VALU_DEP_1)
	v_div_scale_f32 v4, null, v2, v2, v3
	v_rcp_f32_e32 v5, v4
	v_nop
	s_delay_alu instid0(TRANS32_DEP_1) | instskip(NEXT) | instid1(VALU_DEP_1)
	v_fma_f32 v6, -v4, v5, 1.0
	v_fmac_f32_e32 v5, v6, v5
	v_div_scale_f32 v6, vcc_lo, v3, v2, v3
	s_delay_alu instid0(VALU_DEP_1) | instskip(NEXT) | instid1(VALU_DEP_1)
	v_mul_f32_e32 v7, v6, v5
	v_fma_f32 v8, -v4, v7, v6
	s_delay_alu instid0(VALU_DEP_1) | instskip(NEXT) | instid1(VALU_DEP_1)
	v_fmac_f32_e32 v7, v8, v5
	v_fma_f32 v4, -v4, v7, v6
	s_delay_alu instid0(VALU_DEP_1) | instskip(NEXT) | instid1(VALU_DEP_1)
	v_div_fmas_f32 v4, v4, v5, v7
	v_div_fixup_f32 v2, v4, v2, v3
	global_store_b32 v[0:1], v2, off
.LBB44_6:
	s_endpgm
	.section	.rodata,"a",@progbits
	.p2align	6, 0x0
	.amdhsa_kernel _ZL33flash_attn_stream_k_fixup_uniformILi72ELi4ELi2EEvPfPK15HIP_vector_typeIfLj2EEiiiiiiS1_IjLj3EES5_S5_
		.amdhsa_group_segment_fixed_size 0
		.amdhsa_private_segment_fixed_size 0
		.amdhsa_kernarg_size 76
		.amdhsa_user_sgpr_count 2
		.amdhsa_user_sgpr_dispatch_ptr 0
		.amdhsa_user_sgpr_queue_ptr 0
		.amdhsa_user_sgpr_kernarg_segment_ptr 1
		.amdhsa_user_sgpr_dispatch_id 0
		.amdhsa_user_sgpr_kernarg_preload_length 0
		.amdhsa_user_sgpr_kernarg_preload_offset 0
		.amdhsa_user_sgpr_private_segment_size 0
		.amdhsa_wavefront_size32 1
		.amdhsa_uses_dynamic_stack 0
		.amdhsa_enable_private_segment 0
		.amdhsa_system_sgpr_workgroup_id_x 1
		.amdhsa_system_sgpr_workgroup_id_y 1
		.amdhsa_system_sgpr_workgroup_id_z 1
		.amdhsa_system_sgpr_workgroup_info 0
		.amdhsa_system_vgpr_workitem_id 0
		.amdhsa_next_free_vgpr 12
		.amdhsa_next_free_sgpr 21
		.amdhsa_named_barrier_count 0
		.amdhsa_reserve_vcc 1
		.amdhsa_float_round_mode_32 0
		.amdhsa_float_round_mode_16_64 0
		.amdhsa_float_denorm_mode_32 3
		.amdhsa_float_denorm_mode_16_64 3
		.amdhsa_fp16_overflow 0
		.amdhsa_memory_ordered 1
		.amdhsa_forward_progress 1
		.amdhsa_inst_pref_size 9
		.amdhsa_round_robin_scheduling 0
		.amdhsa_exception_fp_ieee_invalid_op 0
		.amdhsa_exception_fp_denorm_src 0
		.amdhsa_exception_fp_ieee_div_zero 0
		.amdhsa_exception_fp_ieee_overflow 0
		.amdhsa_exception_fp_ieee_underflow 0
		.amdhsa_exception_fp_ieee_inexact 0
		.amdhsa_exception_int_div_zero 0
	.end_amdhsa_kernel
	.section	.text._ZL33flash_attn_stream_k_fixup_uniformILi72ELi4ELi2EEvPfPK15HIP_vector_typeIfLj2EEiiiiiiS1_IjLj3EES5_S5_,"axG",@progbits,_ZL33flash_attn_stream_k_fixup_uniformILi72ELi4ELi2EEvPfPK15HIP_vector_typeIfLj2EEiiiiiiS1_IjLj3EES5_S5_,comdat
.Lfunc_end44:
	.size	_ZL33flash_attn_stream_k_fixup_uniformILi72ELi4ELi2EEvPfPK15HIP_vector_typeIfLj2EEiiiiiiS1_IjLj3EES5_S5_, .Lfunc_end44-_ZL33flash_attn_stream_k_fixup_uniformILi72ELi4ELi2EEvPfPK15HIP_vector_typeIfLj2EEiiiiiiS1_IjLj3EES5_S5_
                                        ; -- End function
	.set _ZL33flash_attn_stream_k_fixup_uniformILi72ELi4ELi2EEvPfPK15HIP_vector_typeIfLj2EEiiiiiiS1_IjLj3EES5_S5_.num_vgpr, 12
	.set _ZL33flash_attn_stream_k_fixup_uniformILi72ELi4ELi2EEvPfPK15HIP_vector_typeIfLj2EEiiiiiiS1_IjLj3EES5_S5_.num_agpr, 0
	.set _ZL33flash_attn_stream_k_fixup_uniformILi72ELi4ELi2EEvPfPK15HIP_vector_typeIfLj2EEiiiiiiS1_IjLj3EES5_S5_.numbered_sgpr, 21
	.set _ZL33flash_attn_stream_k_fixup_uniformILi72ELi4ELi2EEvPfPK15HIP_vector_typeIfLj2EEiiiiiiS1_IjLj3EES5_S5_.num_named_barrier, 0
	.set _ZL33flash_attn_stream_k_fixup_uniformILi72ELi4ELi2EEvPfPK15HIP_vector_typeIfLj2EEiiiiiiS1_IjLj3EES5_S5_.private_seg_size, 0
	.set _ZL33flash_attn_stream_k_fixup_uniformILi72ELi4ELi2EEvPfPK15HIP_vector_typeIfLj2EEiiiiiiS1_IjLj3EES5_S5_.uses_vcc, 1
	.set _ZL33flash_attn_stream_k_fixup_uniformILi72ELi4ELi2EEvPfPK15HIP_vector_typeIfLj2EEiiiiiiS1_IjLj3EES5_S5_.uses_flat_scratch, 0
	.set _ZL33flash_attn_stream_k_fixup_uniformILi72ELi4ELi2EEvPfPK15HIP_vector_typeIfLj2EEiiiiiiS1_IjLj3EES5_S5_.has_dyn_sized_stack, 0
	.set _ZL33flash_attn_stream_k_fixup_uniformILi72ELi4ELi2EEvPfPK15HIP_vector_typeIfLj2EEiiiiiiS1_IjLj3EES5_S5_.has_recursion, 0
	.set _ZL33flash_attn_stream_k_fixup_uniformILi72ELi4ELi2EEvPfPK15HIP_vector_typeIfLj2EEiiiiiiS1_IjLj3EES5_S5_.has_indirect_call, 0
	.section	.AMDGPU.csdata,"",@progbits
; Kernel info:
; codeLenInByte = 1084
; TotalNumSgprs: 23
; NumVgprs: 12
; ScratchSize: 0
; MemoryBound: 0
; FloatMode: 240
; IeeeMode: 1
; LDSByteSize: 0 bytes/workgroup (compile time only)
; SGPRBlocks: 0
; VGPRBlocks: 0
; NumSGPRsForWavesPerEU: 23
; NumVGPRsForWavesPerEU: 12
; NamedBarCnt: 0
; Occupancy: 16
; WaveLimiterHint : 0
; COMPUTE_PGM_RSRC2:SCRATCH_EN: 0
; COMPUTE_PGM_RSRC2:USER_SGPR: 2
; COMPUTE_PGM_RSRC2:TRAP_HANDLER: 0
; COMPUTE_PGM_RSRC2:TGID_X_EN: 1
; COMPUTE_PGM_RSRC2:TGID_Y_EN: 1
; COMPUTE_PGM_RSRC2:TGID_Z_EN: 1
; COMPUTE_PGM_RSRC2:TIDIG_COMP_CNT: 0
	.section	.text._ZL33flash_attn_stream_k_fixup_generalILi72ELi4ELi2EEvPfPK15HIP_vector_typeIfLj2EEiiiiS1_IjLj3EES5_S5_S5_,"axG",@progbits,_ZL33flash_attn_stream_k_fixup_generalILi72ELi4ELi2EEvPfPK15HIP_vector_typeIfLj2EEiiiiS1_IjLj3EES5_S5_S5_,comdat
	.globl	_ZL33flash_attn_stream_k_fixup_generalILi72ELi4ELi2EEvPfPK15HIP_vector_typeIfLj2EEiiiiS1_IjLj3EES5_S5_S5_ ; -- Begin function _ZL33flash_attn_stream_k_fixup_generalILi72ELi4ELi2EEvPfPK15HIP_vector_typeIfLj2EEiiiiS1_IjLj3EES5_S5_S5_
	.p2align	8
	.type	_ZL33flash_attn_stream_k_fixup_generalILi72ELi4ELi2EEvPfPK15HIP_vector_typeIfLj2EEiiiiS1_IjLj3EES5_S5_S5_,@function
_ZL33flash_attn_stream_k_fixup_generalILi72ELi4ELi2EEvPfPK15HIP_vector_typeIfLj2EEiiiiS1_IjLj3EES5_S5_S5_: ; @_ZL33flash_attn_stream_k_fixup_generalILi72ELi4ELi2EEvPfPK15HIP_vector_typeIfLj2EEiiiiS1_IjLj3EES5_S5_S5_
; %bb.0:
	s_clause 0x1
	s_load_b128 s[4:7], s[0:1], 0x10
	s_load_b32 s16, s[0:1], 0x50
	s_bfe_u32 s2, ttmp6, 0x4000c
	s_and_b32 s3, ttmp6, 15
	s_add_co_i32 s2, s2, 1
	s_getreg_b32 s15, hwreg(HW_REG_IB_STS2, 6, 4)
	s_mul_i32 s2, ttmp9, s2
	s_mov_b32 s17, 0
	s_add_co_i32 s3, s3, s2
	s_cmp_eq_u32 s15, 0
	s_cselect_b32 s2, ttmp9, s3
	s_delay_alu instid0(SALU_CYCLE_1) | instskip(SKIP_3) | instid1(SALU_CYCLE_1)
	s_ashr_i32 s3, s2, 31
	s_wait_kmcnt 0x0
	s_ashr_i32 s19, s7, 31
	s_mov_b32 s18, s7
	s_mul_u64 s[8:9], s[18:19], s[2:3]
	s_delay_alu instid0(SALU_CYCLE_1) | instskip(NEXT) | instid1(SALU_CYCLE_1)
	s_and_b64 s[10:11], s[8:9], 0xffffffff00000000
	s_cmp_lg_u64 s[10:11], 0
	s_cbranch_scc0 .LBB45_21
; %bb.1:
	s_add_nc_u64 s[10:11], s[16:17], 0
	s_mov_b32 s23, s17
	s_xor_b64 s[10:11], s[10:11], 0
	s_mov_b32 s27, s17
	s_cvt_f32_u32 s3, s10
	s_cvt_f32_u32 s7, s11
	s_sub_nc_u64 s[20:21], 0, s[10:11]
	s_delay_alu instid0(SALU_CYCLE_2) | instskip(NEXT) | instid1(SALU_CYCLE_3)
	s_fmamk_f32 s3, s7, 0x4f800000, s3
	v_s_rcp_f32 s3, s3
	s_delay_alu instid0(TRANS32_DEP_1) | instskip(NEXT) | instid1(SALU_CYCLE_3)
	s_mul_f32 s3, s3, 0x5f7ffffc
	s_mul_f32 s7, s3, 0x2f800000
	s_delay_alu instid0(SALU_CYCLE_3) | instskip(NEXT) | instid1(SALU_CYCLE_3)
	s_trunc_f32 s7, s7
	s_fmamk_f32 s3, s7, 0xcf800000, s3
	s_cvt_u32_f32 s13, s7
	s_delay_alu instid0(SALU_CYCLE_2) | instskip(NEXT) | instid1(SALU_CYCLE_3)
	s_cvt_u32_f32 s12, s3
	s_mul_u64 s[24:25], s[20:21], s[12:13]
	s_delay_alu instid0(SALU_CYCLE_1)
	s_mul_hi_u32 s29, s12, s25
	s_mul_i32 s28, s12, s25
	s_mul_hi_u32 s22, s12, s24
	s_mul_i32 s7, s13, s24
	s_add_nc_u64 s[22:23], s[22:23], s[28:29]
	s_mul_hi_u32 s3, s13, s24
	s_mul_hi_u32 s14, s13, s25
	s_add_co_u32 s7, s22, s7
	s_add_co_ci_u32 s26, s23, s3
	s_mul_i32 s24, s13, s25
	s_add_co_ci_u32 s25, s14, 0
	s_delay_alu instid0(SALU_CYCLE_1) | instskip(SKIP_3) | instid1(SALU_CYCLE_1)
	s_add_nc_u64 s[22:23], s[26:27], s[24:25]
	s_mov_b32 s25, s17
	s_add_co_u32 s12, s12, s22
	s_cselect_b32 s3, -1, 0
	s_cmp_lg_u32 s3, 0
	s_add_co_ci_u32 s13, s13, s23
	s_mov_b32 s23, s17
	s_mul_u64 s[20:21], s[20:21], s[12:13]
	s_delay_alu instid0(SALU_CYCLE_1)
	s_mul_hi_u32 s27, s12, s21
	s_mul_i32 s26, s12, s21
	s_mul_hi_u32 s22, s12, s20
	s_mul_i32 s7, s13, s20
	s_add_nc_u64 s[22:23], s[22:23], s[26:27]
	s_mul_hi_u32 s3, s13, s20
	s_mul_hi_u32 s14, s13, s21
	s_add_co_u32 s7, s22, s7
	s_add_co_ci_u32 s24, s23, s3
	s_mul_i32 s20, s13, s21
	s_add_co_ci_u32 s21, s14, 0
	s_mov_b32 s23, s17
	s_add_nc_u64 s[20:21], s[24:25], s[20:21]
	s_delay_alu instid0(SALU_CYCLE_1) | instskip(SKIP_1) | instid1(SALU_CYCLE_1)
	s_add_co_u32 s3, s12, s20
	s_cselect_b32 s7, -1, 0
	s_cmp_lg_u32 s7, 0
	s_add_co_ci_u32 s7, s13, s21
	s_ashr_i32 s12, s9, 31
	s_delay_alu instid0(SALU_CYCLE_1) | instskip(NEXT) | instid1(SALU_CYCLE_1)
	s_mov_b32 s13, s12
	s_add_nc_u64 s[20:21], s[8:9], s[12:13]
	s_delay_alu instid0(SALU_CYCLE_1) | instskip(NEXT) | instid1(SALU_CYCLE_1)
	s_xor_b64 s[20:21], s[20:21], s[12:13]
	s_mul_hi_u32 s27, s20, s7
	s_mul_i32 s26, s20, s7
	s_mul_hi_u32 s22, s20, s3
	s_mul_hi_u32 s14, s21, s3
	s_mul_i32 s3, s21, s3
	s_add_nc_u64 s[22:23], s[22:23], s[26:27]
	s_mul_hi_u32 s9, s21, s7
	s_add_co_u32 s3, s22, s3
	s_add_co_ci_u32 s24, s23, s14
	s_mul_i32 s26, s21, s7
	s_add_co_ci_u32 s27, s9, 0
	s_delay_alu instid0(SALU_CYCLE_1) | instskip(NEXT) | instid1(SALU_CYCLE_1)
	s_add_nc_u64 s[22:23], s[24:25], s[26:27]
	s_and_b64 s[24:25], s[22:23], 0xffffffff00000000
	s_delay_alu instid0(SALU_CYCLE_1) | instskip(NEXT) | instid1(SALU_CYCLE_1)
	s_or_b32 s24, s24, s22
	s_mul_u64 s[22:23], s[10:11], s[24:25]
	s_add_nc_u64 s[26:27], s[24:25], 1
	s_sub_co_u32 s3, s20, s22
	s_cselect_b32 s7, -1, 0
	s_sub_co_i32 s9, s21, s23
	s_cmp_lg_u32 s7, 0
	s_add_nc_u64 s[28:29], s[24:25], 2
	s_sub_co_ci_u32 s9, s9, s11
	s_sub_co_u32 s14, s3, s10
	s_cselect_b32 s20, -1, 0
	s_delay_alu instid0(SALU_CYCLE_1) | instskip(SKIP_1) | instid1(SALU_CYCLE_1)
	s_cmp_lg_u32 s20, 0
	s_sub_co_ci_u32 s9, s9, 0
	s_cmp_ge_u32 s9, s11
	s_cselect_b32 s20, -1, 0
	s_cmp_ge_u32 s14, s10
	s_cselect_b32 s14, -1, 0
	s_cmp_eq_u32 s9, s11
	s_cselect_b32 s9, s14, s20
	s_delay_alu instid0(SALU_CYCLE_1) | instskip(SKIP_4) | instid1(SALU_CYCLE_1)
	s_cmp_lg_u32 s9, 0
	s_cselect_b32 s9, s28, s26
	s_cselect_b32 s14, s29, s27
	s_cmp_lg_u32 s7, 0
	s_sub_co_ci_u32 s7, s21, s23
	s_cmp_ge_u32 s7, s11
	s_cselect_b32 s20, -1, 0
	s_cmp_ge_u32 s3, s10
	s_cselect_b32 s3, -1, 0
	s_cmp_eq_u32 s7, s11
	s_cselect_b32 s3, s3, s20
	s_delay_alu instid0(SALU_CYCLE_1) | instskip(SKIP_4) | instid1(SALU_CYCLE_1)
	s_cmp_lg_u32 s3, 0
	s_mov_b32 s3, s17
	s_cselect_b32 s11, s14, s25
	s_cselect_b32 s10, s9, s24
	s_xor_b64 s[12:13], s[12:13], 0
	s_xor_b64 s[10:11], s[10:11], s[12:13]
	s_delay_alu instid0(SALU_CYCLE_1)
	s_sub_nc_u64 s[20:21], s[10:11], s[12:13]
	s_and_not1_b32 vcc_lo, exec_lo, s3
	s_cbranch_vccnz .LBB45_3
.LBB45_2:
	v_cvt_f32_u32_e32 v1, s16
	s_sub_co_i32 s7, 0, s16
	s_mov_b32 s21, 0
	s_delay_alu instid0(VALU_DEP_1) | instskip(SKIP_1) | instid1(TRANS32_DEP_1)
	v_rcp_iflag_f32_e32 v1, v1
	v_nop
	v_mul_f32_e32 v1, 0x4f7ffffe, v1
	s_delay_alu instid0(VALU_DEP_1) | instskip(NEXT) | instid1(VALU_DEP_1)
	v_cvt_u32_f32_e32 v1, v1
	v_readfirstlane_b32 s3, v1
	s_mul_i32 s7, s7, s3
	s_delay_alu instid0(SALU_CYCLE_1) | instskip(NEXT) | instid1(SALU_CYCLE_1)
	s_mul_hi_u32 s7, s3, s7
	s_add_co_i32 s3, s3, s7
	s_delay_alu instid0(SALU_CYCLE_1) | instskip(NEXT) | instid1(SALU_CYCLE_1)
	s_mul_hi_u32 s3, s8, s3
	s_mul_i32 s7, s3, s16
	s_delay_alu instid0(SALU_CYCLE_1)
	s_sub_co_i32 s7, s8, s7
	s_add_co_i32 s8, s3, 1
	s_sub_co_i32 s9, s7, s16
	s_cmp_ge_u32 s7, s16
	s_cselect_b32 s3, s8, s3
	s_cselect_b32 s7, s9, s7
	s_add_co_i32 s8, s3, 1
	s_cmp_ge_u32 s7, s16
	s_cselect_b32 s20, s8, s3
.LBB45_3:
	s_add_co_i32 s8, s2, 1
	s_delay_alu instid0(SALU_CYCLE_1) | instskip(NEXT) | instid1(SALU_CYCLE_1)
	s_ashr_i32 s9, s8, 31
	s_mul_u64 s[8:9], s[18:19], s[8:9]
	s_delay_alu instid0(SALU_CYCLE_1) | instskip(NEXT) | instid1(SALU_CYCLE_1)
	s_and_b64 s[10:11], s[8:9], 0xffffffff00000000
	s_cmp_lg_u64 s[10:11], 0
	s_cbranch_scc0 .LBB45_22
; %bb.4:
	s_add_nc_u64 s[10:11], s[16:17], 0
	s_delay_alu instid0(SALU_CYCLE_1) | instskip(SKIP_4) | instid1(SALU_CYCLE_2)
	s_xor_b64 s[12:13], s[10:11], 0
	s_mov_b32 s11, 0
	s_cvt_f32_u32 s3, s12
	s_cvt_f32_u32 s7, s13
	s_sub_nc_u64 s[24:25], 0, s[12:13]
	s_fmamk_f32 s3, s7, 0x4f800000, s3
	s_delay_alu instid0(SALU_CYCLE_3) | instskip(NEXT) | instid1(TRANS32_DEP_1)
	v_s_rcp_f32 s3, s3
	s_mul_f32 s3, s3, 0x5f7ffffc
	s_delay_alu instid0(SALU_CYCLE_3) | instskip(NEXT) | instid1(SALU_CYCLE_3)
	s_mul_f32 s7, s3, 0x2f800000
	s_trunc_f32 s7, s7
	s_delay_alu instid0(SALU_CYCLE_3) | instskip(SKIP_1) | instid1(SALU_CYCLE_2)
	s_fmamk_f32 s3, s7, 0xcf800000, s3
	s_cvt_u32_f32 s23, s7
	s_cvt_u32_f32 s22, s3
	s_delay_alu instid0(SALU_CYCLE_3) | instskip(NEXT) | instid1(SALU_CYCLE_1)
	s_mul_u64 s[26:27], s[24:25], s[22:23]
	s_mul_hi_u32 s29, s22, s27
	s_mul_i32 s28, s22, s27
	s_mul_hi_u32 s10, s22, s26
	s_mul_i32 s7, s23, s26
	s_add_nc_u64 s[28:29], s[10:11], s[28:29]
	s_mul_hi_u32 s3, s23, s26
	s_mul_hi_u32 s14, s23, s27
	s_add_co_u32 s7, s28, s7
	s_add_co_ci_u32 s10, s29, s3
	s_mul_i32 s26, s23, s27
	s_add_co_ci_u32 s27, s14, 0
	s_delay_alu instid0(SALU_CYCLE_1) | instskip(NEXT) | instid1(SALU_CYCLE_1)
	s_add_nc_u64 s[26:27], s[10:11], s[26:27]
	s_add_co_u32 s22, s22, s26
	s_cselect_b32 s3, -1, 0
	s_delay_alu instid0(SALU_CYCLE_1) | instskip(SKIP_1) | instid1(SALU_CYCLE_1)
	s_cmp_lg_u32 s3, 0
	s_add_co_ci_u32 s23, s23, s27
	s_mul_u64 s[24:25], s[24:25], s[22:23]
	s_delay_alu instid0(SALU_CYCLE_1)
	s_mul_hi_u32 s27, s22, s25
	s_mul_i32 s26, s22, s25
	s_mul_hi_u32 s10, s22, s24
	s_mul_i32 s7, s23, s24
	s_add_nc_u64 s[26:27], s[10:11], s[26:27]
	s_mul_hi_u32 s3, s23, s24
	s_mul_hi_u32 s14, s23, s25
	s_add_co_u32 s7, s26, s7
	s_add_co_ci_u32 s10, s27, s3
	s_mul_i32 s24, s23, s25
	s_add_co_ci_u32 s25, s14, 0
	s_delay_alu instid0(SALU_CYCLE_1) | instskip(NEXT) | instid1(SALU_CYCLE_1)
	s_add_nc_u64 s[24:25], s[10:11], s[24:25]
	s_add_co_u32 s3, s22, s24
	s_cselect_b32 s7, -1, 0
	s_delay_alu instid0(SALU_CYCLE_1) | instskip(SKIP_2) | instid1(SALU_CYCLE_1)
	s_cmp_lg_u32 s7, 0
	s_add_co_ci_u32 s7, s23, s25
	s_ashr_i32 s22, s9, 31
	s_mov_b32 s23, s22
	s_delay_alu instid0(SALU_CYCLE_1) | instskip(NEXT) | instid1(SALU_CYCLE_1)
	s_add_nc_u64 s[24:25], s[8:9], s[22:23]
	s_xor_b64 s[24:25], s[24:25], s[22:23]
	s_delay_alu instid0(SALU_CYCLE_1)
	s_mul_hi_u32 s27, s24, s7
	s_mul_i32 s26, s24, s7
	s_mul_hi_u32 s10, s24, s3
	s_mul_hi_u32 s14, s25, s3
	s_mul_i32 s3, s25, s3
	s_add_nc_u64 s[26:27], s[10:11], s[26:27]
	s_mul_hi_u32 s9, s25, s7
	s_add_co_u32 s3, s26, s3
	s_add_co_ci_u32 s10, s27, s14
	s_mul_i32 s28, s25, s7
	s_add_co_ci_u32 s29, s9, 0
	s_delay_alu instid0(SALU_CYCLE_1) | instskip(NEXT) | instid1(SALU_CYCLE_1)
	s_add_nc_u64 s[26:27], s[10:11], s[28:29]
	s_and_b64 s[28:29], s[26:27], 0xffffffff00000000
	s_delay_alu instid0(SALU_CYCLE_1) | instskip(NEXT) | instid1(SALU_CYCLE_1)
	s_or_b32 s28, s28, s26
	s_mul_u64 s[26:27], s[12:13], s[28:29]
	s_add_nc_u64 s[30:31], s[28:29], 1
	s_sub_co_u32 s3, s24, s26
	s_cselect_b32 s7, -1, 0
	s_sub_co_i32 s9, s25, s27
	s_cmp_lg_u32 s7, 0
	s_add_nc_u64 s[34:35], s[28:29], 2
	s_sub_co_ci_u32 s9, s9, s13
	s_sub_co_u32 s10, s3, s12
	s_cselect_b32 s14, -1, 0
	s_delay_alu instid0(SALU_CYCLE_1) | instskip(SKIP_1) | instid1(SALU_CYCLE_1)
	s_cmp_lg_u32 s14, 0
	s_sub_co_ci_u32 s9, s9, 0
	s_cmp_ge_u32 s9, s13
	s_cselect_b32 s14, -1, 0
	s_cmp_ge_u32 s10, s12
	s_cselect_b32 s10, -1, 0
	s_cmp_eq_u32 s9, s13
	s_cselect_b32 s9, s10, s14
	s_delay_alu instid0(SALU_CYCLE_1) | instskip(SKIP_4) | instid1(SALU_CYCLE_1)
	s_cmp_lg_u32 s9, 0
	s_cselect_b32 s9, s34, s30
	s_cselect_b32 s10, s35, s31
	s_cmp_lg_u32 s7, 0
	s_sub_co_ci_u32 s7, s25, s27
	s_cmp_ge_u32 s7, s13
	s_cselect_b32 s14, -1, 0
	s_cmp_ge_u32 s3, s12
	s_cselect_b32 s3, -1, 0
	s_cmp_eq_u32 s7, s13
	s_cselect_b32 s3, s3, s14
	s_delay_alu instid0(SALU_CYCLE_1) | instskip(SKIP_3) | instid1(SALU_CYCLE_1)
	s_cmp_lg_u32 s3, 0
	s_cselect_b32 s13, s10, s29
	s_cselect_b32 s12, s9, s28
	s_xor_b64 s[22:23], s[22:23], 0
	s_xor_b64 s[12:13], s[12:13], s[22:23]
	s_delay_alu instid0(SALU_CYCLE_1)
	s_sub_nc_u64 s[24:25], s[12:13], s[22:23]
	s_load_b96 s[12:14], s[0:1], 0x44
	s_cbranch_execnz .LBB45_6
.LBB45_5:
	v_cvt_f32_u32_e32 v1, s16
	s_sub_co_i32 s7, 0, s16
	s_delay_alu instid0(VALU_DEP_1) | instskip(SKIP_1) | instid1(TRANS32_DEP_1)
	v_rcp_iflag_f32_e32 v1, v1
	v_nop
	v_mul_f32_e32 v1, 0x4f7ffffe, v1
	s_delay_alu instid0(VALU_DEP_1) | instskip(NEXT) | instid1(VALU_DEP_1)
	v_cvt_u32_f32_e32 v1, v1
	v_readfirstlane_b32 s3, v1
	s_mul_i32 s7, s7, s3
	s_delay_alu instid0(SALU_CYCLE_1) | instskip(NEXT) | instid1(SALU_CYCLE_1)
	s_mul_hi_u32 s7, s3, s7
	s_add_co_i32 s3, s3, s7
	s_delay_alu instid0(SALU_CYCLE_1) | instskip(NEXT) | instid1(SALU_CYCLE_1)
	s_mul_hi_u32 s3, s8, s3
	s_mul_i32 s7, s3, s16
	s_delay_alu instid0(SALU_CYCLE_1)
	s_sub_co_i32 s7, s8, s7
	s_add_co_i32 s8, s3, 1
	s_sub_co_i32 s9, s7, s16
	s_cmp_ge_u32 s7, s16
	s_cselect_b32 s3, s8, s3
	s_cselect_b32 s7, s9, s7
	s_add_co_i32 s8, s3, 1
	s_cmp_ge_u32 s7, s16
	s_cselect_b32 s24, s8, s3
.LBB45_6:
	s_delay_alu instid0(SALU_CYCLE_1)
	s_cmp_eq_u32 s20, s24
	s_mov_b64 s[8:9], 0xffffffff
	s_cselect_b32 s3, -1, 0
	s_and_b64 s[8:9], s[20:21], s[8:9]
	s_mov_b32 s23, 0
	s_wait_kmcnt 0x0
	s_mov_b32 s22, s12
	s_mov_b32 s25, s23
	s_mul_u64 s[10:11], s[8:9], s[22:23]
	s_delay_alu instid0(SALU_CYCLE_1) | instskip(SKIP_2) | instid1(SALU_CYCLE_1)
	s_add_co_i32 s7, s11, s20
	s_mul_u64 s[10:11], s[24:25], s[22:23]
	s_lshr_b32 s12, s7, s13
	s_mul_i32 s7, s12, s14
	s_delay_alu instid0(SALU_CYCLE_1) | instskip(SKIP_2) | instid1(SALU_CYCLE_1)
	s_cmp_eq_u32 s7, s20
	s_cselect_b32 s7, -1, 0
	s_add_co_i32 s10, s11, s24
	s_lshr_b32 s10, s10, s13
	s_delay_alu instid0(SALU_CYCLE_1)
	s_cmp_eq_u32 s12, s10
	s_mul_i32 s10, s10, s14
	s_cselect_b32 s11, -1, 0
	s_cmp_lg_u32 s10, s24
	s_cselect_b32 s10, -1, 0
	s_or_b32 s3, s3, s7
	s_and_b32 s10, s11, s10
	s_delay_alu instid0(SALU_CYCLE_1) | instskip(NEXT) | instid1(SALU_CYCLE_1)
	s_or_b32 s3, s3, s10
	s_and_b32 vcc_lo, exec_lo, s3
	s_cbranch_vccnz .LBB45_24
; %bb.7:
	s_load_b256 s[24:31], s[0:1], 0x20
	s_bfe_u32 s7, ttmp6, 0x40014
	s_bfe_u32 s33, ttmp6, 0x40010
	s_lshr_b32 s3, ttmp7, 16
	s_add_co_i32 s7, s7, 1
	s_and_b32 s21, ttmp7, 0xffff
	s_add_co_i32 s33, s33, 1
	s_bfe_u32 s10, ttmp6, 0x40008
	s_mul_i32 s7, s3, s7
	s_bfe_u32 s34, ttmp6, 0x40004
	s_mul_i32 s33, s21, s33
	s_mov_b32 s11, s23
	s_add_co_i32 s35, s10, s7
	s_add_co_i32 s34, s34, s33
	s_cmp_eq_u32 s15, 0
	s_cselect_b32 s7, s21, s34
	s_cselect_b32 s3, s3, s35
	s_wait_kmcnt 0x0
	s_mov_b32 s10, s24
	s_delay_alu instid0(SALU_CYCLE_1) | instskip(NEXT) | instid1(SALU_CYCLE_1)
	s_mul_u64 s[8:9], s[8:9], s[10:11]
	s_add_co_i32 s8, s9, s20
	s_delay_alu instid0(SALU_CYCLE_1) | instskip(SKIP_2) | instid1(SALU_CYCLE_1)
	s_lshr_b32 s15, s8, s25
	s_load_b32 s8, s[0:1], 0x40
	s_mul_i32 s9, s15, s26
	s_sub_co_i32 s9, s20, s9
	s_delay_alu instid0(SALU_CYCLE_1) | instskip(NEXT) | instid1(SALU_CYCLE_1)
	s_mul_hi_u32 s10, s9, s27
	s_add_co_i32 s10, s9, s10
	s_delay_alu instid0(SALU_CYCLE_1) | instskip(NEXT) | instid1(SALU_CYCLE_1)
	s_lshr_b32 s21, s10, s28
	s_mul_i32 s10, s21, s29
	s_delay_alu instid0(SALU_CYCLE_1) | instskip(NEXT) | instid1(SALU_CYCLE_1)
	s_sub_co_i32 s10, s9, s10
	s_mul_hi_u32 s9, s10, s30
	s_delay_alu instid0(SALU_CYCLE_1) | instskip(NEXT) | instid1(SALU_CYCLE_1)
	s_add_co_i32 s9, s10, s9
	s_lshr_b32 s25, s9, s31
	s_mov_b32 s9, s23
	s_wait_kmcnt 0x0
	s_mul_i32 s8, s25, s8
	s_lshl_b32 s25, s25, 1
	s_sub_co_i32 s8, s10, s8
	s_delay_alu instid0(SALU_CYCLE_1) | instskip(NEXT) | instid1(SALU_CYCLE_1)
	s_mul_u64 s[10:11], s[8:9], s[22:23]
	s_add_co_i32 s8, s8, s11
	s_delay_alu instid0(SALU_CYCLE_1) | instskip(NEXT) | instid1(SALU_CYCLE_1)
	s_lshr_b32 s24, s8, s13
	s_lshl_b32 s8, s24, 2
	s_delay_alu instid0(SALU_CYCLE_1) | instskip(NEXT) | instid1(SALU_CYCLE_1)
	s_add_co_i32 s8, s8, s7
	s_cmp_lt_i32 s8, s4
	s_cselect_b32 s8, -1, 0
	s_add_co_i32 s25, s25, s3
	s_delay_alu instid0(SALU_CYCLE_1) | instskip(SKIP_1) | instid1(SALU_CYCLE_1)
	s_cmp_lt_i32 s25, s6
	s_cselect_b32 s9, -1, 0
	s_and_b32 s8, s8, s9
	s_delay_alu instid0(SALU_CYCLE_1)
	s_and_not1_b32 vcc_lo, exec_lo, s8
	s_cbranch_vccnz .LBB45_24
; %bb.8:
	s_load_b128 s[8:11], s[0:1], 0x0
	s_wait_xcnt 0x0
	s_mul_i32 s0, s15, s4
	s_mul_i32 s21, s21, s6
	s_add_co_i32 s0, s0, s7
	s_add_co_i32 s1, s25, s21
	s_mul_i32 s0, s0, s5
	s_mul_i32 s4, s5, s24
	s_add_co_i32 s0, s1, s0
	s_mulk_i32 s4, 0x120
	s_mulk_i32 s0, 0x48
	s_lshl_b32 s15, s7, 1
	v_add3_u32 v2, s4, s0, v0
	s_add_nc_u64 s[0:1], s[16:17], 0
	s_add_co_i32 s15, s15, s3
	s_xor_b64 s[6:7], s[0:1], 0
	s_lshl_b32 s0, s2, 3
	s_cvt_f32_u32 s3, s6
	s_cvt_f32_u32 s4, s7
	s_add_co_i32 s0, s15, s0
	v_cvt_f32_u32_e32 v4, s16
	s_wait_kmcnt 0x0
	global_load_b32 v1, v2, s[8:9] scale_offset
	s_fmamk_f32 s3, s4, 0x4f800000, s3
	s_ashr_i32 s1, s0, 31
	s_lshl_b32 s24, s16, 5
	s_lshl_b64 s[0:1], s[0:1], 3
	v_s_rcp_f32 s3, s3
	s_add_nc_u64 s[0:1], s[10:11], s[0:1]
	v_rcp_iflag_f32_e32 v4, v4
	s_load_b64 s[28:29], s[0:1], 0x0
	s_mov_b32 s25, 0
	v_mad_u32 v6, 0x48, s15, v0
	v_ashrrev_i32_e32 v3, 31, v2
	s_wait_xcnt 0x0
	s_lshl_b64 s[0:1], s[24:25], 2
	s_mul_f32 s3, s3, 0x5f7ffffc
	v_mul_f32_e32 v4, 0x4f7ffffe, v4
	s_add_nc_u64 s[26:27], s[10:11], s[0:1]
	v_lshl_add_u64 v[2:3], v[2:3], 2, s[8:9]
	s_mul_f32 s4, s3, 0x2f800000
	s_mov_b64 s[8:9], 0xffffffff
	v_cvt_u32_f32_e32 v7, v4
	s_add_co_i32 s36, s2, -1
	s_trunc_f32 s4, s4
	s_sub_nc_u64 s[34:35], 0, s[6:7]
	s_delay_alu instid0(SALU_CYCLE_2)
	s_fmamk_f32 s0, s4, 0xcf800000, s3
	s_cvt_u32_f32 s31, s4
	s_wait_kmcnt 0x0
	v_mov_b32_e32 v0, s29
	s_cvt_u32_f32 s30, s0
.LBB45_9:                               ; =>This Inner Loop Header: Depth=1
	s_ashr_i32 s37, s36, 31
                                        ; implicit-def: $sgpr40_sgpr41
	s_delay_alu instid0(SALU_CYCLE_1) | instskip(NEXT) | instid1(SALU_CYCLE_1)
	s_mul_u64 s[0:1], s[36:37], s[18:19]
	s_and_b64 s[2:3], s[0:1], 0xffffffff00000000
	s_delay_alu instid0(SALU_CYCLE_1)
	s_cmp_lg_u64 s[2:3], 0
	s_mov_b32 s2, -1
	s_cbranch_scc0 .LBB45_11
; %bb.10:                               ;   in Loop: Header=BB45_9 Depth=1
	s_mul_u64 s[2:3], s[34:35], s[30:31]
	s_delay_alu instid0(SALU_CYCLE_1)
	s_mul_hi_u32 s5, s30, s3
	s_mul_i32 s4, s30, s3
	s_mul_hi_u32 s24, s30, s2
	s_mul_hi_u32 s17, s31, s2
	s_add_nc_u64 s[4:5], s[24:25], s[4:5]
	s_mul_i32 s2, s31, s2
	s_mul_hi_u32 s21, s31, s3
	s_add_co_u32 s2, s4, s2
	s_add_co_ci_u32 s24, s5, s17
	s_add_co_ci_u32 s5, s21, 0
	s_mul_i32 s4, s31, s3
	s_delay_alu instid0(SALU_CYCLE_1) | instskip(NEXT) | instid1(SALU_CYCLE_1)
	s_add_nc_u64 s[2:3], s[24:25], s[4:5]
	s_add_co_u32 s2, s30, s2
	s_cselect_b32 s4, -1, 0
	s_delay_alu instid0(SALU_CYCLE_1) | instskip(SKIP_1) | instid1(SALU_CYCLE_1)
	s_cmp_lg_u32 s4, 0
	s_add_co_ci_u32 s3, s31, s3
	s_mul_u64 s[4:5], s[34:35], s[2:3]
	s_delay_alu instid0(SALU_CYCLE_1)
	s_mul_hi_u32 s39, s2, s5
	s_mul_i32 s38, s2, s5
	s_mul_hi_u32 s24, s2, s4
	s_mul_hi_u32 s17, s3, s4
	s_mul_i32 s4, s3, s4
	s_add_nc_u64 s[38:39], s[24:25], s[38:39]
	s_mul_hi_u32 s21, s3, s5
	s_add_co_u32 s4, s38, s4
	s_add_co_ci_u32 s24, s39, s17
	s_mul_i32 s4, s3, s5
	s_add_co_ci_u32 s5, s21, 0
	s_delay_alu instid0(SALU_CYCLE_1) | instskip(NEXT) | instid1(SALU_CYCLE_1)
	s_add_nc_u64 s[4:5], s[24:25], s[4:5]
	s_add_co_u32 s17, s2, s4
	s_cselect_b32 s2, -1, 0
	s_delay_alu instid0(SALU_CYCLE_1) | instskip(SKIP_2) | instid1(SALU_CYCLE_1)
	s_cmp_lg_u32 s2, 0
	s_add_co_ci_u32 s21, s3, s5
	s_ashr_i32 s2, s1, 31
	s_mov_b32 s3, s2
	s_delay_alu instid0(SALU_CYCLE_1) | instskip(NEXT) | instid1(SALU_CYCLE_1)
	s_add_nc_u64 s[4:5], s[0:1], s[2:3]
	s_xor_b64 s[4:5], s[4:5], s[2:3]
	s_delay_alu instid0(SALU_CYCLE_1)
	s_mul_hi_u32 s39, s4, s21
	s_mul_i32 s38, s4, s21
	s_mul_hi_u32 s24, s4, s17
	s_mul_hi_u32 s29, s5, s17
	s_mul_i32 s17, s5, s17
	s_add_nc_u64 s[38:39], s[24:25], s[38:39]
	s_mul_hi_u32 s1, s5, s21
	s_add_co_u32 s17, s38, s17
	s_add_co_ci_u32 s24, s39, s29
	s_mul_i32 s40, s5, s21
	s_add_co_ci_u32 s41, s1, 0
	s_delay_alu instid0(SALU_CYCLE_1) | instskip(NEXT) | instid1(SALU_CYCLE_1)
	s_add_nc_u64 s[38:39], s[24:25], s[40:41]
	s_and_b64 s[40:41], s[38:39], 0xffffffff00000000
	s_delay_alu instid0(SALU_CYCLE_1) | instskip(NEXT) | instid1(SALU_CYCLE_1)
	s_or_b32 s40, s40, s38
	s_mul_u64 s[38:39], s[6:7], s[40:41]
	s_add_nc_u64 s[42:43], s[40:41], 1
	s_sub_co_u32 s1, s4, s38
	s_cselect_b32 s4, -1, 0
	s_sub_co_i32 s17, s5, s39
	s_cmp_lg_u32 s4, 0
	s_add_nc_u64 s[44:45], s[40:41], 2
	s_sub_co_ci_u32 s17, s17, s7
	s_sub_co_u32 s21, s1, s6
	s_cselect_b32 s24, -1, 0
	s_delay_alu instid0(SALU_CYCLE_1) | instskip(SKIP_1) | instid1(SALU_CYCLE_1)
	s_cmp_lg_u32 s24, 0
	s_sub_co_ci_u32 s17, s17, 0
	s_cmp_ge_u32 s17, s7
	s_cselect_b32 s24, -1, 0
	s_cmp_ge_u32 s21, s6
	s_cselect_b32 s21, -1, 0
	s_cmp_eq_u32 s17, s7
	s_cselect_b32 s17, s21, s24
	s_delay_alu instid0(SALU_CYCLE_1) | instskip(SKIP_4) | instid1(SALU_CYCLE_1)
	s_cmp_lg_u32 s17, 0
	s_cselect_b32 s17, s44, s42
	s_cselect_b32 s21, s45, s43
	s_cmp_lg_u32 s4, 0
	s_sub_co_ci_u32 s4, s5, s39
	s_cmp_ge_u32 s4, s7
	s_cselect_b32 s5, -1, 0
	s_cmp_ge_u32 s1, s6
	s_cselect_b32 s1, -1, 0
	s_cmp_eq_u32 s4, s7
	s_cselect_b32 s1, s1, s5
	s_delay_alu instid0(SALU_CYCLE_1) | instskip(SKIP_3) | instid1(SALU_CYCLE_1)
	s_cmp_lg_u32 s1, 0
	s_cselect_b32 s5, s21, s41
	s_cselect_b32 s4, s17, s40
	s_xor_b64 s[2:3], s[2:3], 0
	s_xor_b64 s[4:5], s[4:5], s[2:3]
	s_delay_alu instid0(SALU_CYCLE_1)
	s_sub_nc_u64 s[40:41], s[4:5], s[2:3]
	s_mov_b32 s2, 0
.LBB45_11:                              ;   in Loop: Header=BB45_9 Depth=1
	s_delay_alu instid0(SALU_CYCLE_1)
	s_and_not1_b32 vcc_lo, exec_lo, s2
	s_cbranch_vccnz .LBB45_13
; %bb.12:                               ;   in Loop: Header=BB45_9 Depth=1
	v_readfirstlane_b32 s1, v7
	s_sub_co_i32 s2, 0, s16
	s_delay_alu instid0(SALU_CYCLE_1) | instskip(NEXT) | instid1(SALU_CYCLE_1)
	s_mul_i32 s2, s2, s1
	s_mul_hi_u32 s2, s1, s2
	s_delay_alu instid0(SALU_CYCLE_1) | instskip(NEXT) | instid1(SALU_CYCLE_1)
	s_add_co_i32 s1, s1, s2
	s_mul_hi_u32 s1, s0, s1
	s_delay_alu instid0(SALU_CYCLE_1) | instskip(NEXT) | instid1(SALU_CYCLE_1)
	s_mul_i32 s2, s1, s16
	s_sub_co_i32 s0, s0, s2
	s_add_co_i32 s2, s1, 1
	s_sub_co_i32 s3, s0, s16
	s_cmp_ge_u32 s0, s16
	s_cselect_b32 s1, s2, s1
	s_cselect_b32 s0, s3, s0
	s_add_co_i32 s2, s1, 1
	s_cmp_ge_u32 s0, s16
	s_cselect_b32 s24, s2, s1
	s_delay_alu instid0(SALU_CYCLE_1)
	s_mov_b64 s[40:41], s[24:25]
.LBB45_13:                              ;   in Loop: Header=BB45_9 Depth=1
	s_delay_alu instid0(SALU_CYCLE_1)
	s_cmp_lg_u32 s20, s40
	s_mov_b32 s0, -1
                                        ; implicit-def: $vgpr4_vgpr5
                                        ; implicit-def: $sgpr24
                                        ; implicit-def: $sgpr17
                                        ; implicit-def: $sgpr21
                                        ; implicit-def: $sgpr29
	s_cbranch_scc0 .LBB45_18
; %bb.14:                               ;   in Loop: Header=BB45_9 Depth=1
	s_add_co_i32 s0, s36, s16
	v_max_num_f32_e64 v4, s28, s28
	s_lshl_b32 s0, s0, 3
	s_mov_b32 s29, s20
	s_add_co_i32 s0, s0, s15
	s_load_b64 s[38:39], s[10:11], s0 offset:0x0 scale_offset
	s_wait_xcnt 0x0
	v_readfirstlane_b32 s0, v4
	s_wait_kmcnt 0x0
	v_max_num_f32_e64 v5, s38, s38
	s_delay_alu instid0(VALU_DEP_1) | instskip(SKIP_1) | instid1(SALU_CYCLE_3)
	v_readfirstlane_b32 s1, v5
	s_max_num_f32 s17, s0, s1
	s_sub_f32 s33, s28, s17
	s_sub_f32 s37, s38, s17
	s_delay_alu instid0(SALU_CYCLE_2)
	s_cmp_nlt_f32 s33, 0xc2ce8ed0
	s_cselect_b32 s1, -1, 0
	s_cmp_ngt_f32 s33, 0x42b17218
	s_cselect_b32 s2, -1, 0
	s_cmp_ge_f32 s33, 0xc1a00000
	s_cselect_b32 s0, -1, 0
	s_cmp_nlt_f32 s37, 0xc2ce8ed0
	s_cselect_b32 s3, -1, 0
	s_cmp_ngt_f32 s37, 0x42b17218
	s_cselect_b32 s4, -1, 0
	s_cmp_ge_f32 s37, 0xc1a00000
	s_cselect_b32 s5, -1, 0
	s_and_b64 s[42:43], s[40:41], s[8:9]
	s_delay_alu instid0(SALU_CYCLE_1) | instskip(NEXT) | instid1(SALU_CYCLE_1)
	s_mul_u64 s[42:43], s[42:43], s[22:23]
	s_add_co_i32 s21, s43, s40
	s_delay_alu instid0(SALU_CYCLE_1) | instskip(NEXT) | instid1(SALU_CYCLE_1)
	s_lshr_b32 s21, s21, s13
	s_mul_i32 s24, s21, s14
	s_delay_alu instid0(SALU_CYCLE_1) | instskip(SKIP_3) | instid1(SALU_CYCLE_1)
	s_cmp_eq_u32 s24, s40
	s_cselect_b32 s24, -1, 0
	s_cmp_lt_u32 s21, s12
	s_cselect_b32 s21, -1, 0
	s_or_b32 s21, s21, s24
	s_mov_b32 s24, -1
	s_and_b32 vcc_lo, exec_lo, s21
	s_mov_b32 s21, s36
	s_cbranch_vccnz .LBB45_16
; %bb.15:                               ;   in Loop: Header=BB45_9 Depth=1
	s_add_co_i32 s21, s36, -1
	s_mov_b32 s24, 0
	s_mov_b32 s29, s40
.LBB45_16:                              ;   in Loop: Header=BB45_9 Depth=1
	v_mad_u32 v4, 0x240, s36, v6
	s_mul_f32 s40, s33, 0x3fb8aa3b
	s_mul_f32 s38, s37, 0x3fb8aa3b
	s_delay_alu instid0(SALU_CYCLE_2)
	s_xor_b32 s42, s40, 0x80000000
	s_rndne_f32 s44, s40
	s_fmamk_f32 s42, s33, 0x3fb8aa3b, s42
	s_xor_b32 s41, s38, 0x80000000
	s_rndne_f32 s43, s38
	s_sub_f32 s40, s40, s44
	global_load_b32 v5, v4, s[26:27] scale_offset
	s_fmamk_f32 s33, s33, 0x32a5705f, s42
	s_fmamk_f32 s41, s37, 0x3fb8aa3b, s41
	s_sub_f32 s38, s38, s43
	s_delay_alu instid0(SALU_CYCLE_1) | instskip(NEXT) | instid1(SALU_CYCLE_1)
	s_add_f32 s33, s40, s33
	s_fmamk_f32 s37, s37, 0x32a5705f, s41
	s_cvt_i32_f32 s40, s44
	s_delay_alu instid0(SALU_CYCLE_1) | instskip(NEXT) | instid1(SALU_CYCLE_1)
	v_s_exp_f32 s33, s33
	s_add_f32 s37, s38, s37
	s_cvt_i32_f32 s38, s43
	s_delay_alu instid0(SALU_CYCLE_2) | instskip(NEXT) | instid1(TRANS32_DEP_2)
	v_s_exp_f32 s37, s37
	v_ldexp_f32 v8, s33, s40
	s_wait_xcnt 0x0
	s_delay_alu instid0(TRANS32_DEP_1) | instskip(NEXT) | instid1(VALU_DEP_2)
	v_ldexp_f32 v4, s37, s38
	v_cndmask_b32_e64 v8, 0, v8, s1
	s_delay_alu instid0(VALU_DEP_1) | instskip(NEXT) | instid1(VALU_DEP_1)
	v_cndmask_b32_e64 v9, 0x7f800000, v8, s2
	v_dual_cndmask_b32 v4, 0, v4, s3 :: v_dual_cndmask_b32 v10, 0, v9, s0
	s_delay_alu instid0(VALU_DEP_1) | instskip(NEXT) | instid1(VALU_DEP_1)
	v_cndmask_b32_e64 v4, 0x7f800000, v4, s4
	v_dual_cndmask_b32 v8, 0, v4, s5 :: v_dual_mov_b32 v4, s39
	s_wait_loadcnt 0x0
	s_delay_alu instid0(VALU_DEP_1) | instskip(NEXT) | instid1(VALU_DEP_1)
	v_pk_mul_f32 v[4:5], v[4:5], v[8:9] op_sel_hi:[1,0]
	v_pk_fma_f32 v[4:5], v[0:1], v[10:11], v[4:5] op_sel_hi:[1,0,1]
	s_cbranch_execz .LBB45_19
.LBB45_17:                              ;   in Loop: Header=BB45_9 Depth=1
	s_and_not1_b32 vcc_lo, exec_lo, s24
	s_cbranch_vccnz .LBB45_20
	s_branch .LBB45_23
.LBB45_18:                              ;   in Loop: Header=BB45_9 Depth=1
	s_and_not1_b32 vcc_lo, exec_lo, s0
	s_cbranch_vccnz .LBB45_17
.LBB45_19:                              ;   in Loop: Header=BB45_9 Depth=1
	s_wait_loadcnt 0x0
	v_mov_b64_e32 v[4:5], v[0:1]
	s_add_co_i32 s21, s36, -1
	s_mov_b32 s29, s20
	s_mov_b32 s17, s28
	s_cbranch_execz .LBB45_23
.LBB45_20:                              ;   in Loop: Header=BB45_9 Depth=1
	s_wait_loadcnt 0x0
	s_delay_alu instid0(VALU_DEP_1)
	v_mov_b64_e32 v[0:1], v[4:5]
	s_mov_b32 s20, s29
	s_mov_b32 s36, s21
	;; [unrolled: 1-line block ×3, first 2 shown]
	s_branch .LBB45_9
.LBB45_21:
                                        ; implicit-def: $sgpr20_sgpr21
	s_branch .LBB45_2
.LBB45_22:
                                        ; implicit-def: $sgpr24_sgpr25
	s_load_b96 s[12:14], s[0:1], 0x44
	s_branch .LBB45_5
.LBB45_23:
	s_delay_alu instid0(VALU_DEP_1) | instskip(SKIP_1) | instid1(VALU_DEP_1)
	v_div_scale_f32 v0, null, v4, v4, v5
	s_wait_loadcnt 0x0
	v_rcp_f32_e32 v1, v0
	v_nop
	s_delay_alu instid0(TRANS32_DEP_1) | instskip(NEXT) | instid1(VALU_DEP_1)
	v_fma_f32 v6, -v0, v1, 1.0
	v_fmac_f32_e32 v1, v6, v1
	v_div_scale_f32 v6, vcc_lo, v5, v4, v5
	s_delay_alu instid0(VALU_DEP_1) | instskip(NEXT) | instid1(VALU_DEP_1)
	v_mul_f32_e32 v7, v6, v1
	v_fma_f32 v8, -v0, v7, v6
	s_delay_alu instid0(VALU_DEP_1) | instskip(NEXT) | instid1(VALU_DEP_1)
	v_fmac_f32_e32 v7, v8, v1
	v_fma_f32 v0, -v0, v7, v6
	s_delay_alu instid0(VALU_DEP_1) | instskip(NEXT) | instid1(VALU_DEP_1)
	v_div_fmas_f32 v0, v0, v1, v7
	v_div_fixup_f32 v0, v0, v4, v5
	global_store_b32 v[2:3], v0, off
.LBB45_24:
	s_endpgm
	.section	.rodata,"a",@progbits
	.p2align	6, 0x0
	.amdhsa_kernel _ZL33flash_attn_stream_k_fixup_generalILi72ELi4ELi2EEvPfPK15HIP_vector_typeIfLj2EEiiiiS1_IjLj3EES5_S5_S5_
		.amdhsa_group_segment_fixed_size 0
		.amdhsa_private_segment_fixed_size 0
		.amdhsa_kernarg_size 336
		.amdhsa_user_sgpr_count 2
		.amdhsa_user_sgpr_dispatch_ptr 0
		.amdhsa_user_sgpr_queue_ptr 0
		.amdhsa_user_sgpr_kernarg_segment_ptr 1
		.amdhsa_user_sgpr_dispatch_id 0
		.amdhsa_user_sgpr_kernarg_preload_length 0
		.amdhsa_user_sgpr_kernarg_preload_offset 0
		.amdhsa_user_sgpr_private_segment_size 0
		.amdhsa_wavefront_size32 1
		.amdhsa_uses_dynamic_stack 0
		.amdhsa_enable_private_segment 0
		.amdhsa_system_sgpr_workgroup_id_x 1
		.amdhsa_system_sgpr_workgroup_id_y 1
		.amdhsa_system_sgpr_workgroup_id_z 1
		.amdhsa_system_sgpr_workgroup_info 0
		.amdhsa_system_vgpr_workitem_id 0
		.amdhsa_next_free_vgpr 12
		.amdhsa_next_free_sgpr 46
		.amdhsa_named_barrier_count 0
		.amdhsa_reserve_vcc 1
		.amdhsa_float_round_mode_32 0
		.amdhsa_float_round_mode_16_64 0
		.amdhsa_float_denorm_mode_32 3
		.amdhsa_float_denorm_mode_16_64 3
		.amdhsa_fp16_overflow 0
		.amdhsa_memory_ordered 1
		.amdhsa_forward_progress 1
		.amdhsa_inst_pref_size 27
		.amdhsa_round_robin_scheduling 0
		.amdhsa_exception_fp_ieee_invalid_op 0
		.amdhsa_exception_fp_denorm_src 0
		.amdhsa_exception_fp_ieee_div_zero 0
		.amdhsa_exception_fp_ieee_overflow 0
		.amdhsa_exception_fp_ieee_underflow 0
		.amdhsa_exception_fp_ieee_inexact 0
		.amdhsa_exception_int_div_zero 0
	.end_amdhsa_kernel
	.section	.text._ZL33flash_attn_stream_k_fixup_generalILi72ELi4ELi2EEvPfPK15HIP_vector_typeIfLj2EEiiiiS1_IjLj3EES5_S5_S5_,"axG",@progbits,_ZL33flash_attn_stream_k_fixup_generalILi72ELi4ELi2EEvPfPK15HIP_vector_typeIfLj2EEiiiiS1_IjLj3EES5_S5_S5_,comdat
.Lfunc_end45:
	.size	_ZL33flash_attn_stream_k_fixup_generalILi72ELi4ELi2EEvPfPK15HIP_vector_typeIfLj2EEiiiiS1_IjLj3EES5_S5_S5_, .Lfunc_end45-_ZL33flash_attn_stream_k_fixup_generalILi72ELi4ELi2EEvPfPK15HIP_vector_typeIfLj2EEiiiiS1_IjLj3EES5_S5_S5_
                                        ; -- End function
	.set _ZL33flash_attn_stream_k_fixup_generalILi72ELi4ELi2EEvPfPK15HIP_vector_typeIfLj2EEiiiiS1_IjLj3EES5_S5_S5_.num_vgpr, 12
	.set _ZL33flash_attn_stream_k_fixup_generalILi72ELi4ELi2EEvPfPK15HIP_vector_typeIfLj2EEiiiiS1_IjLj3EES5_S5_S5_.num_agpr, 0
	.set _ZL33flash_attn_stream_k_fixup_generalILi72ELi4ELi2EEvPfPK15HIP_vector_typeIfLj2EEiiiiS1_IjLj3EES5_S5_S5_.numbered_sgpr, 46
	.set _ZL33flash_attn_stream_k_fixup_generalILi72ELi4ELi2EEvPfPK15HIP_vector_typeIfLj2EEiiiiS1_IjLj3EES5_S5_S5_.num_named_barrier, 0
	.set _ZL33flash_attn_stream_k_fixup_generalILi72ELi4ELi2EEvPfPK15HIP_vector_typeIfLj2EEiiiiS1_IjLj3EES5_S5_S5_.private_seg_size, 0
	.set _ZL33flash_attn_stream_k_fixup_generalILi72ELi4ELi2EEvPfPK15HIP_vector_typeIfLj2EEiiiiS1_IjLj3EES5_S5_S5_.uses_vcc, 1
	.set _ZL33flash_attn_stream_k_fixup_generalILi72ELi4ELi2EEvPfPK15HIP_vector_typeIfLj2EEiiiiS1_IjLj3EES5_S5_S5_.uses_flat_scratch, 0
	.set _ZL33flash_attn_stream_k_fixup_generalILi72ELi4ELi2EEvPfPK15HIP_vector_typeIfLj2EEiiiiS1_IjLj3EES5_S5_S5_.has_dyn_sized_stack, 0
	.set _ZL33flash_attn_stream_k_fixup_generalILi72ELi4ELi2EEvPfPK15HIP_vector_typeIfLj2EEiiiiS1_IjLj3EES5_S5_S5_.has_recursion, 0
	.set _ZL33flash_attn_stream_k_fixup_generalILi72ELi4ELi2EEvPfPK15HIP_vector_typeIfLj2EEiiiiS1_IjLj3EES5_S5_S5_.has_indirect_call, 0
	.section	.AMDGPU.csdata,"",@progbits
; Kernel info:
; codeLenInByte = 3352
; TotalNumSgprs: 48
; NumVgprs: 12
; ScratchSize: 0
; MemoryBound: 0
; FloatMode: 240
; IeeeMode: 1
; LDSByteSize: 0 bytes/workgroup (compile time only)
; SGPRBlocks: 0
; VGPRBlocks: 0
; NumSGPRsForWavesPerEU: 48
; NumVGPRsForWavesPerEU: 12
; NamedBarCnt: 0
; Occupancy: 16
; WaveLimiterHint : 0
; COMPUTE_PGM_RSRC2:SCRATCH_EN: 0
; COMPUTE_PGM_RSRC2:USER_SGPR: 2
; COMPUTE_PGM_RSRC2:TRAP_HANDLER: 0
; COMPUTE_PGM_RSRC2:TGID_X_EN: 1
; COMPUTE_PGM_RSRC2:TGID_Y_EN: 1
; COMPUTE_PGM_RSRC2:TGID_Z_EN: 1
; COMPUTE_PGM_RSRC2:TIDIG_COMP_CNT: 0
	.section	.text._ZL15flash_attn_tileILi72ELi72ELi2ELi2ELb0EEvPKcS1_S1_S1_S1_PKiPfP15HIP_vector_typeIfLj2EEffffjfiS5_IjLj3EEiiiiiiiiiiiliiliiiiil,"axG",@progbits,_ZL15flash_attn_tileILi72ELi72ELi2ELi2ELb0EEvPKcS1_S1_S1_S1_PKiPfP15HIP_vector_typeIfLj2EEffffjfiS5_IjLj3EEiiiiiiiiiiiliiliiiiil,comdat
	.globl	_ZL15flash_attn_tileILi72ELi72ELi2ELi2ELb0EEvPKcS1_S1_S1_S1_PKiPfP15HIP_vector_typeIfLj2EEffffjfiS5_IjLj3EEiiiiiiiiiiiliiliiiiil ; -- Begin function _ZL15flash_attn_tileILi72ELi72ELi2ELi2ELb0EEvPKcS1_S1_S1_S1_PKiPfP15HIP_vector_typeIfLj2EEffffjfiS5_IjLj3EEiiiiiiiiiiiliiliiiiil
	.p2align	8
	.type	_ZL15flash_attn_tileILi72ELi72ELi2ELi2ELb0EEvPKcS1_S1_S1_S1_PKiPfP15HIP_vector_typeIfLj2EEffffjfiS5_IjLj3EEiiiiiiiiiiiliiliiiiil,@function
_ZL15flash_attn_tileILi72ELi72ELi2ELi2ELb0EEvPKcS1_S1_S1_S1_PKiPfP15HIP_vector_typeIfLj2EEffffjfiS5_IjLj3EEiiiiiiiiiiiliiliiiiil: ; @_ZL15flash_attn_tileILi72ELi72ELi2ELi2ELb0EEvPKcS1_S1_S1_S1_PKiPfP15HIP_vector_typeIfLj2EEffffjfiS5_IjLj3EEiiiiiiiiiiiliiliiiiil
; %bb.0:
	s_clause 0x1
	s_load_b128 s[20:23], s[0:1], 0x5c
	s_load_b64 s[30:31], s[0:1], 0x80
	s_bfe_u32 s5, ttmp6, 0x40014
	s_lshr_b32 s4, ttmp7, 16
	s_add_co_i32 s5, s5, 1
	s_bfe_u32 s6, ttmp6, 0x40008
	s_mul_i32 s5, s4, s5
	s_getreg_b32 s24, hwreg(HW_REG_IB_STS2, 6, 4)
	s_add_co_i32 s6, s6, s5
	s_mov_b32 s37, 0
	s_mov_b64 s[34:35], 0
	s_wait_kmcnt 0x0
	s_lshr_b32 s2, s23, 31
	s_delay_alu instid0(SALU_CYCLE_1) | instskip(NEXT) | instid1(SALU_CYCLE_1)
	s_add_co_i32 s2, s23, s2
	s_ashr_i32 s2, s2, 1
	s_delay_alu instid0(SALU_CYCLE_1) | instskip(SKIP_1) | instid1(SALU_CYCLE_2)
	s_cvt_f32_u32 s3, s2
	s_sub_co_i32 s7, 0, s2
	v_rcp_iflag_f32_e32 v1, s3
	v_nop
	s_delay_alu instid0(TRANS32_DEP_1) | instskip(SKIP_1) | instid1(SALU_CYCLE_3)
	v_readfirstlane_b32 s3, v1
	s_mul_f32 s3, s3, 0x4f7ffffe
	s_cvt_u32_f32 s3, s3
	s_delay_alu instid0(SALU_CYCLE_3) | instskip(NEXT) | instid1(SALU_CYCLE_1)
	s_mul_i32 s7, s7, s3
	s_mul_hi_u32 s7, s3, s7
	s_delay_alu instid0(SALU_CYCLE_1) | instskip(SKIP_2) | instid1(SALU_CYCLE_1)
	s_add_co_i32 s3, s3, s7
	s_cmp_eq_u32 s24, 0
	s_cselect_b32 s4, s4, s6
	s_mul_hi_u32 s3, s4, s3
	s_delay_alu instid0(SALU_CYCLE_1) | instskip(SKIP_2) | instid1(SALU_CYCLE_1)
	s_mul_i32 s5, s3, s2
	s_add_co_i32 s6, s3, 1
	s_sub_co_i32 s5, s4, s5
	s_sub_co_i32 s7, s5, s2
	s_cmp_ge_u32 s5, s2
	s_cselect_b32 s3, s6, s3
	s_cselect_b32 s5, s7, s5
	s_add_co_i32 s6, s3, 1
	s_cmp_ge_u32 s5, s2
	s_cselect_b32 s28, s6, s3
	s_abs_i32 s2, s31
	s_abs_i32 s6, s23
	s_cvt_f32_u32 s3, s2
	s_sub_co_i32 s5, 0, s2
	s_lshl_b32 s25, s4, 1
	s_xor_b32 s4, s23, s31
	v_rcp_iflag_f32_e32 v1, s3
	s_ashr_i32 s26, s4, 31
	v_nop
	s_delay_alu instid0(TRANS32_DEP_1) | instskip(SKIP_1) | instid1(SALU_CYCLE_3)
	v_readfirstlane_b32 s3, v1
	s_mul_f32 s3, s3, 0x4f7ffffe
	s_cvt_u32_f32 s3, s3
	s_delay_alu instid0(SALU_CYCLE_3) | instskip(NEXT) | instid1(SALU_CYCLE_1)
	s_mul_i32 s5, s5, s3
	s_mul_hi_u32 s5, s3, s5
	s_delay_alu instid0(SALU_CYCLE_1) | instskip(NEXT) | instid1(SALU_CYCLE_1)
	s_add_co_i32 s3, s3, s5
	s_mul_hi_u32 s3, s6, s3
	s_delay_alu instid0(SALU_CYCLE_1) | instskip(NEXT) | instid1(SALU_CYCLE_1)
	s_mul_i32 s5, s3, s2
	s_sub_co_i32 s4, s6, s5
	s_add_co_i32 s5, s3, 1
	s_sub_co_i32 s6, s4, s2
	s_cmp_ge_u32 s4, s2
	s_cselect_b32 s3, s5, s3
	s_cselect_b32 s4, s6, s4
	s_add_co_i32 s5, s3, 1
	s_cmp_ge_u32 s4, s2
	s_cselect_b32 s2, s5, s3
	s_load_b512 s[4:19], s[0:1], 0x0
	s_xor_b32 s27, s2, s26
	s_load_b64 s[2:3], s[0:1], 0xb8
	s_sub_co_i32 s29, s27, s26
	s_delay_alu instid0(SALU_CYCLE_1) | instskip(NEXT) | instid1(SALU_CYCLE_1)
	s_abs_i32 s39, s29
	s_cvt_f32_u32 s26, s39
	s_delay_alu instid0(SALU_CYCLE_3) | instskip(SKIP_2) | instid1(TRANS32_DEP_1)
	v_rcp_iflag_f32_e32 v1, s26
	s_mul_i32 s26, s28, s23
	v_nop
	v_readfirstlane_b32 s36, v1
	s_wait_kmcnt 0x0
	s_cmp_eq_u64 s[10:11], 0
	s_cbranch_scc1 .LBB46_2
; %bb.1:
	s_abs_i32 s2, s2
	s_abs_i32 s33, s28
	s_cvt_f32_u32 s27, s2
	s_sub_co_i32 s31, 0, s2
	s_load_b64 s[34:35], s[0:1], 0xc8
	s_delay_alu instid0(SALU_CYCLE_1) | instskip(SKIP_1) | instid1(TRANS32_DEP_1)
	v_rcp_iflag_f32_e32 v1, s27
	v_nop
	v_readfirstlane_b32 s27, v1
	s_mul_f32 s27, s27, 0x4f7ffffe
	s_delay_alu instid0(SALU_CYCLE_3) | instskip(NEXT) | instid1(SALU_CYCLE_3)
	s_cvt_u32_f32 s27, s27
	s_mul_i32 s31, s31, s27
	s_delay_alu instid0(SALU_CYCLE_1) | instskip(NEXT) | instid1(SALU_CYCLE_1)
	s_mul_hi_u32 s31, s27, s31
	s_add_co_i32 s27, s27, s31
	s_ashr_i32 s31, s28, 31
	s_mul_hi_u32 s27, s33, s27
	s_delay_alu instid0(SALU_CYCLE_1) | instskip(NEXT) | instid1(SALU_CYCLE_1)
	s_mul_i32 s27, s27, s2
	s_sub_co_i32 s27, s33, s27
	s_delay_alu instid0(SALU_CYCLE_1) | instskip(SKIP_2) | instid1(SALU_CYCLE_1)
	s_sub_co_i32 s33, s27, s2
	s_cmp_ge_u32 s27, s2
	s_cselect_b32 s27, s33, s27
	s_sub_co_i32 s33, s27, s2
	s_cmp_ge_u32 s27, s2
	s_cselect_b32 s2, s33, s27
	s_delay_alu instid0(SALU_CYCLE_1) | instskip(NEXT) | instid1(SALU_CYCLE_1)
	s_xor_b32 s2, s2, s31
	s_sub_co_i32 s40, s2, s31
	s_delay_alu instid0(SALU_CYCLE_1) | instskip(SKIP_2) | instid1(SALU_CYCLE_1)
	s_ashr_i32 s41, s40, 31
	s_wait_kmcnt 0x0
	s_mul_u64 s[34:35], s[34:35], s[40:41]
	s_add_nc_u64 s[34:35], s[10:11], s[34:35]
.LBB46_2:
	s_bfe_u32 s2, ttmp6, 0x4000c
	v_and_b32_e32 v18, 0x3ff, v0
	s_add_co_i32 s2, s2, 1
	v_bfe_u32 v4, v0, 10, 10
	s_and_b32 s10, ttmp6, 15
	s_mul_i32 s2, ttmp9, s2
	s_sub_co_i32 s31, s25, s26
	s_add_co_i32 s10, s10, s2
	s_movk_i32 s11, 0x90
	s_cmp_eq_u32 s24, 0
	v_cmp_gt_u32_e64 s2, 18, v18
	v_mad_u32_u24 v17, v4, s11, 0x14e0
	v_dual_lshlrev_b32 v20, 3, v18 :: v_dual_bitop2_b32 v0, 1, v4 bitop3:0x40
	v_lshrrev_b32_e32 v19, 1, v4
	s_cselect_b32 s10, ttmp9, s10
	s_delay_alu instid0(SALU_CYCLE_1)
	s_lshl_b32 s33, s10, 1
	s_and_saveexec_b32 s11, s2
	s_cbranch_execz .LBB46_4
; %bb.3:
	v_add_nc_u32_e32 v2, s33, v19
	s_load_b96 s[40:42], s[0:1], 0x70
	v_lshlrev_b32_e32 v8, 4, v18
	s_delay_alu instid0(VALU_DEP_2) | instskip(NEXT) | instid1(VALU_DEP_1)
	v_mul_hi_u32 v1, s20, v2
	v_add_nc_u32_e32 v1, v2, v1
	s_wait_kmcnt 0x0
	s_ashr_i32 s27, s41, 31
	s_delay_alu instid0(VALU_DEP_1)
	v_lshrrev_b32_e32 v1, s21, v1
	s_mov_b32 s26, s41
	s_mul_i32 s44, s31, s41
	s_lshr_b64 s[26:27], s[26:27], 2
	s_ashr_i32 s41, s40, 31
	v_mul_lo_u32 v5, v1, s22
	v_mov_b32_e32 v1, 0
	s_ashr_i32 s45, s44, 31
	s_delay_alu instid0(VALU_DEP_1)
	v_dual_mov_b32 v3, v1 :: v_dual_sub_nc_u32 v2, v2, v5
	v_mov_b32_e32 v9, v1
	v_mul_u64_e32 v[6:7], s[26:27], v[0:1]
	s_lshr_b64 s[26:27], s[40:41], 2
	s_delay_alu instid0(VALU_DEP_3) | instid1(SALU_CYCLE_1)
	v_mul_u64_e32 v[2:3], s[26:27], v[2:3]
	s_mul_i32 s26, s28, s42
	s_delay_alu instid0(SALU_CYCLE_1) | instskip(NEXT) | instid1(SALU_CYCLE_1)
	s_ashr_i32 s27, s26, 31
	s_add_nc_u64 s[4:5], s[4:5], s[26:27]
	s_delay_alu instid0(SALU_CYCLE_1)
	s_add_nc_u64 s[4:5], s[4:5], s[44:45]
	s_delay_alu instid0(VALU_DEP_2) | instid1(SALU_CYCLE_1)
	v_lshl_add_u64 v[6:7], v[6:7], 2, s[4:5]
	s_load_b32 s4, s[0:1], 0x40
	s_delay_alu instid0(VALU_DEP_1) | instskip(NEXT) | instid1(VALU_DEP_1)
	v_lshl_add_u64 v[2:3], v[2:3], 2, v[6:7]
	v_add_nc_u64_e32 v[2:3], v[2:3], v[8:9]
	global_load_b128 v[6:9], v[2:3], off
	s_wait_loadcnt 0x0
	s_wait_kmcnt 0x0
	v_fma_mixlo_f16 v1, s4, v6, 0
	v_mov_b32_e32 v6, v9
	s_delay_alu instid0(VALU_DEP_2) | instskip(NEXT) | instid1(VALU_DEP_2)
	v_and_b32_e32 v1, 0xffff, v1
	v_pk_mul_f32 v[2:3], s[4:5], v[6:7] op_sel_hi:[0,1]
	s_delay_alu instid0(VALU_DEP_1) | instskip(SKIP_1) | instid1(VALU_DEP_2)
	v_cvt_pk_f16_f32 v2, v2, v3
	v_fma_mixlo_f16 v3, s4, v8, 0
	v_and_b32_e32 v5, 0xffff0000, v2
	s_delay_alu instid0(VALU_DEP_2) | instskip(NEXT) | instid1(VALU_DEP_2)
	v_and_b32_e32 v3, 0xffff, v3
	v_dual_lshlrev_b32 v2, 16, v2 :: v_dual_bitop2_b32 v1, v5, v1 bitop3:0x54
	v_add_nc_u32_e32 v5, v17, v20
	s_delay_alu instid0(VALU_DEP_2) | instskip(NEXT) | instid1(VALU_DEP_3)
	v_or3_b32 v3, v2, v3, 0
	v_or3_b32 v2, 0, 0, v1
	ds_store_b64 v5, v[2:3]
.LBB46_4:
	s_or_b32 exec_lo, exec_lo, s11
	s_cmp_eq_u64 s[14:15], 0
	s_wait_dscnt 0x0
	s_barrier_signal -1
	s_barrier_wait -1
	s_cbranch_scc1 .LBB46_6
; %bb.5:
	s_load_b32 s4, s[0:1], 0xd0
	s_wait_kmcnt 0x0
	s_mul_i32 s4, s4, s28
	s_delay_alu instid0(SALU_CYCLE_1)
	s_add_co_i32 s4, s4, s10
	s_load_b32 s30, s[14:15], s4 offset:0x0 scale_offset
.LBB46_6:
	s_wait_xcnt 0x0
	s_bfe_u32 s4, ttmp6, 0x40010
	s_and_b32 s5, ttmp7, 0xffff
	s_add_co_i32 s4, s4, 1
	s_bfe_u32 s10, ttmp6, 0x40004
	s_mul_i32 s4, s5, s4
	v_mbcnt_lo_u32_b32 v1, -1, 0
	s_add_co_i32 s10, s10, s4
	s_cmp_eq_u32 s24, 0
	s_cselect_b32 s38, s5, s10
	s_mov_b32 s5, 0
	s_lshl_b32 s4, s38, 5
	s_wait_kmcnt 0x0
	s_cmp_lt_i32 s4, s30
	s_cbranch_scc1 .LBB46_9
; %bb.7:
	v_mbcnt_lo_u32_b32 v2, -1, 0
	s_delay_alu instid0(VALU_DEP_1)
	v_dual_mov_b32 v21, 32 :: v_dual_bitop2_b32 v26, 16, v2 bitop3:0x14
	v_xor_b32_e32 v25, 8, v2
	v_xor_b32_e32 v24, 4, v2
	;; [unrolled: 1-line block ×4, first 2 shown]
	s_and_not1_b32 vcc_lo, exec_lo, s5
	s_cbranch_vccz .LBB46_10
; %bb.8:
	v_dual_mov_b32 v38, 0 :: v_dual_mov_b32 v40, 0
	v_dual_mov_b32 v16, 0xfeffffff :: v_dual_mov_b32 v39, 0
	s_branch .LBB46_18
.LBB46_9:
                                        ; implicit-def: $vgpr2
                                        ; implicit-def: $vgpr21
                                        ; implicit-def: $vgpr26
                                        ; implicit-def: $vgpr25
                                        ; implicit-def: $vgpr24
                                        ; implicit-def: $vgpr23
                                        ; implicit-def: $vgpr22
.LBB46_10:
	s_clause 0x1
	s_load_b64 s[14:15], s[0:1], 0x8c
	s_load_b128 s[24:27], s[0:1], 0x98
	v_dual_add_nc_u32 v9, s33, v19 :: v_dual_lshrrev_b32 v3, 3, v18
	s_mul_f32 s5, s36, 0x4f7ffffe
	s_sub_co_i32 s10, 0, s39
	s_abs_i32 s36, s31
	s_delay_alu instid0(VALU_DEP_1)
	v_mul_hi_u32 v2, s20, v9
	s_cvt_u32_f32 s5, s5
	v_lshl_add_u32 v21, v4, 2, v3
	s_mov_b32 s11, s37
	s_load_b64 s[40:41], s[0:1], 0xa8
	s_mul_i32 s10, s10, s5
	s_ashr_i32 s42, s31, 31
	s_mul_hi_u32 s10, s5, s10
	s_ashr_i32 s43, s29, 31
	s_add_co_i32 s10, s5, s10
	s_ashr_i32 s3, s3, 1
	v_add_nc_u32_e32 v3, v9, v2
	v_lshlrev_b32_e32 v5, 2, v18
	s_wait_kmcnt 0x0
	s_ashr_i32 s14, s14, 2
	s_mul_u64 s[10:11], s[36:37], s[10:11]
	v_mul_lo_u32 v2, s14, v21
	v_lshrrev_b32_e32 v3, s21, v3
	s_mul_i32 s5, s11, s39
	s_ashr_i32 s29, s28, 31
	s_sub_co_i32 s5, s36, s5
	s_xor_b32 s37, s42, s43
	v_mul_lo_u32 v11, v3, s22
	s_ashr_i32 s10, s26, 2
	s_add_co_i32 s26, s11, 1
	s_sub_co_i32 s36, s5, s39
	v_lshl_add_u32 v13, v4, 5, v18
	v_lshl_add_u32 v6, s14, 4, v2
	v_dual_ashrrev_i32 v3, 31, v2 :: v_dual_add_nc_u32 v15, 16, v21
	s_cmp_ge_u32 s5, s39
	v_and_b32_e32 v16, 28, v5
	s_cselect_b32 s11, s26, s11
	s_cselect_b32 s5, s36, s5
	s_add_co_i32 s26, s11, 1
	v_mul_lo_u32 v8, s14, v13
	v_dual_ashrrev_i32 v7, 31, v6 :: v_dual_sub_nc_u32 v11, v9, v11
	v_mul_lo_u32 v10, s10, v13
	v_mul_lo_u32 v12, s10, v15
	;; [unrolled: 1-line block ×3, first 2 shown]
	s_cmp_ge_u32 s5, s39
	v_dual_mov_b32 v5, 0 :: v_dual_lshlrev_b32 v22, 2, v16
	s_cselect_b32 s5, s26, s11
	v_mad_u32 v32, v11, s3, v18
	s_xor_b32 s5, s5, s37
	s_delay_alu instid0(VALU_DEP_2)
	v_mad_u32_u24 v27, 0xa0, v21, v22
	v_lshl_add_u32 v30, v4, 6, 0x1720
	s_sub_co_i32 s5, s5, s37
	s_mul_u64 s[24:25], s[24:25], s[28:29]
	s_mul_i32 s36, s5, s15
	s_mul_i32 s20, s5, s27
	s_movk_i32 s5, 0x80
	s_movk_i32 s3, 0x90
	s_add_nc_u64 s[6:7], s[6:7], s[24:25]
	s_mul_u64 s[24:25], s[40:41], s[28:29]
	v_cmp_gt_u32_e32 vcc_lo, 32, v13
	v_add_nc_u32_e32 v28, 0xa00, v27
	v_mul_u32_u24_e32 v29, 0xa0, v18
	v_dual_ashrrev_i32 v9, 31, v8 :: v_dual_ashrrev_i32 v11, 31, v10
	v_mad_u32_u24 v31, 0xa0, v13, s5
	v_lshl_add_u32 v33, v18, 1, v30
	v_mad_u32_u24 v34, v13, s3, 0x80
	v_ashrrev_i32_e32 v13, 31, v12
	v_mad_u32_u24 v35, 0x90, v15, v22
	v_ashrrev_i32_e32 v15, 31, v14
	v_mad_u32_u24 v36, 0x90, v21, v22
	v_dual_mov_b32 v41, 0xfeffffff :: v_dual_lshlrev_b32 v4, 2, v16
	v_dual_mov_b32 v21, 32 :: v_dual_bitop2_b32 v26, 16, v1 bitop3:0x14
	v_dual_mov_b32 v39, v5 :: v_dual_bitop2_b32 v25, 8, v1 bitop3:0x14
	;; [unrolled: 1-line block ×4, first 2 shown]
	v_xor_b32_e32 v22, 1, v1
	s_ashr_i32 s37, s36, 31
	s_add_nc_u64 s[8:9], s[8:9], s[24:25]
	s_ashr_i32 s21, s20, 31
	s_add_nc_u64 s[6:7], s[6:7], s[36:37]
	s_add_nc_u64 s[8:9], s[8:9], s[20:21]
	s_ashr_i32 s15, s14, 31
	s_ashr_i32 s11, s10, 31
	s_add_nc_u64 s[20:21], s[0:1], 0xd0
.LBB46_11:                              ; =>This Inner Loop Header: Depth=1
	s_ashr_i32 s5, s4, 31
	s_delay_alu instid0(SALU_CYCLE_1) | instskip(NEXT) | instid1(SALU_CYCLE_1)
	s_mul_u64 s[24:25], s[4:5], s[14:15]
	s_lshl_b64 s[24:25], s[24:25], 2
	s_delay_alu instid0(SALU_CYCLE_1)
	s_add_nc_u64 s[24:25], s[6:7], s[24:25]
	s_and_saveexec_b32 s3, vcc_lo
	s_cbranch_execz .LBB46_13
; %bb.12:                               ;   in Loop: Header=BB46_11 Depth=1
	v_lshl_add_u64 v[42:43], v[8:9], 2, s[24:25]
	global_load_b128 v[42:45], v[42:43], off offset:128
	s_wait_loadcnt 0x0
	ds_store_b128 v31, v[42:45]
.LBB46_13:                              ;   in Loop: Header=BB46_11 Depth=1
	s_or_b32 exec_lo, exec_lo, s3
	v_lshl_add_u64 v[42:43], v[2:3], 2, s[24:25]
	v_lshl_add_u64 v[44:45], v[6:7], 2, s[24:25]
	v_dual_mov_b32 v40, 0 :: v_dual_add_nc_u32 v16, s4, v32
	v_cmp_gt_i32_e64 s3, 32, v26
	s_delay_alu instid0(VALU_DEP_4) | instskip(NEXT) | instid1(VALU_DEP_4)
	v_add_nc_u64_e32 v[50:51], v[42:43], v[4:5]
	v_add_nc_u64_e32 v[52:53], v[44:45], v[4:5]
	s_mul_u64 s[24:25], s[4:5], s[10:11]
	s_clause 0x1
	global_load_b128 v[42:45], v[50:51], off
	global_load_b128 v[46:49], v[52:53], off
	s_lshl_b64 s[24:25], s[24:25], 2
	s_wait_loadcnt 0x1
	ds_store_b128 v27, v[42:45]
	s_wait_loadcnt 0x0
	ds_store_b128 v28, v[46:49]
	s_wait_dscnt 0x0
	s_barrier_signal -1
	s_barrier_wait -1
	ds_load_b128 v[42:45], v29
	ds_load_b128 v[46:49], v17
	s_add_nc_u64 s[24:25], s[8:9], s[24:25]
	s_wait_dscnt 0x0
	;;#ASMSTART
	v_dot2_f32_f16 v40, v42, v46, v40
	;;#ASMEND
	;;#ASMSTART
	v_dot2_f32_f16 v40, v43, v47, v40
	;;#ASMEND
	;;#ASMSTART
	v_dot2_f32_f16 v40, v44, v48, v40
	;;#ASMEND
	;;#ASMSTART
	v_dot2_f32_f16 v40, v45, v49, v40
	;;#ASMEND
	ds_load_b128 v[42:45], v29 offset:16
	ds_load_b128 v[46:49], v17 offset:16
	s_wait_dscnt 0x0
	;;#ASMSTART
	v_dot2_f32_f16 v40, v42, v46, v40
	;;#ASMEND
	;;#ASMSTART
	v_dot2_f32_f16 v40, v43, v47, v40
	;;#ASMEND
	;;#ASMSTART
	v_dot2_f32_f16 v40, v44, v48, v40
	;;#ASMEND
	;;#ASMSTART
	v_dot2_f32_f16 v40, v45, v49, v40
	;;#ASMEND
	ds_load_b128 v[42:45], v29 offset:32
	ds_load_b128 v[46:49], v17 offset:32
	;; [unrolled: 15-line block ×8, first 2 shown]
	s_wait_dscnt 0x0
	;;#ASMSTART
	v_dot2_f32_f16 v40, v42, v46, v40
	;;#ASMEND
	;;#ASMSTART
	v_dot2_f32_f16 v40, v43, v47, v40
	;;#ASMEND
	;; [unrolled: 3-line block ×4, first 2 shown]
	global_load_u16 v16, v16, s[34:35] scale_offset
	s_wait_loadcnt 0x0
	s_barrier_signal -1
	s_barrier_wait -1
	s_wait_xcnt 0x0
	v_cvt_f32_f16_e32 v16, v16
	s_delay_alu instid0(VALU_DEP_1) | instskip(SKIP_2) | instid1(VALU_DEP_3)
	v_dual_add_f32 v40, v40, v16 :: v_dual_cndmask_b32 v16, v1, v26, s3
	v_max_num_f32_e32 v42, v41, v41
	v_cmp_gt_i32_e64 s3, 32, v25
	v_add_f32_e32 v43, 0x40051340, v40
	s_delay_alu instid0(VALU_DEP_1) | instskip(SKIP_4) | instid1(VALU_DEP_2)
	v_dual_lshlrev_b32 v16, 2, v16 :: v_dual_max_num_f32 v42, v42, v43
	ds_bpermute_b32 v16, v16, v42
	v_cndmask_b32_e64 v43, v1, v25, s3
	v_cmp_gt_i32_e64 s3, 32, v24
	s_wait_dscnt 0x0
	v_dual_max_num_f32 v16, v16, v16 :: v_dual_lshlrev_b32 v43, 2, v43
	s_delay_alu instid0(VALU_DEP_1) | instskip(SKIP_4) | instid1(VALU_DEP_2)
	v_max_num_f32_e32 v16, v42, v16
	ds_bpermute_b32 v42, v43, v16
	v_cndmask_b32_e64 v43, v1, v24, s3
	v_cmp_gt_i32_e64 s3, 32, v23
	s_wait_dscnt 0x0
	v_dual_max_num_f32 v42, v42, v42 :: v_dual_lshlrev_b32 v43, 2, v43
	s_delay_alu instid0(VALU_DEP_1) | instskip(SKIP_4) | instid1(VALU_DEP_2)
	v_max_num_f32_e32 v16, v16, v42
	ds_bpermute_b32 v42, v43, v16
	v_cndmask_b32_e64 v43, v1, v23, s3
	v_cmp_gt_i32_e64 s3, 32, v22
	s_wait_dscnt 0x0
	v_dual_max_num_f32 v42, v42, v42 :: v_dual_lshlrev_b32 v43, 2, v43
	s_delay_alu instid0(VALU_DEP_1) | instskip(SKIP_3) | instid1(VALU_DEP_1)
	v_max_num_f32_e32 v16, v16, v42
	ds_bpermute_b32 v42, v43, v16
	v_cndmask_b32_e64 v43, v1, v22, s3
	s_wait_dscnt 0x0
	v_dual_max_num_f32 v42, v42, v42 :: v_dual_lshlrev_b32 v43, 2, v43
	s_delay_alu instid0(VALU_DEP_1) | instskip(SKIP_3) | instid1(VALU_DEP_1)
	v_max_num_f32_e32 v16, v16, v42
	ds_bpermute_b32 v42, v43, v16
	s_wait_dscnt 0x0
	v_max_num_f32_e32 v42, v42, v42
	v_max_num_f32_e32 v16, v16, v42
	s_delay_alu instid0(VALU_DEP_1) | instskip(NEXT) | instid1(VALU_DEP_1)
	v_sub_f32_e32 v40, v40, v16
	v_mul_f32_e32 v42, 0x3fb8aa3b, v40
	v_cmp_ngt_f32_e64 s3, 0xc2ce8ed0, v40
	s_delay_alu instid0(VALU_DEP_2) | instskip(SKIP_1) | instid1(VALU_DEP_2)
	v_fma_f32 v43, 0x3fb8aa3b, v40, -v42
	v_rndne_f32_e32 v44, v42
	v_fmac_f32_e32 v43, 0x32a5705f, v40
	s_delay_alu instid0(VALU_DEP_2) | instskip(NEXT) | instid1(VALU_DEP_1)
	v_sub_f32_e32 v42, v42, v44
	v_add_f32_e32 v42, v42, v43
	v_cvt_i32_f32_e32 v43, v44
	s_delay_alu instid0(VALU_DEP_2) | instskip(SKIP_1) | instid1(TRANS32_DEP_1)
	v_exp_f32_e32 v42, v42
	v_nop
	v_ldexp_f32 v42, v42, v43
	s_delay_alu instid0(VALU_DEP_1) | instskip(SKIP_1) | instid1(VALU_DEP_1)
	v_cndmask_b32_e64 v42, 0, v42, s3
	v_cmp_nlt_f32_e64 s3, 0x42b17218, v40
	v_cndmask_b32_e64 v40, 0x7f800000, v42, s3
	s_delay_alu instid0(VALU_DEP_1)
	v_cvt_f16_f32_e32 v42, v40
	ds_store_b16 v33, v42
	s_and_saveexec_b32 s3, vcc_lo
	s_cbranch_execz .LBB46_15
; %bb.14:                               ;   in Loop: Header=BB46_11 Depth=1
	v_lshl_add_u64 v[42:43], v[10:11], 2, s[24:25]
	global_load_b128 v[42:45], v[42:43], off offset:128
	s_wait_loadcnt 0x0
	ds_store_b128 v34, v[42:45]
.LBB46_15:                              ;   in Loop: Header=BB46_11 Depth=1
	s_or_b32 exec_lo, exec_lo, s3
	v_lshl_add_u64 v[42:43], v[14:15], 2, s[24:25]
	v_lshl_add_u64 v[44:45], v[12:13], 2, s[24:25]
	v_sub_f32_e32 v41, v41, v16
	v_add_nc_u32_e32 v66, 0x800, v20
	s_delay_alu instid0(VALU_DEP_4) | instskip(NEXT) | instid1(VALU_DEP_4)
	v_add_nc_u64_e32 v[50:51], v[42:43], v[4:5]
	v_add_nc_u64_e32 v[52:53], v[44:45], v[4:5]
	s_clause 0x1
	global_load_b128 v[42:45], v[50:51], off
	global_load_b128 v[46:49], v[52:53], off
	s_wait_loadcnt 0x1
	ds_store_b128 v36, v[42:45]
	s_wait_loadcnt 0x0
	ds_store_b128 v35, v[46:49]
	s_wait_dscnt 0x0
	s_barrier_signal -1
	s_barrier_wait -1
	ds_load_b128 v[42:45], v30
	v_mul_f32_e32 v50, 0x3fb8aa3b, v41
	s_delay_alu instid0(VALU_DEP_1) | instskip(SKIP_1) | instid1(VALU_DEP_1)
	v_fma_f32 v51, 0x3fb8aa3b, v41, -v50
	v_rndne_f32_e32 v52, v50
	v_dual_fmac_f32 v51, 0x32a5705f, v41 :: v_dual_sub_f32 v50, v50, v52
	s_delay_alu instid0(VALU_DEP_1) | instskip(SKIP_2) | instid1(VALU_DEP_3)
	v_add_f32_e32 v50, v50, v51
	v_cvt_i32_f32_e32 v51, v52
	v_cmp_ngt_f32_e64 s3, 0xc2ce8ed0, v41
	v_exp_f32_e32 v50, v50
	v_nop
	s_delay_alu instid0(TRANS32_DEP_1) | instskip(NEXT) | instid1(VALU_DEP_1)
	v_ldexp_f32 v46, v50, v51
	v_cndmask_b32_e64 v50, 0, v46, s3
	ds_load_2addr_b64 v[46:49], v20 offset1:18
	v_cmp_nlt_f32_e64 s3, 0x42b17218, v41
	s_delay_alu instid0(VALU_DEP_1)
	v_cndmask_b32_e64 v41, 0x7f800000, v50, s3
	ds_load_b128 v[50:53], v30 offset:16
	s_wait_dscnt 0x2
	v_and_b32_e32 v58, 0xffff, v42
	v_lshrrev_b32_e32 v42, 16, v42
	v_and_b32_e32 v63, 0xffff, v43
	v_cvt_f16_f32_e32 v54, v41
	v_lshrrev_b32_e32 v43, 16, v43
	v_mul_u32_u24_e32 v58, 0x10001, v58
	v_mul_u32_u24_e32 v42, 0x10001, v42
	v_dual_fmac_f32 v40, v37, v41 :: v_dual_add_nc_u32 v67, 0xc00, v20
	v_and_b32_e32 v59, 0xffff, v54
	ds_load_2addr_b64 v[54:57], v20 offset0:36 offset1:54
	v_mul_u32_u24_e32 v43, 0x10001, v43
	s_wait_dscnt 0x2
	v_pk_mul_f16 v46, v46, v58
	v_pk_mul_f16 v47, v47, v58
	v_mul_u32_u24_e32 v62, 0x10001, v59
	ds_load_2addr_b64 v[58:61], v20 offset0:72 offset1:90
	v_pk_fma_f16 v39, v39, v62, v46
	v_pk_fma_f16 v38, v38, v62, v47
	v_mul_u32_u24_e32 v62, 0x10001, v63
	s_wait_dscnt 0x2
	v_and_b32_e32 v63, 0xffff, v51
	v_lshrrev_b32_e32 v51, 16, v51
	v_pk_fma_f16 v39, v48, v42, v39
	v_pk_fma_f16 v38, v49, v42, v38
	ds_load_2addr_b64 v[46:49], v20 offset0:108 offset1:126
	v_and_b32_e32 v42, 0xffff, v44
	v_lshrrev_b32_e32 v44, 16, v44
	v_mul_u32_u24_e32 v63, 0x10001, v63
	s_wait_dscnt 0x2
	v_pk_fma_f16 v39, v54, v62, v39
	v_pk_fma_f16 v38, v55, v62, v38
	v_mul_u32_u24_e32 v42, 0x10001, v42
	v_mul_u32_u24_e32 v44, 0x10001, v44
	v_add_nc_u32_e32 v62, 0x400, v20
	v_pk_fma_f16 v39, v56, v43, v39
	v_pk_fma_f16 v38, v57, v43, v38
	ds_load_2addr_b64 v[54:57], v20 offset0:144 offset1:162
	v_and_b32_e32 v43, 0xffff, v45
	v_mul_u32_u24_e32 v51, 0x10001, v51
	s_wait_dscnt 0x2
	v_pk_fma_f16 v39, v58, v42, v39
	v_pk_fma_f16 v38, v59, v42, v38
	v_lshrrev_b32_e32 v58, 16, v45
	v_mul_u32_u24_e32 v59, 0x10001, v43
	s_delay_alu instid0(VALU_DEP_4) | instskip(NEXT) | instid1(VALU_DEP_4)
	v_pk_fma_f16 v39, v60, v44, v39
	v_pk_fma_f16 v38, v61, v44, v38
	ds_load_2addr_b64 v[42:45], v20 offset0:180 offset1:198
	v_and_b32_e32 v60, 0xffff, v50
	v_mul_u32_u24_e32 v58, 0x10001, v58
	s_wait_dscnt 0x2
	v_pk_fma_f16 v39, v46, v59, v39
	v_pk_fma_f16 v38, v47, v59, v38
	v_lshrrev_b32_e32 v50, 16, v50
	v_mul_u32_u24_e32 v59, 0x10001, v60
	s_delay_alu instid0(VALU_DEP_4) | instskip(NEXT) | instid1(VALU_DEP_4)
	v_pk_fma_f16 v39, v48, v58, v39
	v_pk_fma_f16 v38, v49, v58, v38
	ds_load_2addr_b64 v[46:49], v20 offset0:216 offset1:234
	v_mul_u32_u24_e32 v50, 0x10001, v50
	s_wait_dscnt 0x2
	v_pk_fma_f16 v39, v54, v59, v39
	v_pk_fma_f16 v38, v55, v59, v38
	ds_load_b128 v[58:61], v30 offset:32
	v_pk_fma_f16 v39, v56, v50, v39
	v_pk_fma_f16 v38, v57, v50, v38
	ds_load_2addr_b64 v[54:57], v62 offset0:124 offset1:142
	v_and_b32_e32 v50, 0xffff, v52
	v_lshrrev_b32_e32 v52, 16, v52
	s_wait_dscnt 0x3
	v_pk_fma_f16 v39, v42, v63, v39
	v_pk_fma_f16 v38, v43, v63, v38
	ds_load_b128 v[62:65], v30 offset:48
	v_mul_u32_u24_e32 v50, 0x10001, v50
	v_pk_fma_f16 v39, v44, v51, v39
	v_pk_fma_f16 v38, v45, v51, v38
	ds_load_2addr_b64 v[42:45], v66 offset0:32 offset1:50
	v_and_b32_e32 v51, 0xffff, v53
	s_wait_dscnt 0x4
	v_pk_fma_f16 v39, v46, v50, v39
	v_pk_fma_f16 v38, v47, v50, v38
	v_lshrrev_b32_e32 v50, 16, v53
	v_mul_u32_u24_e32 v52, 0x10001, v52
	v_mul_u32_u24_e32 v51, 0x10001, v51
	s_wait_dscnt 0x3
	v_and_b32_e32 v70, 0xffff, v61
	v_mul_u32_u24_e32 v50, 0x10001, v50
	v_pk_fma_f16 v39, v48, v52, v39
	v_pk_fma_f16 v38, v49, v52, v38
	ds_load_2addr_b64 v[46:49], v66 offset0:68 offset1:86
	v_and_b32_e32 v52, 0xffff, v58
	s_wait_dscnt 0x3
	v_pk_fma_f16 v39, v54, v51, v39
	v_pk_fma_f16 v38, v55, v51, v38
	v_lshrrev_b32_e32 v54, 16, v58
	v_mul_u32_u24_e32 v55, 0x10001, v52
	v_add_nc_u32_e32 v58, 0x1000, v20
	v_pk_fma_f16 v39, v56, v50, v39
	v_pk_fma_f16 v38, v57, v50, v38
	ds_load_2addr_b64 v[50:53], v66 offset0:104 offset1:122
	v_and_b32_e32 v56, 0xffff, v59
	s_wait_dscnt 0x2
	v_pk_fma_f16 v39, v42, v55, v39
	v_pk_fma_f16 v38, v43, v55, v38
	v_lshrrev_b32_e32 v55, 16, v59
	v_mul_u32_u24_e32 v54, 0x10001, v54
	v_mul_u32_u24_e32 v56, 0x10001, v56
	v_and_b32_e32 v59, 0xffff, v60
	v_lshrrev_b32_e32 v60, 16, v60
	v_mul_u32_u24_e32 v68, 0x10001, v55
	v_pk_fma_f16 v39, v44, v54, v39
	v_pk_fma_f16 v38, v45, v54, v38
	ds_load_2addr_b64 v[42:45], v66 offset0:140 offset1:158
	v_mul_u32_u24_e32 v59, 0x10001, v59
	s_wait_dscnt 0x2
	v_pk_fma_f16 v39, v46, v56, v39
	v_pk_fma_f16 v38, v47, v56, v38
	ds_load_2addr_b64 v[54:57], v66 offset0:176 offset1:194
	v_pk_fma_f16 v39, v48, v68, v39
	v_pk_fma_f16 v38, v49, v68, v38
	ds_load_2addr_b64 v[46:49], v66 offset0:212 offset1:230
	ds_load_2addr_b64 v[66:69], v67 offset0:120 offset1:138
	s_wait_dscnt 0x4
	v_pk_fma_f16 v39, v50, v59, v39
	v_pk_fma_f16 v38, v51, v59, v38
	v_lshrrev_b32_e32 v59, 16, v61
	v_mul_u32_u24_e32 v60, 0x10001, v60
	v_mul_u32_u24_e32 v61, 0x10001, v70
	s_delay_alu instid0(VALU_DEP_3) | instskip(NEXT) | instid1(VALU_DEP_3)
	v_mul_u32_u24_e32 v59, 0x10001, v59
	v_pk_fma_f16 v39, v52, v60, v39
	v_pk_fma_f16 v38, v53, v60, v38
	ds_load_2addr_b64 v[50:53], v58 offset0:28 offset1:46
	v_and_b32_e32 v58, 0xffff, v62
	s_wait_dscnt 0x0
	v_pk_fma_f16 v39, v42, v61, v39
	v_pk_fma_f16 v38, v43, v61, v38
	v_lshrrev_b32_e32 v42, 16, v62
	v_mul_u32_u24_e32 v43, 0x10001, v58
	s_barrier_signal -1
	v_pk_fma_f16 v39, v44, v59, v39
	v_pk_fma_f16 v38, v45, v59, v38
	v_and_b32_e32 v44, 0xffff, v63
	s_barrier_wait -1
	s_delay_alu instid0(VALU_DEP_3) | instskip(NEXT) | instid1(VALU_DEP_3)
	v_pk_fma_f16 v39, v54, v43, v39
	v_pk_fma_f16 v38, v55, v43, v38
	v_lshrrev_b32_e32 v43, 16, v63
	v_mul_u32_u24_e32 v42, 0x10001, v42
	v_mul_u32_u24_e32 v44, 0x10001, v44
	s_load_b32 s3, s[20:21], 0x4
	s_delay_alu instid0(VALU_DEP_3) | instskip(NEXT) | instid1(VALU_DEP_3)
	v_mul_u32_u24_e32 v43, 0x10001, v43
	v_pk_fma_f16 v39, v56, v42, v39
	v_pk_fma_f16 v38, v57, v42, v38
	v_and_b32_e32 v42, 0xffff, v64
	s_delay_alu instid0(VALU_DEP_3) | instskip(NEXT) | instid1(VALU_DEP_3)
	v_pk_fma_f16 v39, v46, v44, v39
	v_pk_fma_f16 v38, v47, v44, v38
	v_lshrrev_b32_e32 v44, 16, v64
	s_delay_alu instid0(VALU_DEP_4) | instskip(NEXT) | instid1(VALU_DEP_4)
	v_mul_u32_u24_e32 v42, 0x10001, v42
	v_pk_fma_f16 v39, v48, v43, v39
	s_delay_alu instid0(VALU_DEP_4) | instskip(SKIP_1) | instid1(VALU_DEP_3)
	v_pk_fma_f16 v38, v49, v43, v38
	v_and_b32_e32 v43, 0xffff, v65
	v_pk_fma_f16 v39, v66, v42, v39
	s_delay_alu instid0(VALU_DEP_3)
	v_pk_fma_f16 v38, v67, v42, v38
	v_lshrrev_b32_e32 v42, 16, v65
	v_mul_u32_u24_e32 v44, 0x10001, v44
	v_mul_u32_u24_e32 v43, 0x10001, v43
	s_wait_kmcnt 0x0
	s_lshl_b32 s3, s3, 5
	v_mul_u32_u24_e32 v42, 0x10001, v42
	v_pk_fma_f16 v39, v68, v44, v39
	v_pk_fma_f16 v38, v69, v44, v38
	s_add_co_i32 s4, s3, s4
	s_delay_alu instid0(SALU_CYCLE_1) | instskip(NEXT) | instid1(VALU_DEP_2)
	s_cmp_ge_i32 s4, s30
	v_pk_fma_f16 v39, v50, v43, v39
	s_delay_alu instid0(VALU_DEP_2) | instskip(NEXT) | instid1(VALU_DEP_2)
	v_pk_fma_f16 v38, v51, v43, v38
	v_pk_fma_f16 v39, v52, v42, v39
	s_delay_alu instid0(VALU_DEP_2)
	v_pk_fma_f16 v38, v53, v42, v38
	s_cbranch_scc1 .LBB46_17
; %bb.16:                               ;   in Loop: Header=BB46_11 Depth=1
	v_dual_mov_b32 v41, v16 :: v_dual_mov_b32 v37, v40
	s_branch .LBB46_11
.LBB46_17:
	v_mov_b32_e32 v2, v1
.LBB46_18:
	v_cmp_lt_i32_e32 vcc_lo, v26, v21
	s_cmp_lg_u64 s[12:13], 0
	s_cselect_b32 s3, -1, 0
	s_cmp_eq_u32 s38, 0
	v_cndmask_b32_e32 v1, v2, v26, vcc_lo
	v_cmp_lt_i32_e32 vcc_lo, v25, v21
	s_cselect_b32 s4, -1, 0
	s_delay_alu instid0(SALU_CYCLE_1) | instskip(SKIP_3) | instid1(VALU_DEP_3)
	s_and_b32 s3, s4, s3
	v_cndmask_b32_e32 v3, v2, v25, vcc_lo
	v_lshlrev_b32_e32 v1, 2, v1
	v_cmp_lt_i32_e32 vcc_lo, v24, v21
	v_lshlrev_b32_e32 v3, 2, v3
	ds_bpermute_b32 v1, v1, v40
	v_cndmask_b32_e32 v4, v2, v24, vcc_lo
	v_cmp_lt_i32_e32 vcc_lo, v23, v21
	s_wait_dscnt 0x0
	v_add_f32_e32 v1, v40, v1
	ds_bpermute_b32 v3, v3, v1
	s_wait_dscnt 0x0
	v_dual_add_f32 v1, v1, v3 :: v_dual_lshlrev_b32 v4, 2, v4
	ds_bpermute_b32 v3, v4, v1
	v_cndmask_b32_e32 v4, v2, v23, vcc_lo
	v_cmp_lt_i32_e32 vcc_lo, v22, v21
	s_delay_alu instid0(VALU_DEP_2)
	v_dual_cndmask_b32 v2, v2, v22, vcc_lo :: v_dual_lshlrev_b32 v4, 2, v4
	s_and_b32 vcc_lo, exec_lo, s3
	s_wait_dscnt 0x0
	v_add_f32_e32 v1, v1, v3
	ds_bpermute_b32 v3, v4, v1
	s_wait_dscnt 0x0
	v_dual_add_f32 v1, v1, v3 :: v_dual_lshlrev_b32 v2, 2, v2
	ds_bpermute_b32 v2, v2, v1
	s_wait_dscnt 0x0
	v_add_f32_e32 v17, v1, v2
	s_cbranch_vccz .LBB46_21
; %bb.19:
	v_max_num_f32_e32 v2, v16, v16
	v_add_nc_u32_e32 v1, s31, v0
	global_load_b32 v1, v1, s[12:13] scale_offset
	s_wait_loadcnt 0x0
	v_max_num_f32_e32 v3, v1, v1
	s_delay_alu instid0(VALU_DEP_1) | instskip(NEXT) | instid1(VALU_DEP_1)
	v_max_num_f32_e32 v2, v2, v3
	v_dual_sub_f32 v3, v16, v2 :: v_dual_sub_f32 v1, v1, v2
	s_delay_alu instid0(VALU_DEP_1) | instskip(SKIP_1) | instid1(VALU_DEP_2)
	v_dual_mul_f32 v4, 0x3fb8aa3b, v3 :: v_dual_mul_f32 v7, 0x3fb8aa3b, v1
	v_cmp_ngt_f32_e32 vcc_lo, 0xc2ce8ed0, v3
	v_fma_f32 v5, 0x3fb8aa3b, v3, -v4
	v_rndne_f32_e32 v6, v4
	s_delay_alu instid0(VALU_DEP_4) | instskip(SKIP_1) | instid1(VALU_DEP_3)
	v_fma_f32 v8, 0x3fb8aa3b, v1, -v7
	v_rndne_f32_e32 v9, v7
	v_dual_fmac_f32 v5, 0x32a5705f, v3 :: v_dual_sub_f32 v4, v4, v6
	s_delay_alu instid0(VALU_DEP_3) | instskip(SKIP_1) | instid1(VALU_DEP_3)
	v_fmac_f32_e32 v8, 0x32a5705f, v1
	v_cvt_i32_f32_e32 v6, v6
	v_add_f32_e32 v4, v4, v5
	v_sub_f32_e32 v5, v7, v9
	s_delay_alu instid0(VALU_DEP_1) | instskip(NEXT) | instid1(VALU_DEP_3)
	v_add_f32_e32 v5, v5, v8
	v_exp_f32_e32 v4, v4
	s_delay_alu instid0(VALU_DEP_1) | instskip(NEXT) | instid1(TRANS32_DEP_2)
	v_exp_f32_e32 v5, v5
	v_ldexp_f32 v4, v4, v6
	v_cvt_i32_f32_e32 v6, v9
	s_delay_alu instid0(VALU_DEP_2)
	v_cndmask_b32_e32 v4, 0, v4, vcc_lo
	v_cmp_nlt_f32_e32 vcc_lo, 0x42b17218, v3
	s_delay_alu instid0(TRANS32_DEP_1) | instid1(VALU_DEP_3)
	v_ldexp_f32 v3, v5, v6
	s_delay_alu instid0(VALU_DEP_3) | instskip(SKIP_1) | instid1(VALU_DEP_2)
	v_cndmask_b32_e32 v4, 0x7f800000, v4, vcc_lo
	v_cmp_ngt_f32_e32 vcc_lo, 0xc2ce8ed0, v1
	v_cvt_f16_f32_e32 v5, v4
	s_delay_alu instid0(VALU_DEP_4) | instskip(SKIP_1) | instid1(VALU_DEP_3)
	v_cndmask_b32_e32 v3, 0, v3, vcc_lo
	v_cmp_nlt_f32_e32 vcc_lo, 0x42b17218, v1
	v_and_b32_e32 v5, 0xffff, v5
	s_delay_alu instid0(VALU_DEP_3) | instskip(NEXT) | instid1(VALU_DEP_2)
	v_cndmask_b32_e32 v3, 0x7f800000, v3, vcc_lo
	v_mul_u32_u24_e32 v1, 0x10001, v5
	s_delay_alu instid0(VALU_DEP_2) | instskip(NEXT) | instid1(VALU_DEP_2)
	v_fmac_f32_e32 v3, v17, v4
	v_pk_mul_f16 v39, v39, v1
	v_pk_mul_f16 v38, v38, v1
	s_delay_alu instid0(VALU_DEP_3) | instskip(SKIP_2) | instid1(VALU_DEP_1)
	v_mov_b64_e32 v[16:17], v[2:3]
	v_add_nc_u32_e32 v1, s33, v19
	s_mov_b32 s3, exec_lo
	v_cmpx_gt_i32_e64 s22, v1
	s_cbranch_execnz .LBB46_22
.LBB46_20:
	s_sendmsg sendmsg(MSG_DEALLOC_VGPRS)
	s_endpgm
.LBB46_21:
	s_delay_alu instid0(VALU_DEP_1) | instskip(SKIP_1) | instid1(VALU_DEP_1)
	v_dual_mov_b32 v3, v17 :: v_dual_add_nc_u32 v1, s33, v19
	s_mov_b32 s3, exec_lo
	v_cmpx_gt_i32_e64 s22, v1
	s_cbranch_execz .LBB46_20
.LBB46_22:
	v_mad_u32 v1, s28, s22, v1
	s_load_b32 s0, s[0:1], 0xd4
	v_add_nc_u32_e32 v0, s31, v0
	s_delay_alu instid0(VALU_DEP_1) | instskip(SKIP_2) | instid1(VALU_DEP_1)
	v_mad_u32 v0, v1, s23, v0
	s_wait_kmcnt 0x0
	s_cmp_lg_u32 s0, 1
	v_mad_u32 v0, s0, v0, s38
	s_cselect_b32 s0, -1, 0
	s_and_saveexec_b32 s1, s2
	s_cbranch_execz .LBB46_24
; %bb.23:
	v_div_scale_f32 v1, null, v3, v3, 1.0
	v_div_scale_f32 v5, vcc_lo, 1.0, v3, 1.0
	v_lshrrev_b32_e32 v9, 16, v38
	s_delay_alu instid0(VALU_DEP_3) | instskip(SKIP_1) | instid1(TRANS32_DEP_1)
	v_rcp_f32_e32 v2, v1
	v_lshrrev_b32_e32 v7, 16, v39
	v_fma_f32 v4, -v1, v2, 1.0
	s_delay_alu instid0(VALU_DEP_1) | instskip(NEXT) | instid1(VALU_DEP_1)
	v_fmac_f32_e32 v2, v4, v2
	v_mul_f32_e32 v4, v5, v2
	s_delay_alu instid0(VALU_DEP_1) | instskip(NEXT) | instid1(VALU_DEP_1)
	v_fma_f32 v6, -v1, v4, v5
	v_fmac_f32_e32 v4, v6, v2
	s_delay_alu instid0(VALU_DEP_1) | instskip(SKIP_1) | instid1(VALU_DEP_2)
	v_dual_lshlrev_b32 v6, 2, v18 :: v_dual_fma_f32 v1, -v1, v4, v5
	v_mov_b32_e32 v5, 0
	v_div_fmas_f32 v1, v1, v2, v4
	s_delay_alu instid0(VALU_DEP_3) | instskip(SKIP_2) | instid1(VALU_DEP_4)
	v_mad_u32 v4, 0x48, v0, v6
	v_cvt_f32_f16_e32 v2, v39
	v_cvt_f32_f16_e32 v6, v38
	v_div_fixup_f32 v1, v1, v3, 1.0
	v_cvt_f32_f16_e32 v3, v7
	v_cvt_f32_f16_e32 v7, v9
	s_delay_alu instid0(VALU_DEP_3) | instskip(SKIP_1) | instid1(VALU_DEP_2)
	v_cndmask_b32_e64 v8, v1, 1.0, s0
	v_lshl_add_u64 v[10:11], v[4:5], 2, s[16:17]
	v_pk_mul_f32 v[2:3], v[8:9], v[2:3] op_sel_hi:[0,1]
	s_delay_alu instid0(VALU_DEP_4)
	v_pk_mul_f32 v[4:5], v[8:9], v[6:7] op_sel_hi:[0,1]
	global_store_b128 v[10:11], v[2:5], off
.LBB46_24:
	s_wait_xcnt 0x0
	s_or_b32 exec_lo, exec_lo, s1
	v_cmp_eq_u32_e32 vcc_lo, 0, v18
	s_and_b32 s0, vcc_lo, s0
	s_delay_alu instid0(SALU_CYCLE_1)
	s_and_b32 exec_lo, exec_lo, s0
	s_cbranch_execz .LBB46_20
; %bb.25:
	global_store_b64 v0, v[16:17], s[18:19] scale_offset
	s_sendmsg sendmsg(MSG_DEALLOC_VGPRS)
	s_endpgm
	.section	.rodata,"a",@progbits
	.p2align	6, 0x0
	.amdhsa_kernel _ZL15flash_attn_tileILi72ELi72ELi2ELi2ELb0EEvPKcS1_S1_S1_S1_PKiPfP15HIP_vector_typeIfLj2EEffffjfiS5_IjLj3EEiiiiiiiiiiiliiliiiiil
		.amdhsa_group_segment_fixed_size 6176
		.amdhsa_private_segment_fixed_size 0
		.amdhsa_kernarg_size 464
		.amdhsa_user_sgpr_count 2
		.amdhsa_user_sgpr_dispatch_ptr 0
		.amdhsa_user_sgpr_queue_ptr 0
		.amdhsa_user_sgpr_kernarg_segment_ptr 1
		.amdhsa_user_sgpr_dispatch_id 0
		.amdhsa_user_sgpr_kernarg_preload_length 0
		.amdhsa_user_sgpr_kernarg_preload_offset 0
		.amdhsa_user_sgpr_private_segment_size 0
		.amdhsa_wavefront_size32 1
		.amdhsa_uses_dynamic_stack 0
		.amdhsa_enable_private_segment 0
		.amdhsa_system_sgpr_workgroup_id_x 1
		.amdhsa_system_sgpr_workgroup_id_y 1
		.amdhsa_system_sgpr_workgroup_id_z 1
		.amdhsa_system_sgpr_workgroup_info 0
		.amdhsa_system_vgpr_workitem_id 1
		.amdhsa_next_free_vgpr 71
		.amdhsa_next_free_sgpr 46
		.amdhsa_named_barrier_count 0
		.amdhsa_reserve_vcc 1
		.amdhsa_float_round_mode_32 0
		.amdhsa_float_round_mode_16_64 0
		.amdhsa_float_denorm_mode_32 3
		.amdhsa_float_denorm_mode_16_64 3
		.amdhsa_fp16_overflow 0
		.amdhsa_memory_ordered 1
		.amdhsa_forward_progress 1
		.amdhsa_inst_pref_size 39
		.amdhsa_round_robin_scheduling 0
		.amdhsa_exception_fp_ieee_invalid_op 0
		.amdhsa_exception_fp_denorm_src 0
		.amdhsa_exception_fp_ieee_div_zero 0
		.amdhsa_exception_fp_ieee_overflow 0
		.amdhsa_exception_fp_ieee_underflow 0
		.amdhsa_exception_fp_ieee_inexact 0
		.amdhsa_exception_int_div_zero 0
	.end_amdhsa_kernel
	.section	.text._ZL15flash_attn_tileILi72ELi72ELi2ELi2ELb0EEvPKcS1_S1_S1_S1_PKiPfP15HIP_vector_typeIfLj2EEffffjfiS5_IjLj3EEiiiiiiiiiiiliiliiiiil,"axG",@progbits,_ZL15flash_attn_tileILi72ELi72ELi2ELi2ELb0EEvPKcS1_S1_S1_S1_PKiPfP15HIP_vector_typeIfLj2EEffffjfiS5_IjLj3EEiiiiiiiiiiiliiliiiiil,comdat
.Lfunc_end46:
	.size	_ZL15flash_attn_tileILi72ELi72ELi2ELi2ELb0EEvPKcS1_S1_S1_S1_PKiPfP15HIP_vector_typeIfLj2EEffffjfiS5_IjLj3EEiiiiiiiiiiiliiliiiiil, .Lfunc_end46-_ZL15flash_attn_tileILi72ELi72ELi2ELi2ELb0EEvPKcS1_S1_S1_S1_PKiPfP15HIP_vector_typeIfLj2EEffffjfiS5_IjLj3EEiiiiiiiiiiiliiliiiiil
                                        ; -- End function
	.set _ZL15flash_attn_tileILi72ELi72ELi2ELi2ELb0EEvPKcS1_S1_S1_S1_PKiPfP15HIP_vector_typeIfLj2EEffffjfiS5_IjLj3EEiiiiiiiiiiiliiliiiiil.num_vgpr, 71
	.set _ZL15flash_attn_tileILi72ELi72ELi2ELi2ELb0EEvPKcS1_S1_S1_S1_PKiPfP15HIP_vector_typeIfLj2EEffffjfiS5_IjLj3EEiiiiiiiiiiiliiliiiiil.num_agpr, 0
	.set _ZL15flash_attn_tileILi72ELi72ELi2ELi2ELb0EEvPKcS1_S1_S1_S1_PKiPfP15HIP_vector_typeIfLj2EEffffjfiS5_IjLj3EEiiiiiiiiiiiliiliiiiil.numbered_sgpr, 46
	.set _ZL15flash_attn_tileILi72ELi72ELi2ELi2ELb0EEvPKcS1_S1_S1_S1_PKiPfP15HIP_vector_typeIfLj2EEffffjfiS5_IjLj3EEiiiiiiiiiiiliiliiiiil.num_named_barrier, 0
	.set _ZL15flash_attn_tileILi72ELi72ELi2ELi2ELb0EEvPKcS1_S1_S1_S1_PKiPfP15HIP_vector_typeIfLj2EEffffjfiS5_IjLj3EEiiiiiiiiiiiliiliiiiil.private_seg_size, 0
	.set _ZL15flash_attn_tileILi72ELi72ELi2ELi2ELb0EEvPKcS1_S1_S1_S1_PKiPfP15HIP_vector_typeIfLj2EEffffjfiS5_IjLj3EEiiiiiiiiiiiliiliiiiil.uses_vcc, 1
	.set _ZL15flash_attn_tileILi72ELi72ELi2ELi2ELb0EEvPKcS1_S1_S1_S1_PKiPfP15HIP_vector_typeIfLj2EEffffjfiS5_IjLj3EEiiiiiiiiiiiliiliiiiil.uses_flat_scratch, 0
	.set _ZL15flash_attn_tileILi72ELi72ELi2ELi2ELb0EEvPKcS1_S1_S1_S1_PKiPfP15HIP_vector_typeIfLj2EEffffjfiS5_IjLj3EEiiiiiiiiiiiliiliiiiil.has_dyn_sized_stack, 0
	.set _ZL15flash_attn_tileILi72ELi72ELi2ELi2ELb0EEvPKcS1_S1_S1_S1_PKiPfP15HIP_vector_typeIfLj2EEffffjfiS5_IjLj3EEiiiiiiiiiiiliiliiiiil.has_recursion, 0
	.set _ZL15flash_attn_tileILi72ELi72ELi2ELi2ELb0EEvPKcS1_S1_S1_S1_PKiPfP15HIP_vector_typeIfLj2EEffffjfiS5_IjLj3EEiiiiiiiiiiiliiliiiiil.has_indirect_call, 0
	.section	.AMDGPU.csdata,"",@progbits
; Kernel info:
; codeLenInByte = 4964
; TotalNumSgprs: 48
; NumVgprs: 71
; ScratchSize: 0
; MemoryBound: 0
; FloatMode: 240
; IeeeMode: 1
; LDSByteSize: 6176 bytes/workgroup (compile time only)
; SGPRBlocks: 0
; VGPRBlocks: 4
; NumSGPRsForWavesPerEU: 48
; NumVGPRsForWavesPerEU: 71
; NamedBarCnt: 0
; Occupancy: 12
; WaveLimiterHint : 1
; COMPUTE_PGM_RSRC2:SCRATCH_EN: 0
; COMPUTE_PGM_RSRC2:USER_SGPR: 2
; COMPUTE_PGM_RSRC2:TRAP_HANDLER: 0
; COMPUTE_PGM_RSRC2:TGID_X_EN: 1
; COMPUTE_PGM_RSRC2:TGID_Y_EN: 1
; COMPUTE_PGM_RSRC2:TGID_Z_EN: 1
; COMPUTE_PGM_RSRC2:TIDIG_COMP_CNT: 1
	.section	.text._ZL33flash_attn_stream_k_fixup_uniformILi72ELi2ELi2EEvPfPK15HIP_vector_typeIfLj2EEiiiiiiS1_IjLj3EES5_S5_,"axG",@progbits,_ZL33flash_attn_stream_k_fixup_uniformILi72ELi2ELi2EEvPfPK15HIP_vector_typeIfLj2EEiiiiiiS1_IjLj3EES5_S5_,comdat
	.globl	_ZL33flash_attn_stream_k_fixup_uniformILi72ELi2ELi2EEvPfPK15HIP_vector_typeIfLj2EEiiiiiiS1_IjLj3EES5_S5_ ; -- Begin function _ZL33flash_attn_stream_k_fixup_uniformILi72ELi2ELi2EEvPfPK15HIP_vector_typeIfLj2EEiiiiiiS1_IjLj3EES5_S5_
	.p2align	8
	.type	_ZL33flash_attn_stream_k_fixup_uniformILi72ELi2ELi2EEvPfPK15HIP_vector_typeIfLj2EEiiiiiiS1_IjLj3EES5_S5_,@function
_ZL33flash_attn_stream_k_fixup_uniformILi72ELi2ELi2EEvPfPK15HIP_vector_typeIfLj2EEiiiiiiS1_IjLj3EES5_S5_: ; @_ZL33flash_attn_stream_k_fixup_uniformILi72ELi2ELi2EEvPfPK15HIP_vector_typeIfLj2EEiiiiiiS1_IjLj3EES5_S5_
; %bb.0:
	s_load_b256 s[4:11], s[0:1], 0x1c
	s_bfe_u32 s2, ttmp6, 0x40014
	s_lshr_b32 s3, ttmp7, 16
	s_add_co_i32 s2, s2, 1
	s_bfe_u32 s13, ttmp6, 0x40010
	s_mul_i32 s2, s3, s2
	s_bfe_u32 s12, ttmp6, 0x40008
	s_and_b32 s15, ttmp7, 0xffff
	s_add_co_i32 s13, s13, 1
	s_bfe_u32 s14, ttmp6, 0x4000c
	s_add_co_i32 s2, s12, s2
	s_mul_i32 s12, s15, s13
	s_bfe_u32 s13, ttmp6, 0x40004
	s_add_co_i32 s14, s14, 1
	s_add_co_i32 s13, s13, s12
	s_and_b32 s12, ttmp6, 15
	s_mul_i32 s14, ttmp9, s14
	s_getreg_b32 s20, hwreg(HW_REG_IB_STS2, 6, 4)
	s_add_co_i32 s12, s12, s14
	s_load_b128 s[16:19], s[0:1], 0x3c
	s_cmp_eq_u32 s20, 0
	s_cselect_b32 s14, ttmp9, s12
	s_cselect_b32 s12, s15, s13
	s_wait_kmcnt 0x0
	s_mul_hi_u32 s7, s7, s14
	s_cselect_b32 s13, s3, s2
	s_add_co_i32 s2, s14, s7
	s_delay_alu instid0(SALU_CYCLE_1) | instskip(NEXT) | instid1(SALU_CYCLE_1)
	s_lshr_b32 s7, s2, s8
	s_mul_i32 s2, s7, s9
	s_delay_alu instid0(SALU_CYCLE_1) | instskip(NEXT) | instid1(SALU_CYCLE_1)
	s_sub_co_i32 s8, s14, s2
	s_mul_hi_u32 s2, s8, s10
	s_delay_alu instid0(SALU_CYCLE_1) | instskip(SKIP_2) | instid1(SALU_CYCLE_1)
	s_add_co_i32 s9, s8, s2
	s_load_b64 s[2:3], s[0:1], 0x10
	s_lshr_b32 s15, s9, s11
	s_mul_i32 s9, s15, s16
	s_delay_alu instid0(SALU_CYCLE_1) | instskip(NEXT) | instid1(SALU_CYCLE_1)
	s_sub_co_i32 s8, s8, s9
	s_mul_hi_u32 s9, s8, s17
	s_delay_alu instid0(SALU_CYCLE_1) | instskip(NEXT) | instid1(SALU_CYCLE_1)
	s_add_co_i32 s9, s8, s9
	s_lshr_b32 s9, s9, s18
	s_delay_alu instid0(SALU_CYCLE_1) | instskip(SKIP_2) | instid1(SALU_CYCLE_1)
	s_mul_i32 s10, s9, s19
	s_lshl_b32 s17, s9, 1
	s_sub_co_i32 s16, s8, s10
	s_lshl_b32 s8, s16, 1
	s_delay_alu instid0(SALU_CYCLE_1) | instskip(SKIP_4) | instid1(SALU_CYCLE_1)
	s_add_co_i32 s8, s8, s12
	s_wait_kmcnt 0x0
	s_cmp_lt_i32 s8, s2
	s_cselect_b32 s8, -1, 0
	s_add_co_i32 s17, s17, s13
	s_cmp_lt_i32 s17, s5
	s_cselect_b32 s9, -1, 0
	s_delay_alu instid0(SALU_CYCLE_1) | instskip(NEXT) | instid1(SALU_CYCLE_1)
	s_and_b32 s8, s8, s9
	s_and_not1_b32 vcc_lo, exec_lo, s8
	s_cbranch_vccnz .LBB47_6
; %bb.1:
	s_load_b128 s[8:11], s[0:1], 0x0
	s_wait_xcnt 0x0
	s_mul_i32 s0, s7, s2
	s_mul_i32 s15, s15, s5
	s_add_co_i32 s0, s0, s12
	s_add_co_i32 s1, s17, s15
	s_mul_i32 s0, s0, s3
	s_mul_i32 s2, s3, s16
	s_add_co_i32 s0, s1, s0
	s_mulk_i32 s2, 0x90
	s_mulk_i32 s0, 0x48
	s_mul_i32 s7, s6, s14
	v_add3_u32 v4, s0, s2, v0
	s_lshl_b32 s5, s12, 1
	s_add_co_i32 s15, s7, s6
	s_add_co_i32 s0, s5, s13
	s_lshl_b32 s1, s15, 2
	v_ashrrev_i32_e32 v5, 31, v4
	s_add_co_i32 s0, s0, s1
	s_add_co_i32 s2, s15, -2
	s_add_co_i32 s0, s0, -4
	s_wait_kmcnt 0x0
	global_load_b32 v3, v4, s[8:9] scale_offset
	s_ashr_i32 s1, s0, 31
	s_delay_alu instid0(SALU_CYCLE_1)
	s_lshl_b64 s[0:1], s[0:1], 3
	s_cmp_lt_i32 s2, s7
	s_add_nc_u64 s[0:1], s[10:11], s[0:1]
	s_load_b32 s16, s[0:1], 0x4
	s_cbranch_scc1 .LBB47_4
; %bb.2:
	s_wait_xcnt 0x0
	s_load_b32 s0, s[0:1], 0x0
	s_add_co_i32 s14, s14, 1
	s_mulk_i32 s12, 0x90
	s_wait_xcnt 0x0
	s_mul_i32 s1, s6, s14
	s_lshl_b32 s2, s4, 4
	s_lshl_b32 s6, s1, 2
	s_mulk_i32 s1, 0x120
	s_add_co_i32 s6, s13, s6
	s_mulk_i32 s13, 0x48
	s_lshl_b32 s4, s4, 2
	s_add_co_i32 s12, s13, s12
	s_ashr_i32 s3, s2, 31
	s_add_co_i32 s12, s12, s1
	s_add_co_i32 s1, s6, s4
	v_add3_u32 v0, s12, v0, 0xfffffdc0
	s_wait_kmcnt 0x0
	v_mov_b32_e32 v2, s16
	s_lshl_b64 s[2:3], s[2:3], 2
	s_add_co_i32 s4, s1, s5
	s_add_nc_u64 s[2:3], s[10:11], s[2:3]
	s_add_co_i32 s1, s15, -1
	s_add_co_i32 s4, s4, -8
.LBB47_3:                               ; =>This Inner Loop Header: Depth=1
	global_load_b32 v7, v0, s[2:3] scale_offset
	s_ashr_i32 s5, s4, 31
	v_max_num_f32_e64 v1, s0, s0
	s_lshl_b64 s[12:13], s[4:5], 3
	s_delay_alu instid0(SALU_CYCLE_1) | instskip(SKIP_1) | instid1(VALU_DEP_1)
	s_add_nc_u64 s[12:13], s[10:11], s[12:13]
	s_load_b64 s[12:13], s[12:13], 0x0
	v_readfirstlane_b32 s5, v1
	v_add_nc_u32_e32 v0, 0xfffffee0, v0
	s_wait_kmcnt 0x0
	v_max_num_f32_e64 v1, s12, s12
	s_delay_alu instid0(VALU_DEP_1) | instskip(SKIP_1) | instid1(SALU_CYCLE_3)
	v_readfirstlane_b32 s6, v1
	s_max_num_f32 s5, s5, s6
	s_sub_f32 s0, s0, s5
	s_sub_f32 s6, s12, s5
	s_delay_alu instid0(SALU_CYCLE_2) | instskip(NEXT) | instid1(SALU_CYCLE_2)
	s_mul_f32 s12, s0, 0x3fb8aa3b
	s_mul_f32 s14, s6, 0x3fb8aa3b
	s_delay_alu instid0(SALU_CYCLE_2)
	s_xor_b32 s15, s12, 0x80000000
	s_rndne_f32 s16, s12
	s_fmamk_f32 s15, s0, 0x3fb8aa3b, s15
	s_cmp_nlt_f32 s0, 0xc2ce8ed0
	s_rndne_f32 s17, s14
	s_sub_f32 s12, s12, s16
	s_fmamk_f32 s15, s0, 0x32a5705f, s15
	s_cselect_b32 vcc_lo, -1, 0
	s_cmp_ngt_f32 s0, 0x42b17218
	s_delay_alu instid0(SALU_CYCLE_1) | instskip(SKIP_2) | instid1(SALU_CYCLE_1)
	s_add_f32 s12, s12, s15
	s_cvt_i32_f32 s15, s16
	s_sub_f32 s16, s14, s17
	v_s_exp_f32 s12, s12
	v_nop
	s_delay_alu instid0(TRANS32_DEP_1) | instskip(SKIP_1) | instid1(VALU_DEP_1)
	v_ldexp_f32 v1, s12, s15
	s_cvt_i32_f32 s12, s17
	v_cndmask_b32_e32 v1, 0, v1, vcc_lo
	s_cselect_b32 vcc_lo, -1, 0
	s_cmp_ge_f32 s0, 0xc1a00000
	s_delay_alu instid0(VALU_DEP_1)
	v_cndmask_b32_e32 v1, 0x7f800000, v1, vcc_lo
	s_cselect_b32 vcc_lo, -1, 0
	s_xor_b32 s0, s14, 0x80000000
	s_cmp_nlt_f32 s6, 0xc2ce8ed0
	s_fmamk_f32 s0, s6, 0x3fb8aa3b, s0
	v_cndmask_b32_e32 v10, 0, v1, vcc_lo
	s_delay_alu instid0(SALU_CYCLE_2) | instskip(NEXT) | instid1(SALU_CYCLE_3)
	s_fmamk_f32 s0, s6, 0x32a5705f, s0
	s_add_f32 s0, s16, s0
	s_delay_alu instid0(SALU_CYCLE_3) | instskip(SKIP_1) | instid1(TRANS32_DEP_1)
	v_s_exp_f32 s0, s0
	v_nop
	v_ldexp_f32 v6, s0, s12
	s_cselect_b32 s0, -1, 0
	s_cmp_ngt_f32 s6, 0x42b17218
	s_delay_alu instid0(VALU_DEP_1) | instskip(SKIP_2) | instid1(VALU_DEP_1)
	v_cndmask_b32_e64 v6, 0, v6, s0
	s_cselect_b32 s0, -1, 0
	s_cmp_ge_f32 s6, 0xc1a00000
	v_cndmask_b32_e64 v8, 0x7f800000, v6, s0
	s_cselect_b32 s0, -1, 0
	v_mov_b32_e32 v6, s13
	s_add_co_i32 s1, s1, -1
	s_add_co_i32 s4, s4, -4
	v_cndmask_b32_e64 v8, 0, v8, s0
	s_cmp_le_i32 s1, s7
	s_mov_b32 s0, s5
	s_wait_loadcnt 0x0
	s_delay_alu instid0(VALU_DEP_1) | instskip(NEXT) | instid1(VALU_DEP_1)
	v_pk_mul_f32 v[6:7], v[6:7], v[8:9] op_sel_hi:[1,0]
	v_pk_fma_f32 v[2:3], v[2:3], v[10:11], v[6:7] op_sel_hi:[1,0,1]
	s_cbranch_scc0 .LBB47_3
	s_branch .LBB47_5
.LBB47_4:
	s_wait_kmcnt 0x0
	v_mov_b32_e32 v2, s16
.LBB47_5:
	v_lshl_add_u64 v[0:1], v[4:5], 2, s[8:9]
	s_wait_loadcnt 0x0
	s_delay_alu instid0(VALU_DEP_2) | instskip(NEXT) | instid1(VALU_DEP_1)
	v_div_scale_f32 v4, null, v2, v2, v3
	v_rcp_f32_e32 v5, v4
	v_nop
	s_delay_alu instid0(TRANS32_DEP_1) | instskip(NEXT) | instid1(VALU_DEP_1)
	v_fma_f32 v6, -v4, v5, 1.0
	v_fmac_f32_e32 v5, v6, v5
	v_div_scale_f32 v6, vcc_lo, v3, v2, v3
	s_delay_alu instid0(VALU_DEP_1) | instskip(NEXT) | instid1(VALU_DEP_1)
	v_mul_f32_e32 v7, v6, v5
	v_fma_f32 v8, -v4, v7, v6
	s_delay_alu instid0(VALU_DEP_1) | instskip(NEXT) | instid1(VALU_DEP_1)
	v_fmac_f32_e32 v7, v8, v5
	v_fma_f32 v4, -v4, v7, v6
	s_delay_alu instid0(VALU_DEP_1) | instskip(NEXT) | instid1(VALU_DEP_1)
	v_div_fmas_f32 v4, v4, v5, v7
	v_div_fixup_f32 v2, v4, v2, v3
	global_store_b32 v[0:1], v2, off
.LBB47_6:
	s_endpgm
	.section	.rodata,"a",@progbits
	.p2align	6, 0x0
	.amdhsa_kernel _ZL33flash_attn_stream_k_fixup_uniformILi72ELi2ELi2EEvPfPK15HIP_vector_typeIfLj2EEiiiiiiS1_IjLj3EES5_S5_
		.amdhsa_group_segment_fixed_size 0
		.amdhsa_private_segment_fixed_size 0
		.amdhsa_kernarg_size 76
		.amdhsa_user_sgpr_count 2
		.amdhsa_user_sgpr_dispatch_ptr 0
		.amdhsa_user_sgpr_queue_ptr 0
		.amdhsa_user_sgpr_kernarg_segment_ptr 1
		.amdhsa_user_sgpr_dispatch_id 0
		.amdhsa_user_sgpr_kernarg_preload_length 0
		.amdhsa_user_sgpr_kernarg_preload_offset 0
		.amdhsa_user_sgpr_private_segment_size 0
		.amdhsa_wavefront_size32 1
		.amdhsa_uses_dynamic_stack 0
		.amdhsa_enable_private_segment 0
		.amdhsa_system_sgpr_workgroup_id_x 1
		.amdhsa_system_sgpr_workgroup_id_y 1
		.amdhsa_system_sgpr_workgroup_id_z 1
		.amdhsa_system_sgpr_workgroup_info 0
		.amdhsa_system_vgpr_workitem_id 0
		.amdhsa_next_free_vgpr 12
		.amdhsa_next_free_sgpr 21
		.amdhsa_named_barrier_count 0
		.amdhsa_reserve_vcc 1
		.amdhsa_float_round_mode_32 0
		.amdhsa_float_round_mode_16_64 0
		.amdhsa_float_denorm_mode_32 3
		.amdhsa_float_denorm_mode_16_64 3
		.amdhsa_fp16_overflow 0
		.amdhsa_memory_ordered 1
		.amdhsa_forward_progress 1
		.amdhsa_inst_pref_size 9
		.amdhsa_round_robin_scheduling 0
		.amdhsa_exception_fp_ieee_invalid_op 0
		.amdhsa_exception_fp_denorm_src 0
		.amdhsa_exception_fp_ieee_div_zero 0
		.amdhsa_exception_fp_ieee_overflow 0
		.amdhsa_exception_fp_ieee_underflow 0
		.amdhsa_exception_fp_ieee_inexact 0
		.amdhsa_exception_int_div_zero 0
	.end_amdhsa_kernel
	.section	.text._ZL33flash_attn_stream_k_fixup_uniformILi72ELi2ELi2EEvPfPK15HIP_vector_typeIfLj2EEiiiiiiS1_IjLj3EES5_S5_,"axG",@progbits,_ZL33flash_attn_stream_k_fixup_uniformILi72ELi2ELi2EEvPfPK15HIP_vector_typeIfLj2EEiiiiiiS1_IjLj3EES5_S5_,comdat
.Lfunc_end47:
	.size	_ZL33flash_attn_stream_k_fixup_uniformILi72ELi2ELi2EEvPfPK15HIP_vector_typeIfLj2EEiiiiiiS1_IjLj3EES5_S5_, .Lfunc_end47-_ZL33flash_attn_stream_k_fixup_uniformILi72ELi2ELi2EEvPfPK15HIP_vector_typeIfLj2EEiiiiiiS1_IjLj3EES5_S5_
                                        ; -- End function
	.set _ZL33flash_attn_stream_k_fixup_uniformILi72ELi2ELi2EEvPfPK15HIP_vector_typeIfLj2EEiiiiiiS1_IjLj3EES5_S5_.num_vgpr, 12
	.set _ZL33flash_attn_stream_k_fixup_uniformILi72ELi2ELi2EEvPfPK15HIP_vector_typeIfLj2EEiiiiiiS1_IjLj3EES5_S5_.num_agpr, 0
	.set _ZL33flash_attn_stream_k_fixup_uniformILi72ELi2ELi2EEvPfPK15HIP_vector_typeIfLj2EEiiiiiiS1_IjLj3EES5_S5_.numbered_sgpr, 21
	.set _ZL33flash_attn_stream_k_fixup_uniformILi72ELi2ELi2EEvPfPK15HIP_vector_typeIfLj2EEiiiiiiS1_IjLj3EES5_S5_.num_named_barrier, 0
	.set _ZL33flash_attn_stream_k_fixup_uniformILi72ELi2ELi2EEvPfPK15HIP_vector_typeIfLj2EEiiiiiiS1_IjLj3EES5_S5_.private_seg_size, 0
	.set _ZL33flash_attn_stream_k_fixup_uniformILi72ELi2ELi2EEvPfPK15HIP_vector_typeIfLj2EEiiiiiiS1_IjLj3EES5_S5_.uses_vcc, 1
	.set _ZL33flash_attn_stream_k_fixup_uniformILi72ELi2ELi2EEvPfPK15HIP_vector_typeIfLj2EEiiiiiiS1_IjLj3EES5_S5_.uses_flat_scratch, 0
	.set _ZL33flash_attn_stream_k_fixup_uniformILi72ELi2ELi2EEvPfPK15HIP_vector_typeIfLj2EEiiiiiiS1_IjLj3EES5_S5_.has_dyn_sized_stack, 0
	.set _ZL33flash_attn_stream_k_fixup_uniformILi72ELi2ELi2EEvPfPK15HIP_vector_typeIfLj2EEiiiiiiS1_IjLj3EES5_S5_.has_recursion, 0
	.set _ZL33flash_attn_stream_k_fixup_uniformILi72ELi2ELi2EEvPfPK15HIP_vector_typeIfLj2EEiiiiiiS1_IjLj3EES5_S5_.has_indirect_call, 0
	.section	.AMDGPU.csdata,"",@progbits
; Kernel info:
; codeLenInByte = 1084
; TotalNumSgprs: 23
; NumVgprs: 12
; ScratchSize: 0
; MemoryBound: 0
; FloatMode: 240
; IeeeMode: 1
; LDSByteSize: 0 bytes/workgroup (compile time only)
; SGPRBlocks: 0
; VGPRBlocks: 0
; NumSGPRsForWavesPerEU: 23
; NumVGPRsForWavesPerEU: 12
; NamedBarCnt: 0
; Occupancy: 16
; WaveLimiterHint : 0
; COMPUTE_PGM_RSRC2:SCRATCH_EN: 0
; COMPUTE_PGM_RSRC2:USER_SGPR: 2
; COMPUTE_PGM_RSRC2:TRAP_HANDLER: 0
; COMPUTE_PGM_RSRC2:TGID_X_EN: 1
; COMPUTE_PGM_RSRC2:TGID_Y_EN: 1
; COMPUTE_PGM_RSRC2:TGID_Z_EN: 1
; COMPUTE_PGM_RSRC2:TIDIG_COMP_CNT: 0
	.section	.text._ZL33flash_attn_stream_k_fixup_generalILi72ELi2ELi2EEvPfPK15HIP_vector_typeIfLj2EEiiiiS1_IjLj3EES5_S5_S5_,"axG",@progbits,_ZL33flash_attn_stream_k_fixup_generalILi72ELi2ELi2EEvPfPK15HIP_vector_typeIfLj2EEiiiiS1_IjLj3EES5_S5_S5_,comdat
	.globl	_ZL33flash_attn_stream_k_fixup_generalILi72ELi2ELi2EEvPfPK15HIP_vector_typeIfLj2EEiiiiS1_IjLj3EES5_S5_S5_ ; -- Begin function _ZL33flash_attn_stream_k_fixup_generalILi72ELi2ELi2EEvPfPK15HIP_vector_typeIfLj2EEiiiiS1_IjLj3EES5_S5_S5_
	.p2align	8
	.type	_ZL33flash_attn_stream_k_fixup_generalILi72ELi2ELi2EEvPfPK15HIP_vector_typeIfLj2EEiiiiS1_IjLj3EES5_S5_S5_,@function
_ZL33flash_attn_stream_k_fixup_generalILi72ELi2ELi2EEvPfPK15HIP_vector_typeIfLj2EEiiiiS1_IjLj3EES5_S5_S5_: ; @_ZL33flash_attn_stream_k_fixup_generalILi72ELi2ELi2EEvPfPK15HIP_vector_typeIfLj2EEiiiiS1_IjLj3EES5_S5_S5_
; %bb.0:
	s_clause 0x1
	s_load_b128 s[4:7], s[0:1], 0x10
	s_load_b32 s16, s[0:1], 0x50
	s_bfe_u32 s2, ttmp6, 0x4000c
	s_and_b32 s3, ttmp6, 15
	s_add_co_i32 s2, s2, 1
	s_getreg_b32 s15, hwreg(HW_REG_IB_STS2, 6, 4)
	s_mul_i32 s2, ttmp9, s2
	s_mov_b32 s17, 0
	s_add_co_i32 s3, s3, s2
	s_cmp_eq_u32 s15, 0
	s_cselect_b32 s2, ttmp9, s3
	s_delay_alu instid0(SALU_CYCLE_1) | instskip(SKIP_3) | instid1(SALU_CYCLE_1)
	s_ashr_i32 s3, s2, 31
	s_wait_kmcnt 0x0
	s_ashr_i32 s19, s7, 31
	s_mov_b32 s18, s7
	s_mul_u64 s[8:9], s[18:19], s[2:3]
	s_delay_alu instid0(SALU_CYCLE_1) | instskip(NEXT) | instid1(SALU_CYCLE_1)
	s_and_b64 s[10:11], s[8:9], 0xffffffff00000000
	s_cmp_lg_u64 s[10:11], 0
	s_cbranch_scc0 .LBB48_21
; %bb.1:
	s_add_nc_u64 s[10:11], s[16:17], 0
	s_mov_b32 s23, s17
	s_xor_b64 s[10:11], s[10:11], 0
	s_mov_b32 s27, s17
	s_cvt_f32_u32 s3, s10
	s_cvt_f32_u32 s7, s11
	s_sub_nc_u64 s[20:21], 0, s[10:11]
	s_delay_alu instid0(SALU_CYCLE_2) | instskip(NEXT) | instid1(SALU_CYCLE_3)
	s_fmamk_f32 s3, s7, 0x4f800000, s3
	v_s_rcp_f32 s3, s3
	s_delay_alu instid0(TRANS32_DEP_1) | instskip(NEXT) | instid1(SALU_CYCLE_3)
	s_mul_f32 s3, s3, 0x5f7ffffc
	s_mul_f32 s7, s3, 0x2f800000
	s_delay_alu instid0(SALU_CYCLE_3) | instskip(NEXT) | instid1(SALU_CYCLE_3)
	s_trunc_f32 s7, s7
	s_fmamk_f32 s3, s7, 0xcf800000, s3
	s_cvt_u32_f32 s13, s7
	s_delay_alu instid0(SALU_CYCLE_2) | instskip(NEXT) | instid1(SALU_CYCLE_3)
	s_cvt_u32_f32 s12, s3
	s_mul_u64 s[24:25], s[20:21], s[12:13]
	s_delay_alu instid0(SALU_CYCLE_1)
	s_mul_hi_u32 s29, s12, s25
	s_mul_i32 s28, s12, s25
	s_mul_hi_u32 s22, s12, s24
	s_mul_i32 s7, s13, s24
	s_add_nc_u64 s[22:23], s[22:23], s[28:29]
	s_mul_hi_u32 s3, s13, s24
	s_mul_hi_u32 s14, s13, s25
	s_add_co_u32 s7, s22, s7
	s_add_co_ci_u32 s26, s23, s3
	s_mul_i32 s24, s13, s25
	s_add_co_ci_u32 s25, s14, 0
	s_delay_alu instid0(SALU_CYCLE_1) | instskip(SKIP_3) | instid1(SALU_CYCLE_1)
	s_add_nc_u64 s[22:23], s[26:27], s[24:25]
	s_mov_b32 s25, s17
	s_add_co_u32 s12, s12, s22
	s_cselect_b32 s3, -1, 0
	s_cmp_lg_u32 s3, 0
	s_add_co_ci_u32 s13, s13, s23
	s_mov_b32 s23, s17
	s_mul_u64 s[20:21], s[20:21], s[12:13]
	s_delay_alu instid0(SALU_CYCLE_1)
	s_mul_hi_u32 s27, s12, s21
	s_mul_i32 s26, s12, s21
	s_mul_hi_u32 s22, s12, s20
	s_mul_i32 s7, s13, s20
	s_add_nc_u64 s[22:23], s[22:23], s[26:27]
	s_mul_hi_u32 s3, s13, s20
	s_mul_hi_u32 s14, s13, s21
	s_add_co_u32 s7, s22, s7
	s_add_co_ci_u32 s24, s23, s3
	s_mul_i32 s20, s13, s21
	s_add_co_ci_u32 s21, s14, 0
	s_mov_b32 s23, s17
	s_add_nc_u64 s[20:21], s[24:25], s[20:21]
	s_delay_alu instid0(SALU_CYCLE_1) | instskip(SKIP_1) | instid1(SALU_CYCLE_1)
	s_add_co_u32 s3, s12, s20
	s_cselect_b32 s7, -1, 0
	s_cmp_lg_u32 s7, 0
	s_add_co_ci_u32 s7, s13, s21
	s_ashr_i32 s12, s9, 31
	s_delay_alu instid0(SALU_CYCLE_1) | instskip(NEXT) | instid1(SALU_CYCLE_1)
	s_mov_b32 s13, s12
	s_add_nc_u64 s[20:21], s[8:9], s[12:13]
	s_delay_alu instid0(SALU_CYCLE_1) | instskip(NEXT) | instid1(SALU_CYCLE_1)
	s_xor_b64 s[20:21], s[20:21], s[12:13]
	s_mul_hi_u32 s27, s20, s7
	s_mul_i32 s26, s20, s7
	s_mul_hi_u32 s22, s20, s3
	s_mul_hi_u32 s14, s21, s3
	s_mul_i32 s3, s21, s3
	s_add_nc_u64 s[22:23], s[22:23], s[26:27]
	s_mul_hi_u32 s9, s21, s7
	s_add_co_u32 s3, s22, s3
	s_add_co_ci_u32 s24, s23, s14
	s_mul_i32 s26, s21, s7
	s_add_co_ci_u32 s27, s9, 0
	s_delay_alu instid0(SALU_CYCLE_1) | instskip(NEXT) | instid1(SALU_CYCLE_1)
	s_add_nc_u64 s[22:23], s[24:25], s[26:27]
	s_and_b64 s[24:25], s[22:23], 0xffffffff00000000
	s_delay_alu instid0(SALU_CYCLE_1) | instskip(NEXT) | instid1(SALU_CYCLE_1)
	s_or_b32 s24, s24, s22
	s_mul_u64 s[22:23], s[10:11], s[24:25]
	s_add_nc_u64 s[26:27], s[24:25], 1
	s_sub_co_u32 s3, s20, s22
	s_cselect_b32 s7, -1, 0
	s_sub_co_i32 s9, s21, s23
	s_cmp_lg_u32 s7, 0
	s_add_nc_u64 s[28:29], s[24:25], 2
	s_sub_co_ci_u32 s9, s9, s11
	s_sub_co_u32 s14, s3, s10
	s_cselect_b32 s20, -1, 0
	s_delay_alu instid0(SALU_CYCLE_1) | instskip(SKIP_1) | instid1(SALU_CYCLE_1)
	s_cmp_lg_u32 s20, 0
	s_sub_co_ci_u32 s9, s9, 0
	s_cmp_ge_u32 s9, s11
	s_cselect_b32 s20, -1, 0
	s_cmp_ge_u32 s14, s10
	s_cselect_b32 s14, -1, 0
	s_cmp_eq_u32 s9, s11
	s_cselect_b32 s9, s14, s20
	s_delay_alu instid0(SALU_CYCLE_1) | instskip(SKIP_4) | instid1(SALU_CYCLE_1)
	s_cmp_lg_u32 s9, 0
	s_cselect_b32 s9, s28, s26
	s_cselect_b32 s14, s29, s27
	s_cmp_lg_u32 s7, 0
	s_sub_co_ci_u32 s7, s21, s23
	s_cmp_ge_u32 s7, s11
	s_cselect_b32 s20, -1, 0
	s_cmp_ge_u32 s3, s10
	s_cselect_b32 s3, -1, 0
	s_cmp_eq_u32 s7, s11
	s_cselect_b32 s3, s3, s20
	s_delay_alu instid0(SALU_CYCLE_1) | instskip(SKIP_4) | instid1(SALU_CYCLE_1)
	s_cmp_lg_u32 s3, 0
	s_mov_b32 s3, s17
	s_cselect_b32 s11, s14, s25
	s_cselect_b32 s10, s9, s24
	s_xor_b64 s[12:13], s[12:13], 0
	s_xor_b64 s[10:11], s[10:11], s[12:13]
	s_delay_alu instid0(SALU_CYCLE_1)
	s_sub_nc_u64 s[20:21], s[10:11], s[12:13]
	s_and_not1_b32 vcc_lo, exec_lo, s3
	s_cbranch_vccnz .LBB48_3
.LBB48_2:
	v_cvt_f32_u32_e32 v1, s16
	s_sub_co_i32 s7, 0, s16
	s_mov_b32 s21, 0
	s_delay_alu instid0(VALU_DEP_1) | instskip(SKIP_1) | instid1(TRANS32_DEP_1)
	v_rcp_iflag_f32_e32 v1, v1
	v_nop
	v_mul_f32_e32 v1, 0x4f7ffffe, v1
	s_delay_alu instid0(VALU_DEP_1) | instskip(NEXT) | instid1(VALU_DEP_1)
	v_cvt_u32_f32_e32 v1, v1
	v_readfirstlane_b32 s3, v1
	s_mul_i32 s7, s7, s3
	s_delay_alu instid0(SALU_CYCLE_1) | instskip(NEXT) | instid1(SALU_CYCLE_1)
	s_mul_hi_u32 s7, s3, s7
	s_add_co_i32 s3, s3, s7
	s_delay_alu instid0(SALU_CYCLE_1) | instskip(NEXT) | instid1(SALU_CYCLE_1)
	s_mul_hi_u32 s3, s8, s3
	s_mul_i32 s7, s3, s16
	s_delay_alu instid0(SALU_CYCLE_1)
	s_sub_co_i32 s7, s8, s7
	s_add_co_i32 s8, s3, 1
	s_sub_co_i32 s9, s7, s16
	s_cmp_ge_u32 s7, s16
	s_cselect_b32 s3, s8, s3
	s_cselect_b32 s7, s9, s7
	s_add_co_i32 s8, s3, 1
	s_cmp_ge_u32 s7, s16
	s_cselect_b32 s20, s8, s3
.LBB48_3:
	s_add_co_i32 s8, s2, 1
	s_delay_alu instid0(SALU_CYCLE_1) | instskip(NEXT) | instid1(SALU_CYCLE_1)
	s_ashr_i32 s9, s8, 31
	s_mul_u64 s[8:9], s[18:19], s[8:9]
	s_delay_alu instid0(SALU_CYCLE_1) | instskip(NEXT) | instid1(SALU_CYCLE_1)
	s_and_b64 s[10:11], s[8:9], 0xffffffff00000000
	s_cmp_lg_u64 s[10:11], 0
	s_cbranch_scc0 .LBB48_22
; %bb.4:
	s_add_nc_u64 s[10:11], s[16:17], 0
	s_delay_alu instid0(SALU_CYCLE_1) | instskip(SKIP_4) | instid1(SALU_CYCLE_2)
	s_xor_b64 s[12:13], s[10:11], 0
	s_mov_b32 s11, 0
	s_cvt_f32_u32 s3, s12
	s_cvt_f32_u32 s7, s13
	s_sub_nc_u64 s[24:25], 0, s[12:13]
	s_fmamk_f32 s3, s7, 0x4f800000, s3
	s_delay_alu instid0(SALU_CYCLE_3) | instskip(NEXT) | instid1(TRANS32_DEP_1)
	v_s_rcp_f32 s3, s3
	s_mul_f32 s3, s3, 0x5f7ffffc
	s_delay_alu instid0(SALU_CYCLE_3) | instskip(NEXT) | instid1(SALU_CYCLE_3)
	s_mul_f32 s7, s3, 0x2f800000
	s_trunc_f32 s7, s7
	s_delay_alu instid0(SALU_CYCLE_3) | instskip(SKIP_1) | instid1(SALU_CYCLE_2)
	s_fmamk_f32 s3, s7, 0xcf800000, s3
	s_cvt_u32_f32 s23, s7
	s_cvt_u32_f32 s22, s3
	s_delay_alu instid0(SALU_CYCLE_3) | instskip(NEXT) | instid1(SALU_CYCLE_1)
	s_mul_u64 s[26:27], s[24:25], s[22:23]
	s_mul_hi_u32 s29, s22, s27
	s_mul_i32 s28, s22, s27
	s_mul_hi_u32 s10, s22, s26
	s_mul_i32 s7, s23, s26
	s_add_nc_u64 s[28:29], s[10:11], s[28:29]
	s_mul_hi_u32 s3, s23, s26
	s_mul_hi_u32 s14, s23, s27
	s_add_co_u32 s7, s28, s7
	s_add_co_ci_u32 s10, s29, s3
	s_mul_i32 s26, s23, s27
	s_add_co_ci_u32 s27, s14, 0
	s_delay_alu instid0(SALU_CYCLE_1) | instskip(NEXT) | instid1(SALU_CYCLE_1)
	s_add_nc_u64 s[26:27], s[10:11], s[26:27]
	s_add_co_u32 s22, s22, s26
	s_cselect_b32 s3, -1, 0
	s_delay_alu instid0(SALU_CYCLE_1) | instskip(SKIP_1) | instid1(SALU_CYCLE_1)
	s_cmp_lg_u32 s3, 0
	s_add_co_ci_u32 s23, s23, s27
	s_mul_u64 s[24:25], s[24:25], s[22:23]
	s_delay_alu instid0(SALU_CYCLE_1)
	s_mul_hi_u32 s27, s22, s25
	s_mul_i32 s26, s22, s25
	s_mul_hi_u32 s10, s22, s24
	s_mul_i32 s7, s23, s24
	s_add_nc_u64 s[26:27], s[10:11], s[26:27]
	s_mul_hi_u32 s3, s23, s24
	s_mul_hi_u32 s14, s23, s25
	s_add_co_u32 s7, s26, s7
	s_add_co_ci_u32 s10, s27, s3
	s_mul_i32 s24, s23, s25
	s_add_co_ci_u32 s25, s14, 0
	s_delay_alu instid0(SALU_CYCLE_1) | instskip(NEXT) | instid1(SALU_CYCLE_1)
	s_add_nc_u64 s[24:25], s[10:11], s[24:25]
	s_add_co_u32 s3, s22, s24
	s_cselect_b32 s7, -1, 0
	s_delay_alu instid0(SALU_CYCLE_1) | instskip(SKIP_2) | instid1(SALU_CYCLE_1)
	s_cmp_lg_u32 s7, 0
	s_add_co_ci_u32 s7, s23, s25
	s_ashr_i32 s22, s9, 31
	s_mov_b32 s23, s22
	s_delay_alu instid0(SALU_CYCLE_1) | instskip(NEXT) | instid1(SALU_CYCLE_1)
	s_add_nc_u64 s[24:25], s[8:9], s[22:23]
	s_xor_b64 s[24:25], s[24:25], s[22:23]
	s_delay_alu instid0(SALU_CYCLE_1)
	s_mul_hi_u32 s27, s24, s7
	s_mul_i32 s26, s24, s7
	s_mul_hi_u32 s10, s24, s3
	s_mul_hi_u32 s14, s25, s3
	s_mul_i32 s3, s25, s3
	s_add_nc_u64 s[26:27], s[10:11], s[26:27]
	s_mul_hi_u32 s9, s25, s7
	s_add_co_u32 s3, s26, s3
	s_add_co_ci_u32 s10, s27, s14
	s_mul_i32 s28, s25, s7
	s_add_co_ci_u32 s29, s9, 0
	s_delay_alu instid0(SALU_CYCLE_1) | instskip(NEXT) | instid1(SALU_CYCLE_1)
	s_add_nc_u64 s[26:27], s[10:11], s[28:29]
	s_and_b64 s[28:29], s[26:27], 0xffffffff00000000
	s_delay_alu instid0(SALU_CYCLE_1) | instskip(NEXT) | instid1(SALU_CYCLE_1)
	s_or_b32 s28, s28, s26
	s_mul_u64 s[26:27], s[12:13], s[28:29]
	s_add_nc_u64 s[30:31], s[28:29], 1
	s_sub_co_u32 s3, s24, s26
	s_cselect_b32 s7, -1, 0
	s_sub_co_i32 s9, s25, s27
	s_cmp_lg_u32 s7, 0
	s_add_nc_u64 s[34:35], s[28:29], 2
	s_sub_co_ci_u32 s9, s9, s13
	s_sub_co_u32 s10, s3, s12
	s_cselect_b32 s14, -1, 0
	s_delay_alu instid0(SALU_CYCLE_1) | instskip(SKIP_1) | instid1(SALU_CYCLE_1)
	s_cmp_lg_u32 s14, 0
	s_sub_co_ci_u32 s9, s9, 0
	s_cmp_ge_u32 s9, s13
	s_cselect_b32 s14, -1, 0
	s_cmp_ge_u32 s10, s12
	s_cselect_b32 s10, -1, 0
	s_cmp_eq_u32 s9, s13
	s_cselect_b32 s9, s10, s14
	s_delay_alu instid0(SALU_CYCLE_1) | instskip(SKIP_4) | instid1(SALU_CYCLE_1)
	s_cmp_lg_u32 s9, 0
	s_cselect_b32 s9, s34, s30
	s_cselect_b32 s10, s35, s31
	s_cmp_lg_u32 s7, 0
	s_sub_co_ci_u32 s7, s25, s27
	s_cmp_ge_u32 s7, s13
	s_cselect_b32 s14, -1, 0
	s_cmp_ge_u32 s3, s12
	s_cselect_b32 s3, -1, 0
	s_cmp_eq_u32 s7, s13
	s_cselect_b32 s3, s3, s14
	s_delay_alu instid0(SALU_CYCLE_1) | instskip(SKIP_3) | instid1(SALU_CYCLE_1)
	s_cmp_lg_u32 s3, 0
	s_cselect_b32 s13, s10, s29
	s_cselect_b32 s12, s9, s28
	s_xor_b64 s[22:23], s[22:23], 0
	s_xor_b64 s[12:13], s[12:13], s[22:23]
	s_delay_alu instid0(SALU_CYCLE_1)
	s_sub_nc_u64 s[24:25], s[12:13], s[22:23]
	s_load_b96 s[12:14], s[0:1], 0x44
	s_cbranch_execnz .LBB48_6
.LBB48_5:
	v_cvt_f32_u32_e32 v1, s16
	s_sub_co_i32 s7, 0, s16
	s_delay_alu instid0(VALU_DEP_1) | instskip(SKIP_1) | instid1(TRANS32_DEP_1)
	v_rcp_iflag_f32_e32 v1, v1
	v_nop
	v_mul_f32_e32 v1, 0x4f7ffffe, v1
	s_delay_alu instid0(VALU_DEP_1) | instskip(NEXT) | instid1(VALU_DEP_1)
	v_cvt_u32_f32_e32 v1, v1
	v_readfirstlane_b32 s3, v1
	s_mul_i32 s7, s7, s3
	s_delay_alu instid0(SALU_CYCLE_1) | instskip(NEXT) | instid1(SALU_CYCLE_1)
	s_mul_hi_u32 s7, s3, s7
	s_add_co_i32 s3, s3, s7
	s_delay_alu instid0(SALU_CYCLE_1) | instskip(NEXT) | instid1(SALU_CYCLE_1)
	s_mul_hi_u32 s3, s8, s3
	s_mul_i32 s7, s3, s16
	s_delay_alu instid0(SALU_CYCLE_1)
	s_sub_co_i32 s7, s8, s7
	s_add_co_i32 s8, s3, 1
	s_sub_co_i32 s9, s7, s16
	s_cmp_ge_u32 s7, s16
	s_cselect_b32 s3, s8, s3
	s_cselect_b32 s7, s9, s7
	s_add_co_i32 s8, s3, 1
	s_cmp_ge_u32 s7, s16
	s_cselect_b32 s24, s8, s3
.LBB48_6:
	s_delay_alu instid0(SALU_CYCLE_1)
	s_cmp_eq_u32 s20, s24
	s_mov_b64 s[8:9], 0xffffffff
	s_cselect_b32 s3, -1, 0
	s_and_b64 s[8:9], s[20:21], s[8:9]
	s_mov_b32 s23, 0
	s_wait_kmcnt 0x0
	s_mov_b32 s22, s12
	s_mov_b32 s25, s23
	s_mul_u64 s[10:11], s[8:9], s[22:23]
	s_delay_alu instid0(SALU_CYCLE_1) | instskip(SKIP_2) | instid1(SALU_CYCLE_1)
	s_add_co_i32 s7, s11, s20
	s_mul_u64 s[10:11], s[24:25], s[22:23]
	s_lshr_b32 s12, s7, s13
	s_mul_i32 s7, s12, s14
	s_delay_alu instid0(SALU_CYCLE_1) | instskip(SKIP_2) | instid1(SALU_CYCLE_1)
	s_cmp_eq_u32 s7, s20
	s_cselect_b32 s7, -1, 0
	s_add_co_i32 s10, s11, s24
	s_lshr_b32 s10, s10, s13
	s_delay_alu instid0(SALU_CYCLE_1)
	s_cmp_eq_u32 s12, s10
	s_mul_i32 s10, s10, s14
	s_cselect_b32 s11, -1, 0
	s_cmp_lg_u32 s10, s24
	s_cselect_b32 s10, -1, 0
	s_or_b32 s3, s3, s7
	s_and_b32 s10, s11, s10
	s_delay_alu instid0(SALU_CYCLE_1) | instskip(NEXT) | instid1(SALU_CYCLE_1)
	s_or_b32 s3, s3, s10
	s_and_b32 vcc_lo, exec_lo, s3
	s_cbranch_vccnz .LBB48_24
; %bb.7:
	s_load_b256 s[24:31], s[0:1], 0x20
	s_bfe_u32 s7, ttmp6, 0x40014
	s_bfe_u32 s33, ttmp6, 0x40010
	s_lshr_b32 s3, ttmp7, 16
	s_add_co_i32 s7, s7, 1
	s_and_b32 s21, ttmp7, 0xffff
	s_add_co_i32 s33, s33, 1
	s_bfe_u32 s10, ttmp6, 0x40008
	s_mul_i32 s7, s3, s7
	s_bfe_u32 s34, ttmp6, 0x40004
	s_mul_i32 s33, s21, s33
	s_mov_b32 s11, s23
	s_add_co_i32 s35, s10, s7
	s_add_co_i32 s34, s34, s33
	s_cmp_eq_u32 s15, 0
	s_cselect_b32 s7, s21, s34
	s_cselect_b32 s3, s3, s35
	s_wait_kmcnt 0x0
	s_mov_b32 s10, s24
	s_delay_alu instid0(SALU_CYCLE_1) | instskip(NEXT) | instid1(SALU_CYCLE_1)
	s_mul_u64 s[8:9], s[8:9], s[10:11]
	s_add_co_i32 s8, s9, s20
	s_delay_alu instid0(SALU_CYCLE_1) | instskip(SKIP_2) | instid1(SALU_CYCLE_1)
	s_lshr_b32 s15, s8, s25
	s_load_b32 s8, s[0:1], 0x40
	s_mul_i32 s9, s15, s26
	s_sub_co_i32 s9, s20, s9
	s_delay_alu instid0(SALU_CYCLE_1) | instskip(NEXT) | instid1(SALU_CYCLE_1)
	s_mul_hi_u32 s10, s9, s27
	s_add_co_i32 s10, s9, s10
	s_delay_alu instid0(SALU_CYCLE_1) | instskip(NEXT) | instid1(SALU_CYCLE_1)
	s_lshr_b32 s21, s10, s28
	s_mul_i32 s10, s21, s29
	s_delay_alu instid0(SALU_CYCLE_1) | instskip(NEXT) | instid1(SALU_CYCLE_1)
	s_sub_co_i32 s10, s9, s10
	s_mul_hi_u32 s9, s10, s30
	s_delay_alu instid0(SALU_CYCLE_1) | instskip(NEXT) | instid1(SALU_CYCLE_1)
	s_add_co_i32 s9, s10, s9
	s_lshr_b32 s25, s9, s31
	s_mov_b32 s9, s23
	s_wait_kmcnt 0x0
	s_mul_i32 s8, s25, s8
	s_lshl_b32 s25, s25, 1
	s_sub_co_i32 s8, s10, s8
	s_delay_alu instid0(SALU_CYCLE_1) | instskip(NEXT) | instid1(SALU_CYCLE_1)
	s_mul_u64 s[10:11], s[8:9], s[22:23]
	s_add_co_i32 s8, s8, s11
	s_delay_alu instid0(SALU_CYCLE_1) | instskip(NEXT) | instid1(SALU_CYCLE_1)
	s_lshr_b32 s24, s8, s13
	s_lshl_b32 s8, s24, 1
	s_delay_alu instid0(SALU_CYCLE_1) | instskip(NEXT) | instid1(SALU_CYCLE_1)
	s_add_co_i32 s8, s8, s7
	s_cmp_lt_i32 s8, s4
	s_cselect_b32 s8, -1, 0
	s_add_co_i32 s25, s25, s3
	s_delay_alu instid0(SALU_CYCLE_1) | instskip(SKIP_1) | instid1(SALU_CYCLE_1)
	s_cmp_lt_i32 s25, s6
	s_cselect_b32 s9, -1, 0
	s_and_b32 s8, s8, s9
	s_delay_alu instid0(SALU_CYCLE_1)
	s_and_not1_b32 vcc_lo, exec_lo, s8
	s_cbranch_vccnz .LBB48_24
; %bb.8:
	s_load_b128 s[8:11], s[0:1], 0x0
	s_wait_xcnt 0x0
	s_mul_i32 s0, s15, s4
	s_mul_i32 s21, s21, s6
	s_add_co_i32 s0, s0, s7
	s_add_co_i32 s1, s25, s21
	s_mul_i32 s0, s0, s5
	s_mul_i32 s4, s5, s24
	s_add_co_i32 s0, s1, s0
	s_mulk_i32 s4, 0x90
	s_mulk_i32 s0, 0x48
	s_lshl_b32 s15, s7, 1
	v_add3_u32 v2, s4, s0, v0
	s_add_nc_u64 s[0:1], s[16:17], 0
	s_add_co_i32 s15, s15, s3
	s_xor_b64 s[6:7], s[0:1], 0
	s_lshl_b32 s0, s2, 2
	s_cvt_f32_u32 s3, s6
	s_cvt_f32_u32 s4, s7
	s_add_co_i32 s0, s15, s0
	v_cvt_f32_u32_e32 v4, s16
	s_wait_kmcnt 0x0
	global_load_b32 v1, v2, s[8:9] scale_offset
	s_fmamk_f32 s3, s4, 0x4f800000, s3
	s_ashr_i32 s1, s0, 31
	s_lshl_b32 s24, s16, 4
	s_lshl_b64 s[0:1], s[0:1], 3
	v_s_rcp_f32 s3, s3
	s_add_nc_u64 s[0:1], s[10:11], s[0:1]
	v_rcp_iflag_f32_e32 v4, v4
	s_load_b64 s[28:29], s[0:1], 0x0
	s_mov_b32 s25, 0
	v_mad_u32 v6, 0x48, s15, v0
	v_ashrrev_i32_e32 v3, 31, v2
	s_wait_xcnt 0x0
	s_lshl_b64 s[0:1], s[24:25], 2
	s_mul_f32 s3, s3, 0x5f7ffffc
	v_mul_f32_e32 v4, 0x4f7ffffe, v4
	s_add_nc_u64 s[26:27], s[10:11], s[0:1]
	v_lshl_add_u64 v[2:3], v[2:3], 2, s[8:9]
	s_mul_f32 s4, s3, 0x2f800000
	s_mov_b64 s[8:9], 0xffffffff
	v_cvt_u32_f32_e32 v7, v4
	s_add_co_i32 s36, s2, -1
	s_trunc_f32 s4, s4
	s_sub_nc_u64 s[34:35], 0, s[6:7]
	s_delay_alu instid0(SALU_CYCLE_2)
	s_fmamk_f32 s0, s4, 0xcf800000, s3
	s_cvt_u32_f32 s31, s4
	s_wait_kmcnt 0x0
	v_mov_b32_e32 v0, s29
	s_cvt_u32_f32 s30, s0
.LBB48_9:                               ; =>This Inner Loop Header: Depth=1
	s_ashr_i32 s37, s36, 31
                                        ; implicit-def: $sgpr40_sgpr41
	s_delay_alu instid0(SALU_CYCLE_1) | instskip(NEXT) | instid1(SALU_CYCLE_1)
	s_mul_u64 s[0:1], s[36:37], s[18:19]
	s_and_b64 s[2:3], s[0:1], 0xffffffff00000000
	s_delay_alu instid0(SALU_CYCLE_1)
	s_cmp_lg_u64 s[2:3], 0
	s_mov_b32 s2, -1
	s_cbranch_scc0 .LBB48_11
; %bb.10:                               ;   in Loop: Header=BB48_9 Depth=1
	s_mul_u64 s[2:3], s[34:35], s[30:31]
	s_delay_alu instid0(SALU_CYCLE_1)
	s_mul_hi_u32 s5, s30, s3
	s_mul_i32 s4, s30, s3
	s_mul_hi_u32 s24, s30, s2
	s_mul_hi_u32 s17, s31, s2
	s_add_nc_u64 s[4:5], s[24:25], s[4:5]
	s_mul_i32 s2, s31, s2
	s_mul_hi_u32 s21, s31, s3
	s_add_co_u32 s2, s4, s2
	s_add_co_ci_u32 s24, s5, s17
	s_add_co_ci_u32 s5, s21, 0
	s_mul_i32 s4, s31, s3
	s_delay_alu instid0(SALU_CYCLE_1) | instskip(NEXT) | instid1(SALU_CYCLE_1)
	s_add_nc_u64 s[2:3], s[24:25], s[4:5]
	s_add_co_u32 s2, s30, s2
	s_cselect_b32 s4, -1, 0
	s_delay_alu instid0(SALU_CYCLE_1) | instskip(SKIP_1) | instid1(SALU_CYCLE_1)
	s_cmp_lg_u32 s4, 0
	s_add_co_ci_u32 s3, s31, s3
	s_mul_u64 s[4:5], s[34:35], s[2:3]
	s_delay_alu instid0(SALU_CYCLE_1)
	s_mul_hi_u32 s39, s2, s5
	s_mul_i32 s38, s2, s5
	s_mul_hi_u32 s24, s2, s4
	s_mul_hi_u32 s17, s3, s4
	s_mul_i32 s4, s3, s4
	s_add_nc_u64 s[38:39], s[24:25], s[38:39]
	s_mul_hi_u32 s21, s3, s5
	s_add_co_u32 s4, s38, s4
	s_add_co_ci_u32 s24, s39, s17
	s_mul_i32 s4, s3, s5
	s_add_co_ci_u32 s5, s21, 0
	s_delay_alu instid0(SALU_CYCLE_1) | instskip(NEXT) | instid1(SALU_CYCLE_1)
	s_add_nc_u64 s[4:5], s[24:25], s[4:5]
	s_add_co_u32 s17, s2, s4
	s_cselect_b32 s2, -1, 0
	s_delay_alu instid0(SALU_CYCLE_1) | instskip(SKIP_2) | instid1(SALU_CYCLE_1)
	s_cmp_lg_u32 s2, 0
	s_add_co_ci_u32 s21, s3, s5
	s_ashr_i32 s2, s1, 31
	s_mov_b32 s3, s2
	s_delay_alu instid0(SALU_CYCLE_1) | instskip(NEXT) | instid1(SALU_CYCLE_1)
	s_add_nc_u64 s[4:5], s[0:1], s[2:3]
	s_xor_b64 s[4:5], s[4:5], s[2:3]
	s_delay_alu instid0(SALU_CYCLE_1)
	s_mul_hi_u32 s39, s4, s21
	s_mul_i32 s38, s4, s21
	s_mul_hi_u32 s24, s4, s17
	s_mul_hi_u32 s29, s5, s17
	s_mul_i32 s17, s5, s17
	s_add_nc_u64 s[38:39], s[24:25], s[38:39]
	s_mul_hi_u32 s1, s5, s21
	s_add_co_u32 s17, s38, s17
	s_add_co_ci_u32 s24, s39, s29
	s_mul_i32 s40, s5, s21
	s_add_co_ci_u32 s41, s1, 0
	s_delay_alu instid0(SALU_CYCLE_1) | instskip(NEXT) | instid1(SALU_CYCLE_1)
	s_add_nc_u64 s[38:39], s[24:25], s[40:41]
	s_and_b64 s[40:41], s[38:39], 0xffffffff00000000
	s_delay_alu instid0(SALU_CYCLE_1) | instskip(NEXT) | instid1(SALU_CYCLE_1)
	s_or_b32 s40, s40, s38
	s_mul_u64 s[38:39], s[6:7], s[40:41]
	s_add_nc_u64 s[42:43], s[40:41], 1
	s_sub_co_u32 s1, s4, s38
	s_cselect_b32 s4, -1, 0
	s_sub_co_i32 s17, s5, s39
	s_cmp_lg_u32 s4, 0
	s_add_nc_u64 s[44:45], s[40:41], 2
	s_sub_co_ci_u32 s17, s17, s7
	s_sub_co_u32 s21, s1, s6
	s_cselect_b32 s24, -1, 0
	s_delay_alu instid0(SALU_CYCLE_1) | instskip(SKIP_1) | instid1(SALU_CYCLE_1)
	s_cmp_lg_u32 s24, 0
	s_sub_co_ci_u32 s17, s17, 0
	s_cmp_ge_u32 s17, s7
	s_cselect_b32 s24, -1, 0
	s_cmp_ge_u32 s21, s6
	s_cselect_b32 s21, -1, 0
	s_cmp_eq_u32 s17, s7
	s_cselect_b32 s17, s21, s24
	s_delay_alu instid0(SALU_CYCLE_1) | instskip(SKIP_4) | instid1(SALU_CYCLE_1)
	s_cmp_lg_u32 s17, 0
	s_cselect_b32 s17, s44, s42
	s_cselect_b32 s21, s45, s43
	s_cmp_lg_u32 s4, 0
	s_sub_co_ci_u32 s4, s5, s39
	s_cmp_ge_u32 s4, s7
	s_cselect_b32 s5, -1, 0
	s_cmp_ge_u32 s1, s6
	s_cselect_b32 s1, -1, 0
	s_cmp_eq_u32 s4, s7
	s_cselect_b32 s1, s1, s5
	s_delay_alu instid0(SALU_CYCLE_1) | instskip(SKIP_3) | instid1(SALU_CYCLE_1)
	s_cmp_lg_u32 s1, 0
	s_cselect_b32 s5, s21, s41
	s_cselect_b32 s4, s17, s40
	s_xor_b64 s[2:3], s[2:3], 0
	s_xor_b64 s[4:5], s[4:5], s[2:3]
	s_delay_alu instid0(SALU_CYCLE_1)
	s_sub_nc_u64 s[40:41], s[4:5], s[2:3]
	s_mov_b32 s2, 0
.LBB48_11:                              ;   in Loop: Header=BB48_9 Depth=1
	s_delay_alu instid0(SALU_CYCLE_1)
	s_and_not1_b32 vcc_lo, exec_lo, s2
	s_cbranch_vccnz .LBB48_13
; %bb.12:                               ;   in Loop: Header=BB48_9 Depth=1
	v_readfirstlane_b32 s1, v7
	s_sub_co_i32 s2, 0, s16
	s_delay_alu instid0(SALU_CYCLE_1) | instskip(NEXT) | instid1(SALU_CYCLE_1)
	s_mul_i32 s2, s2, s1
	s_mul_hi_u32 s2, s1, s2
	s_delay_alu instid0(SALU_CYCLE_1) | instskip(NEXT) | instid1(SALU_CYCLE_1)
	s_add_co_i32 s1, s1, s2
	s_mul_hi_u32 s1, s0, s1
	s_delay_alu instid0(SALU_CYCLE_1) | instskip(NEXT) | instid1(SALU_CYCLE_1)
	s_mul_i32 s2, s1, s16
	s_sub_co_i32 s0, s0, s2
	s_add_co_i32 s2, s1, 1
	s_sub_co_i32 s3, s0, s16
	s_cmp_ge_u32 s0, s16
	s_cselect_b32 s1, s2, s1
	s_cselect_b32 s0, s3, s0
	s_add_co_i32 s2, s1, 1
	s_cmp_ge_u32 s0, s16
	s_cselect_b32 s24, s2, s1
	s_delay_alu instid0(SALU_CYCLE_1)
	s_mov_b64 s[40:41], s[24:25]
.LBB48_13:                              ;   in Loop: Header=BB48_9 Depth=1
	s_delay_alu instid0(SALU_CYCLE_1)
	s_cmp_lg_u32 s20, s40
	s_mov_b32 s0, -1
                                        ; implicit-def: $vgpr4_vgpr5
                                        ; implicit-def: $sgpr24
                                        ; implicit-def: $sgpr17
                                        ; implicit-def: $sgpr21
                                        ; implicit-def: $sgpr29
	s_cbranch_scc0 .LBB48_18
; %bb.14:                               ;   in Loop: Header=BB48_9 Depth=1
	s_add_co_i32 s0, s36, s16
	v_max_num_f32_e64 v4, s28, s28
	s_lshl_b32 s0, s0, 2
	s_mov_b32 s29, s20
	s_add_co_i32 s0, s0, s15
	s_load_b64 s[38:39], s[10:11], s0 offset:0x0 scale_offset
	s_wait_xcnt 0x0
	v_readfirstlane_b32 s0, v4
	s_wait_kmcnt 0x0
	v_max_num_f32_e64 v5, s38, s38
	s_delay_alu instid0(VALU_DEP_1) | instskip(SKIP_1) | instid1(SALU_CYCLE_3)
	v_readfirstlane_b32 s1, v5
	s_max_num_f32 s17, s0, s1
	s_sub_f32 s33, s28, s17
	s_sub_f32 s37, s38, s17
	s_delay_alu instid0(SALU_CYCLE_2)
	s_cmp_nlt_f32 s33, 0xc2ce8ed0
	s_cselect_b32 s1, -1, 0
	s_cmp_ngt_f32 s33, 0x42b17218
	s_cselect_b32 s2, -1, 0
	s_cmp_ge_f32 s33, 0xc1a00000
	s_cselect_b32 s0, -1, 0
	s_cmp_nlt_f32 s37, 0xc2ce8ed0
	s_cselect_b32 s3, -1, 0
	s_cmp_ngt_f32 s37, 0x42b17218
	s_cselect_b32 s4, -1, 0
	s_cmp_ge_f32 s37, 0xc1a00000
	s_cselect_b32 s5, -1, 0
	s_and_b64 s[42:43], s[40:41], s[8:9]
	s_delay_alu instid0(SALU_CYCLE_1) | instskip(NEXT) | instid1(SALU_CYCLE_1)
	s_mul_u64 s[42:43], s[42:43], s[22:23]
	s_add_co_i32 s21, s43, s40
	s_delay_alu instid0(SALU_CYCLE_1) | instskip(NEXT) | instid1(SALU_CYCLE_1)
	s_lshr_b32 s21, s21, s13
	s_mul_i32 s24, s21, s14
	s_delay_alu instid0(SALU_CYCLE_1) | instskip(SKIP_3) | instid1(SALU_CYCLE_1)
	s_cmp_eq_u32 s24, s40
	s_cselect_b32 s24, -1, 0
	s_cmp_lt_u32 s21, s12
	s_cselect_b32 s21, -1, 0
	s_or_b32 s21, s21, s24
	s_mov_b32 s24, -1
	s_and_b32 vcc_lo, exec_lo, s21
	s_mov_b32 s21, s36
	s_cbranch_vccnz .LBB48_16
; %bb.15:                               ;   in Loop: Header=BB48_9 Depth=1
	s_add_co_i32 s21, s36, -1
	s_mov_b32 s24, 0
	s_mov_b32 s29, s40
.LBB48_16:                              ;   in Loop: Header=BB48_9 Depth=1
	v_mad_u32 v4, 0x120, s36, v6
	s_mul_f32 s40, s33, 0x3fb8aa3b
	s_mul_f32 s38, s37, 0x3fb8aa3b
	s_delay_alu instid0(SALU_CYCLE_2)
	s_xor_b32 s42, s40, 0x80000000
	s_rndne_f32 s44, s40
	s_fmamk_f32 s42, s33, 0x3fb8aa3b, s42
	s_xor_b32 s41, s38, 0x80000000
	s_rndne_f32 s43, s38
	s_sub_f32 s40, s40, s44
	global_load_b32 v5, v4, s[26:27] scale_offset
	s_fmamk_f32 s33, s33, 0x32a5705f, s42
	s_fmamk_f32 s41, s37, 0x3fb8aa3b, s41
	s_sub_f32 s38, s38, s43
	s_delay_alu instid0(SALU_CYCLE_1) | instskip(NEXT) | instid1(SALU_CYCLE_1)
	s_add_f32 s33, s40, s33
	s_fmamk_f32 s37, s37, 0x32a5705f, s41
	s_cvt_i32_f32 s40, s44
	s_delay_alu instid0(SALU_CYCLE_1) | instskip(NEXT) | instid1(SALU_CYCLE_1)
	v_s_exp_f32 s33, s33
	s_add_f32 s37, s38, s37
	s_cvt_i32_f32 s38, s43
	s_delay_alu instid0(SALU_CYCLE_2) | instskip(NEXT) | instid1(TRANS32_DEP_2)
	v_s_exp_f32 s37, s37
	v_ldexp_f32 v8, s33, s40
	s_wait_xcnt 0x0
	s_delay_alu instid0(TRANS32_DEP_1) | instskip(NEXT) | instid1(VALU_DEP_2)
	v_ldexp_f32 v4, s37, s38
	v_cndmask_b32_e64 v8, 0, v8, s1
	s_delay_alu instid0(VALU_DEP_1) | instskip(NEXT) | instid1(VALU_DEP_1)
	v_cndmask_b32_e64 v9, 0x7f800000, v8, s2
	v_dual_cndmask_b32 v4, 0, v4, s3 :: v_dual_cndmask_b32 v10, 0, v9, s0
	s_delay_alu instid0(VALU_DEP_1) | instskip(NEXT) | instid1(VALU_DEP_1)
	v_cndmask_b32_e64 v4, 0x7f800000, v4, s4
	v_dual_cndmask_b32 v8, 0, v4, s5 :: v_dual_mov_b32 v4, s39
	s_wait_loadcnt 0x0
	s_delay_alu instid0(VALU_DEP_1) | instskip(NEXT) | instid1(VALU_DEP_1)
	v_pk_mul_f32 v[4:5], v[4:5], v[8:9] op_sel_hi:[1,0]
	v_pk_fma_f32 v[4:5], v[0:1], v[10:11], v[4:5] op_sel_hi:[1,0,1]
	s_cbranch_execz .LBB48_19
.LBB48_17:                              ;   in Loop: Header=BB48_9 Depth=1
	s_and_not1_b32 vcc_lo, exec_lo, s24
	s_cbranch_vccnz .LBB48_20
	s_branch .LBB48_23
.LBB48_18:                              ;   in Loop: Header=BB48_9 Depth=1
	s_and_not1_b32 vcc_lo, exec_lo, s0
	s_cbranch_vccnz .LBB48_17
.LBB48_19:                              ;   in Loop: Header=BB48_9 Depth=1
	s_wait_loadcnt 0x0
	v_mov_b64_e32 v[4:5], v[0:1]
	s_add_co_i32 s21, s36, -1
	s_mov_b32 s29, s20
	s_mov_b32 s17, s28
	s_cbranch_execz .LBB48_23
.LBB48_20:                              ;   in Loop: Header=BB48_9 Depth=1
	s_wait_loadcnt 0x0
	s_delay_alu instid0(VALU_DEP_1)
	v_mov_b64_e32 v[0:1], v[4:5]
	s_mov_b32 s20, s29
	s_mov_b32 s36, s21
	;; [unrolled: 1-line block ×3, first 2 shown]
	s_branch .LBB48_9
.LBB48_21:
                                        ; implicit-def: $sgpr20_sgpr21
	s_branch .LBB48_2
.LBB48_22:
                                        ; implicit-def: $sgpr24_sgpr25
	s_load_b96 s[12:14], s[0:1], 0x44
	s_branch .LBB48_5
.LBB48_23:
	s_delay_alu instid0(VALU_DEP_1) | instskip(SKIP_1) | instid1(VALU_DEP_1)
	v_div_scale_f32 v0, null, v4, v4, v5
	s_wait_loadcnt 0x0
	v_rcp_f32_e32 v1, v0
	v_nop
	s_delay_alu instid0(TRANS32_DEP_1) | instskip(NEXT) | instid1(VALU_DEP_1)
	v_fma_f32 v6, -v0, v1, 1.0
	v_fmac_f32_e32 v1, v6, v1
	v_div_scale_f32 v6, vcc_lo, v5, v4, v5
	s_delay_alu instid0(VALU_DEP_1) | instskip(NEXT) | instid1(VALU_DEP_1)
	v_mul_f32_e32 v7, v6, v1
	v_fma_f32 v8, -v0, v7, v6
	s_delay_alu instid0(VALU_DEP_1) | instskip(NEXT) | instid1(VALU_DEP_1)
	v_fmac_f32_e32 v7, v8, v1
	v_fma_f32 v0, -v0, v7, v6
	s_delay_alu instid0(VALU_DEP_1) | instskip(NEXT) | instid1(VALU_DEP_1)
	v_div_fmas_f32 v0, v0, v1, v7
	v_div_fixup_f32 v0, v0, v4, v5
	global_store_b32 v[2:3], v0, off
.LBB48_24:
	s_endpgm
	.section	.rodata,"a",@progbits
	.p2align	6, 0x0
	.amdhsa_kernel _ZL33flash_attn_stream_k_fixup_generalILi72ELi2ELi2EEvPfPK15HIP_vector_typeIfLj2EEiiiiS1_IjLj3EES5_S5_S5_
		.amdhsa_group_segment_fixed_size 0
		.amdhsa_private_segment_fixed_size 0
		.amdhsa_kernarg_size 336
		.amdhsa_user_sgpr_count 2
		.amdhsa_user_sgpr_dispatch_ptr 0
		.amdhsa_user_sgpr_queue_ptr 0
		.amdhsa_user_sgpr_kernarg_segment_ptr 1
		.amdhsa_user_sgpr_dispatch_id 0
		.amdhsa_user_sgpr_kernarg_preload_length 0
		.amdhsa_user_sgpr_kernarg_preload_offset 0
		.amdhsa_user_sgpr_private_segment_size 0
		.amdhsa_wavefront_size32 1
		.amdhsa_uses_dynamic_stack 0
		.amdhsa_enable_private_segment 0
		.amdhsa_system_sgpr_workgroup_id_x 1
		.amdhsa_system_sgpr_workgroup_id_y 1
		.amdhsa_system_sgpr_workgroup_id_z 1
		.amdhsa_system_sgpr_workgroup_info 0
		.amdhsa_system_vgpr_workitem_id 0
		.amdhsa_next_free_vgpr 12
		.amdhsa_next_free_sgpr 46
		.amdhsa_named_barrier_count 0
		.amdhsa_reserve_vcc 1
		.amdhsa_float_round_mode_32 0
		.amdhsa_float_round_mode_16_64 0
		.amdhsa_float_denorm_mode_32 3
		.amdhsa_float_denorm_mode_16_64 3
		.amdhsa_fp16_overflow 0
		.amdhsa_memory_ordered 1
		.amdhsa_forward_progress 1
		.amdhsa_inst_pref_size 27
		.amdhsa_round_robin_scheduling 0
		.amdhsa_exception_fp_ieee_invalid_op 0
		.amdhsa_exception_fp_denorm_src 0
		.amdhsa_exception_fp_ieee_div_zero 0
		.amdhsa_exception_fp_ieee_overflow 0
		.amdhsa_exception_fp_ieee_underflow 0
		.amdhsa_exception_fp_ieee_inexact 0
		.amdhsa_exception_int_div_zero 0
	.end_amdhsa_kernel
	.section	.text._ZL33flash_attn_stream_k_fixup_generalILi72ELi2ELi2EEvPfPK15HIP_vector_typeIfLj2EEiiiiS1_IjLj3EES5_S5_S5_,"axG",@progbits,_ZL33flash_attn_stream_k_fixup_generalILi72ELi2ELi2EEvPfPK15HIP_vector_typeIfLj2EEiiiiS1_IjLj3EES5_S5_S5_,comdat
.Lfunc_end48:
	.size	_ZL33flash_attn_stream_k_fixup_generalILi72ELi2ELi2EEvPfPK15HIP_vector_typeIfLj2EEiiiiS1_IjLj3EES5_S5_S5_, .Lfunc_end48-_ZL33flash_attn_stream_k_fixup_generalILi72ELi2ELi2EEvPfPK15HIP_vector_typeIfLj2EEiiiiS1_IjLj3EES5_S5_S5_
                                        ; -- End function
	.set _ZL33flash_attn_stream_k_fixup_generalILi72ELi2ELi2EEvPfPK15HIP_vector_typeIfLj2EEiiiiS1_IjLj3EES5_S5_S5_.num_vgpr, 12
	.set _ZL33flash_attn_stream_k_fixup_generalILi72ELi2ELi2EEvPfPK15HIP_vector_typeIfLj2EEiiiiS1_IjLj3EES5_S5_S5_.num_agpr, 0
	.set _ZL33flash_attn_stream_k_fixup_generalILi72ELi2ELi2EEvPfPK15HIP_vector_typeIfLj2EEiiiiS1_IjLj3EES5_S5_S5_.numbered_sgpr, 46
	.set _ZL33flash_attn_stream_k_fixup_generalILi72ELi2ELi2EEvPfPK15HIP_vector_typeIfLj2EEiiiiS1_IjLj3EES5_S5_S5_.num_named_barrier, 0
	.set _ZL33flash_attn_stream_k_fixup_generalILi72ELi2ELi2EEvPfPK15HIP_vector_typeIfLj2EEiiiiS1_IjLj3EES5_S5_S5_.private_seg_size, 0
	.set _ZL33flash_attn_stream_k_fixup_generalILi72ELi2ELi2EEvPfPK15HIP_vector_typeIfLj2EEiiiiS1_IjLj3EES5_S5_S5_.uses_vcc, 1
	.set _ZL33flash_attn_stream_k_fixup_generalILi72ELi2ELi2EEvPfPK15HIP_vector_typeIfLj2EEiiiiS1_IjLj3EES5_S5_S5_.uses_flat_scratch, 0
	.set _ZL33flash_attn_stream_k_fixup_generalILi72ELi2ELi2EEvPfPK15HIP_vector_typeIfLj2EEiiiiS1_IjLj3EES5_S5_S5_.has_dyn_sized_stack, 0
	.set _ZL33flash_attn_stream_k_fixup_generalILi72ELi2ELi2EEvPfPK15HIP_vector_typeIfLj2EEiiiiS1_IjLj3EES5_S5_S5_.has_recursion, 0
	.set _ZL33flash_attn_stream_k_fixup_generalILi72ELi2ELi2EEvPfPK15HIP_vector_typeIfLj2EEiiiiS1_IjLj3EES5_S5_S5_.has_indirect_call, 0
	.section	.AMDGPU.csdata,"",@progbits
; Kernel info:
; codeLenInByte = 3352
; TotalNumSgprs: 48
; NumVgprs: 12
; ScratchSize: 0
; MemoryBound: 0
; FloatMode: 240
; IeeeMode: 1
; LDSByteSize: 0 bytes/workgroup (compile time only)
; SGPRBlocks: 0
; VGPRBlocks: 0
; NumSGPRsForWavesPerEU: 48
; NumVGPRsForWavesPerEU: 12
; NamedBarCnt: 0
; Occupancy: 16
; WaveLimiterHint : 0
; COMPUTE_PGM_RSRC2:SCRATCH_EN: 0
; COMPUTE_PGM_RSRC2:USER_SGPR: 2
; COMPUTE_PGM_RSRC2:TRAP_HANDLER: 0
; COMPUTE_PGM_RSRC2:TGID_X_EN: 1
; COMPUTE_PGM_RSRC2:TGID_Y_EN: 1
; COMPUTE_PGM_RSRC2:TGID_Z_EN: 1
; COMPUTE_PGM_RSRC2:TIDIG_COMP_CNT: 0
	.section	.text._ZL15flash_attn_tileILi72ELi72ELi1ELi2ELb0EEvPKcS1_S1_S1_S1_PKiPfP15HIP_vector_typeIfLj2EEffffjfiS5_IjLj3EEiiiiiiiiiiiliiliiiiil,"axG",@progbits,_ZL15flash_attn_tileILi72ELi72ELi1ELi2ELb0EEvPKcS1_S1_S1_S1_PKiPfP15HIP_vector_typeIfLj2EEffffjfiS5_IjLj3EEiiiiiiiiiiiliiliiiiil,comdat
	.globl	_ZL15flash_attn_tileILi72ELi72ELi1ELi2ELb0EEvPKcS1_S1_S1_S1_PKiPfP15HIP_vector_typeIfLj2EEffffjfiS5_IjLj3EEiiiiiiiiiiiliiliiiiil ; -- Begin function _ZL15flash_attn_tileILi72ELi72ELi1ELi2ELb0EEvPKcS1_S1_S1_S1_PKiPfP15HIP_vector_typeIfLj2EEffffjfiS5_IjLj3EEiiiiiiiiiiiliiliiiiil
	.p2align	8
	.type	_ZL15flash_attn_tileILi72ELi72ELi1ELi2ELb0EEvPKcS1_S1_S1_S1_PKiPfP15HIP_vector_typeIfLj2EEffffjfiS5_IjLj3EEiiiiiiiiiiiliiliiiiil,@function
_ZL15flash_attn_tileILi72ELi72ELi1ELi2ELb0EEvPKcS1_S1_S1_S1_PKiPfP15HIP_vector_typeIfLj2EEffffjfiS5_IjLj3EEiiiiiiiiiiiliiliiiiil: ; @_ZL15flash_attn_tileILi72ELi72ELi1ELi2ELb0EEvPKcS1_S1_S1_S1_PKiPfP15HIP_vector_typeIfLj2EEffffjfiS5_IjLj3EEiiiiiiiiiiiliiliiiiil
; %bb.0:
	s_clause 0x1
	s_load_b128 s[20:23], s[0:1], 0x5c
	s_load_b64 s[30:31], s[0:1], 0x80
	s_bfe_u32 s5, ttmp6, 0x40014
	s_lshr_b32 s4, ttmp7, 16
	s_add_co_i32 s5, s5, 1
	s_bfe_u32 s6, ttmp6, 0x40008
	s_mul_i32 s5, s4, s5
	s_getreg_b32 s24, hwreg(HW_REG_IB_STS2, 6, 4)
	s_add_co_i32 s6, s6, s5
	s_mov_b32 s37, 0
	s_mov_b64 s[34:35], 0
	s_wait_kmcnt 0x0
	s_lshr_b32 s2, s23, 31
	s_delay_alu instid0(SALU_CYCLE_1) | instskip(NEXT) | instid1(SALU_CYCLE_1)
	s_add_co_i32 s2, s23, s2
	s_ashr_i32 s2, s2, 1
	s_delay_alu instid0(SALU_CYCLE_1) | instskip(SKIP_1) | instid1(SALU_CYCLE_2)
	s_cvt_f32_u32 s3, s2
	s_sub_co_i32 s7, 0, s2
	v_rcp_iflag_f32_e32 v1, s3
	v_nop
	s_delay_alu instid0(TRANS32_DEP_1) | instskip(SKIP_1) | instid1(SALU_CYCLE_3)
	v_readfirstlane_b32 s3, v1
	s_mul_f32 s3, s3, 0x4f7ffffe
	s_cvt_u32_f32 s3, s3
	s_delay_alu instid0(SALU_CYCLE_3) | instskip(NEXT) | instid1(SALU_CYCLE_1)
	s_mul_i32 s7, s7, s3
	s_mul_hi_u32 s7, s3, s7
	s_delay_alu instid0(SALU_CYCLE_1) | instskip(SKIP_2) | instid1(SALU_CYCLE_1)
	s_add_co_i32 s3, s3, s7
	s_cmp_eq_u32 s24, 0
	s_cselect_b32 s4, s4, s6
	s_mul_hi_u32 s3, s4, s3
	s_delay_alu instid0(SALU_CYCLE_1) | instskip(SKIP_2) | instid1(SALU_CYCLE_1)
	s_mul_i32 s5, s3, s2
	s_add_co_i32 s6, s3, 1
	s_sub_co_i32 s5, s4, s5
	s_sub_co_i32 s7, s5, s2
	s_cmp_ge_u32 s5, s2
	s_cselect_b32 s3, s6, s3
	s_cselect_b32 s5, s7, s5
	s_add_co_i32 s6, s3, 1
	s_cmp_ge_u32 s5, s2
	s_cselect_b32 s28, s6, s3
	s_abs_i32 s2, s31
	s_abs_i32 s6, s23
	s_cvt_f32_u32 s3, s2
	s_sub_co_i32 s5, 0, s2
	s_lshl_b32 s25, s4, 1
	s_xor_b32 s4, s23, s31
	v_rcp_iflag_f32_e32 v1, s3
	s_ashr_i32 s26, s4, 31
	v_nop
	s_delay_alu instid0(TRANS32_DEP_1) | instskip(SKIP_1) | instid1(SALU_CYCLE_3)
	v_readfirstlane_b32 s3, v1
	s_mul_f32 s3, s3, 0x4f7ffffe
	s_cvt_u32_f32 s3, s3
	s_delay_alu instid0(SALU_CYCLE_3) | instskip(NEXT) | instid1(SALU_CYCLE_1)
	s_mul_i32 s5, s5, s3
	s_mul_hi_u32 s5, s3, s5
	s_delay_alu instid0(SALU_CYCLE_1) | instskip(NEXT) | instid1(SALU_CYCLE_1)
	s_add_co_i32 s3, s3, s5
	s_mul_hi_u32 s3, s6, s3
	s_delay_alu instid0(SALU_CYCLE_1) | instskip(NEXT) | instid1(SALU_CYCLE_1)
	s_mul_i32 s5, s3, s2
	s_sub_co_i32 s4, s6, s5
	s_add_co_i32 s5, s3, 1
	s_sub_co_i32 s6, s4, s2
	s_cmp_ge_u32 s4, s2
	s_cselect_b32 s3, s5, s3
	s_cselect_b32 s4, s6, s4
	s_add_co_i32 s5, s3, 1
	s_cmp_ge_u32 s4, s2
	s_cselect_b32 s2, s5, s3
	s_load_b512 s[4:19], s[0:1], 0x0
	s_xor_b32 s27, s2, s26
	s_load_b64 s[2:3], s[0:1], 0xb8
	s_sub_co_i32 s29, s27, s26
	s_delay_alu instid0(SALU_CYCLE_1) | instskip(NEXT) | instid1(SALU_CYCLE_1)
	s_abs_i32 s39, s29
	s_cvt_f32_u32 s26, s39
	s_delay_alu instid0(SALU_CYCLE_3) | instskip(SKIP_2) | instid1(TRANS32_DEP_1)
	v_rcp_iflag_f32_e32 v1, s26
	s_mul_i32 s26, s28, s23
	v_nop
	v_readfirstlane_b32 s36, v1
	s_wait_kmcnt 0x0
	s_cmp_eq_u64 s[10:11], 0
	s_cbranch_scc1 .LBB49_2
; %bb.1:
	s_abs_i32 s2, s2
	s_abs_i32 s33, s28
	s_cvt_f32_u32 s27, s2
	s_sub_co_i32 s31, 0, s2
	s_load_b64 s[34:35], s[0:1], 0xc8
	s_delay_alu instid0(SALU_CYCLE_1) | instskip(SKIP_1) | instid1(TRANS32_DEP_1)
	v_rcp_iflag_f32_e32 v1, s27
	v_nop
	v_readfirstlane_b32 s27, v1
	s_mul_f32 s27, s27, 0x4f7ffffe
	s_delay_alu instid0(SALU_CYCLE_3) | instskip(NEXT) | instid1(SALU_CYCLE_3)
	s_cvt_u32_f32 s27, s27
	s_mul_i32 s31, s31, s27
	s_delay_alu instid0(SALU_CYCLE_1) | instskip(NEXT) | instid1(SALU_CYCLE_1)
	s_mul_hi_u32 s31, s27, s31
	s_add_co_i32 s27, s27, s31
	s_ashr_i32 s31, s28, 31
	s_mul_hi_u32 s27, s33, s27
	s_delay_alu instid0(SALU_CYCLE_1) | instskip(NEXT) | instid1(SALU_CYCLE_1)
	s_mul_i32 s27, s27, s2
	s_sub_co_i32 s27, s33, s27
	s_delay_alu instid0(SALU_CYCLE_1) | instskip(SKIP_2) | instid1(SALU_CYCLE_1)
	s_sub_co_i32 s33, s27, s2
	s_cmp_ge_u32 s27, s2
	s_cselect_b32 s27, s33, s27
	s_sub_co_i32 s33, s27, s2
	s_cmp_ge_u32 s27, s2
	s_cselect_b32 s2, s33, s27
	s_delay_alu instid0(SALU_CYCLE_1) | instskip(NEXT) | instid1(SALU_CYCLE_1)
	s_xor_b32 s2, s2, s31
	s_sub_co_i32 s40, s2, s31
	s_delay_alu instid0(SALU_CYCLE_1) | instskip(SKIP_2) | instid1(SALU_CYCLE_1)
	s_ashr_i32 s41, s40, 31
	s_wait_kmcnt 0x0
	s_mul_u64 s[34:35], s[34:35], s[40:41]
	s_add_nc_u64 s[34:35], s[10:11], s[34:35]
.LBB49_2:
	s_bfe_u32 s2, ttmp6, 0x4000c
	v_and_b32_e32 v26, 0x3ff, v0
	v_bfe_u32 v8, v0, 10, 10
	s_add_co_i32 s2, s2, 1
	s_and_b32 s10, ttmp6, 15
	s_mul_i32 s2, ttmp9, s2
	s_movk_i32 s11, 0x90
	s_sub_co_i32 s33, s25, s26
	s_add_co_i32 s10, s10, s2
	v_cmp_gt_u32_e64 s2, 18, v26
	v_mad_u32_u24 v25, v8, s11, 0x14e0
	v_dual_lshlrev_b32 v29, 3, v26 :: v_dual_bitop2_b32 v0, 1, v8 bitop3:0x40
	v_lshrrev_b32_e32 v27, 1, v8
	s_cmp_eq_u32 s24, 0
	s_cselect_b32 s31, ttmp9, s10
	s_and_saveexec_b32 s10, s2
	s_cbranch_execz .LBB49_4
; %bb.3:
	v_add_nc_u32_e32 v2, s31, v27
	s_load_b96 s[40:42], s[0:1], 0x70
	s_delay_alu instid0(VALU_DEP_1) | instskip(NEXT) | instid1(VALU_DEP_1)
	v_mul_hi_u32 v1, s20, v2
	v_add_nc_u32_e32 v1, v2, v1
	s_wait_kmcnt 0x0
	s_ashr_i32 s27, s41, 31
	s_delay_alu instid0(VALU_DEP_1)
	v_lshrrev_b32_e32 v1, s21, v1
	s_mov_b32 s26, s41
	s_mul_i32 s44, s33, s41
	s_lshr_b64 s[26:27], s[26:27], 2
	s_ashr_i32 s41, s40, 31
	v_mul_lo_u32 v6, v1, s22
	v_mov_b32_e32 v1, 0
	s_ashr_i32 s45, s44, 31
	s_delay_alu instid0(VALU_DEP_2) | instskip(NEXT) | instid1(VALU_DEP_2)
	v_sub_nc_u32_e32 v2, v2, v6
	v_dual_mov_b32 v3, v1 :: v_dual_lshlrev_b32 v6, 4, v26
	v_mov_b32_e32 v7, v1
	v_mul_u64_e32 v[4:5], s[26:27], v[0:1]
	s_lshr_b64 s[26:27], s[40:41], 2
	s_delay_alu instid0(VALU_DEP_3) | instid1(SALU_CYCLE_1)
	v_mul_u64_e32 v[2:3], s[26:27], v[2:3]
	s_mul_i32 s26, s28, s42
	s_delay_alu instid0(SALU_CYCLE_1) | instskip(NEXT) | instid1(SALU_CYCLE_1)
	s_ashr_i32 s27, s26, 31
	s_add_nc_u64 s[4:5], s[4:5], s[26:27]
	s_delay_alu instid0(SALU_CYCLE_1)
	s_add_nc_u64 s[4:5], s[4:5], s[44:45]
	s_delay_alu instid0(VALU_DEP_2) | instid1(SALU_CYCLE_1)
	v_lshl_add_u64 v[4:5], v[4:5], 2, s[4:5]
	s_load_b32 s4, s[0:1], 0x40
	s_delay_alu instid0(VALU_DEP_1) | instskip(NEXT) | instid1(VALU_DEP_1)
	v_lshl_add_u64 v[2:3], v[2:3], 2, v[4:5]
	v_add_nc_u64_e32 v[2:3], v[2:3], v[6:7]
	global_load_b128 v[2:5], v[2:3], off
	s_wait_loadcnt 0x0
	s_wait_kmcnt 0x0
	v_fma_mixlo_f16 v1, s4, v2, 0
	s_delay_alu instid0(VALU_DEP_1) | instskip(SKIP_1) | instid1(VALU_DEP_1)
	v_and_b32_e32 v1, 0xffff, v1
	v_mov_b32_e32 v2, v5
	v_pk_mul_f32 v[2:3], s[4:5], v[2:3] op_sel_hi:[0,1]
	s_delay_alu instid0(VALU_DEP_1) | instskip(SKIP_1) | instid1(VALU_DEP_2)
	v_cvt_pk_f16_f32 v2, v2, v3
	v_fma_mixlo_f16 v3, s4, v4, 0
	v_and_b32_e32 v4, 0xffff0000, v2
	s_delay_alu instid0(VALU_DEP_2) | instskip(NEXT) | instid1(VALU_DEP_2)
	v_and_b32_e32 v3, 0xffff, v3
	v_dual_lshlrev_b32 v2, 16, v2 :: v_dual_bitop2_b32 v1, v4, v1 bitop3:0x54
	v_add_nc_u32_e32 v4, v25, v29
	s_delay_alu instid0(VALU_DEP_2) | instskip(NEXT) | instid1(VALU_DEP_3)
	v_or3_b32 v3, v2, v3, 0
	v_or3_b32 v2, 0, 0, v1
	ds_store_b64 v4, v[2:3]
.LBB49_4:
	s_or_b32 exec_lo, exec_lo, s10
	s_cmp_eq_u64 s[14:15], 0
	s_wait_dscnt 0x0
	s_barrier_signal -1
	s_barrier_wait -1
	s_cbranch_scc1 .LBB49_6
; %bb.5:
	s_load_b32 s4, s[0:1], 0xd0
	s_wait_kmcnt 0x0
	s_mul_i32 s4, s4, s28
	s_delay_alu instid0(SALU_CYCLE_1)
	s_add_co_i32 s4, s4, s31
	s_load_b32 s30, s[14:15], s4 offset:0x0 scale_offset
.LBB49_6:
	s_wait_xcnt 0x0
	s_bfe_u32 s4, ttmp6, 0x40010
	s_and_b32 s5, ttmp7, 0xffff
	s_add_co_i32 s4, s4, 1
	s_bfe_u32 s10, ttmp6, 0x40004
	s_mul_i32 s4, s5, s4
	v_mbcnt_lo_u32_b32 v1, -1, 0
	s_add_co_i32 s10, s10, s4
	s_cmp_eq_u32 s24, 0
	s_cselect_b32 s38, s5, s10
	s_mov_b32 s5, 0
	s_lshl_b32 s4, s38, 5
	s_wait_kmcnt 0x0
	s_cmp_lt_i32 s4, s30
	s_cbranch_scc1 .LBB49_9
; %bb.7:
	v_mbcnt_lo_u32_b32 v2, -1, 0
	s_delay_alu instid0(VALU_DEP_1)
	v_dual_mov_b32 v30, 32 :: v_dual_bitop2_b32 v35, 16, v2 bitop3:0x14
	v_xor_b32_e32 v34, 8, v2
	v_xor_b32_e32 v33, 4, v2
	;; [unrolled: 1-line block ×4, first 2 shown]
	v_lshlrev_b32_e32 v28, 2, v26
	s_and_not1_b32 vcc_lo, exec_lo, s5
	s_cbranch_vccz .LBB49_10
; %bb.8:
	v_dual_mov_b32 v48, 0 :: v_dual_mov_b32 v50, 0
	v_dual_mov_b32 v24, 0xfeffffff :: v_dual_mov_b32 v49, 0
	s_branch .LBB49_18
.LBB49_9:
                                        ; implicit-def: $vgpr2
                                        ; implicit-def: $vgpr30
                                        ; implicit-def: $vgpr35
                                        ; implicit-def: $vgpr34
                                        ; implicit-def: $vgpr33
                                        ; implicit-def: $vgpr32
                                        ; implicit-def: $vgpr31
	v_lshlrev_b32_e32 v28, 2, v26
.LBB49_10:
	s_clause 0x1
	s_load_b64 s[14:15], s[0:1], 0x8c
	s_load_b128 s[24:27], s[0:1], 0x98
	s_mul_f32 s5, s36, 0x4f7ffffe
	s_sub_co_i32 s10, 0, s39
	s_abs_i32 s36, s33
	s_mov_b32 s11, s37
	s_cvt_u32_f32 s5, s5
	v_dual_lshrrev_b32 v2, 3, v26 :: v_dual_add_nc_u32 v13, s31, v27
	s_ashr_i32 s40, s33, 31
	s_delay_alu instid0(SALU_CYCLE_1)
	s_mul_i32 s10, s10, s5
	s_ashr_i32 s41, s29, 31
	s_mul_hi_u32 s10, s5, s10
	s_ashr_i32 s3, s3, 1
	s_add_co_i32 s10, s5, s10
	s_xor_b32 s5, s40, s41
	s_mul_u64 s[10:11], s[36:37], s[10:11]
	s_ashr_i32 s29, s28, 31
	s_mul_i32 s10, s11, s39
	s_add_co_i32 s40, s11, 1
	s_sub_co_i32 s41, s36, s10
	s_wait_kmcnt 0x0
	s_ashr_i32 s10, s26, 2
	s_ashr_i32 s14, s14, 2
	s_sub_co_i32 s26, s41, s39
	v_lshl_add_u32 v30, v8, 2, v2
	v_mul_hi_u32 v3, s20, v13
	s_cmp_ge_u32 s41, s39
	v_and_b32_e32 v24, 28, v28
	s_cselect_b32 s11, s40, s11
	s_cselect_b32 s26, s26, s41
	s_add_co_i32 s40, s11, 1
	v_mul_lo_u32 v2, s14, v30
	s_cmp_ge_u32 s26, s39
	s_mul_u64 s[24:25], s[24:25], s[28:29]
	s_cselect_b32 s11, s40, s11
	s_add_nc_u64 s[6:7], s[6:7], s[24:25]
	s_xor_b32 s11, s11, s5
	v_add_nc_u32_e32 v3, v13, v3
	s_sub_co_i32 s5, s11, s5
	v_lshlrev_b32_e32 v31, 2, v24
	s_mul_i32 s24, s5, s15
	s_mul_i32 s26, s5, s27
	s_lshl_b32 s5, s14, 3
	v_dual_mov_b32 v9, 0 :: v_dual_add_nc_u32 v19, 24, v30
	v_dual_add_nc_u32 v4, s5, v2 :: v_dual_lshrrev_b32 v3, s21, v3
	s_load_b64 s[36:37], s[0:1], 0xa8
	v_lshl_add_u32 v15, v8, 5, v26
	s_delay_alu instid0(VALU_DEP_3) | instskip(NEXT) | instid1(VALU_DEP_3)
	v_mul_lo_u32 v14, s10, v19
	v_add_nc_u32_e32 v6, s5, v4
	v_mul_lo_u32 v17, v3, s22
	v_ashrrev_i32_e32 v3, 31, v2
	v_mul_lo_u32 v12, s14, v15
	v_mul_lo_u32 v16, s10, v15
	;; [unrolled: 1-line block ×3, first 2 shown]
	v_dual_add_nc_u32 v10, s5, v6 :: v_dual_ashrrev_i32 v5, 31, v4
	v_lshl_add_u32 v38, v8, 6, 0x1600
	v_mad_u32_u24 v42, 0x90, v19, v31
	s_movk_i32 s5, 0x80
	s_ashr_i32 s25, s24, 31
	v_sub_nc_u32_e32 v17, v13, v17
	v_mad_u32_u24 v39, 0xa0, v15, s5
	s_movk_i32 s5, 0x90
	s_add_nc_u64 s[6:7], s[6:7], s[24:25]
	v_cmp_gt_u32_e32 vcc_lo, 32, v15
	v_mad_u32 v40, v17, s3, v26
	s_lshl_b32 s3, s10, 3
	s_wait_kmcnt 0x0
	s_mul_u64 s[24:25], s[36:37], s[28:29]
	v_subrev_nc_u32_e32 v18, s3, v14
	v_mad_u32_u24 v36, 0xa0, v30, v31
	v_dual_ashrrev_i32 v7, 31, v6 :: v_dual_ashrrev_i32 v13, 31, v12
	v_dual_ashrrev_i32 v11, 31, v10 :: v_dual_ashrrev_i32 v17, 31, v16
	s_delay_alu instid0(VALU_DEP_4)
	v_subrev_nc_u32_e32 v22, s3, v18
	v_mul_u32_u24_e32 v37, 0xa0, v26
	v_lshl_add_u32 v41, v26, 1, v38
	v_mad_u32_u24 v43, v15, s5, 0x80
	v_dual_ashrrev_i32 v15, 31, v14 :: v_dual_ashrrev_i32 v21, 31, v20
	v_dual_ashrrev_i32 v19, 31, v18 :: v_dual_lshlrev_b32 v8, 2, v24
	v_dual_mov_b32 v49, v9 :: v_dual_add_nc_u32 v44, 0xfffffb80, v42
	v_ashrrev_i32_e32 v23, 31, v22
	v_dual_mov_b32 v48, v9 :: v_dual_add_nc_u32 v45, 0xfffff700, v42
	v_mad_u32_u24 v46, 0x90, v30, v31
	v_dual_mov_b32 v51, 0xfeffffff :: v_dual_mov_b32 v30, 32
	v_dual_mov_b32 v47, v9 :: v_dual_bitop2_b32 v35, 16, v1 bitop3:0x14
	v_xor_b32_e32 v34, 8, v1
	v_xor_b32_e32 v33, 4, v1
	;; [unrolled: 1-line block ×4, first 2 shown]
	s_add_nc_u64 s[8:9], s[8:9], s[24:25]
	s_ashr_i32 s27, s26, 31
	s_ashr_i32 s15, s14, 31
	s_add_nc_u64 s[8:9], s[8:9], s[26:27]
	s_ashr_i32 s11, s10, 31
	s_add_nc_u64 s[20:21], s[0:1], 0xd0
.LBB49_11:                              ; =>This Inner Loop Header: Depth=1
	s_ashr_i32 s5, s4, 31
	s_delay_alu instid0(SALU_CYCLE_1) | instskip(NEXT) | instid1(SALU_CYCLE_1)
	s_mul_u64 s[24:25], s[4:5], s[14:15]
	s_lshl_b64 s[24:25], s[24:25], 2
	s_delay_alu instid0(SALU_CYCLE_1)
	s_add_nc_u64 s[24:25], s[6:7], s[24:25]
	s_and_saveexec_b32 s3, vcc_lo
	s_cbranch_execz .LBB49_13
; %bb.12:                               ;   in Loop: Header=BB49_11 Depth=1
	v_lshl_add_u64 v[52:53], v[12:13], 2, s[24:25]
	global_load_b128 v[52:55], v[52:53], off offset:128
	s_wait_loadcnt 0x0
	ds_store_b128 v39, v[52:55]
.LBB49_13:                              ;   in Loop: Header=BB49_11 Depth=1
	s_or_b32 exec_lo, exec_lo, s3
	v_lshl_add_u64 v[52:53], v[2:3], 2, s[24:25]
	v_lshl_add_u64 v[54:55], v[4:5], 2, s[24:25]
	;; [unrolled: 1-line block ×4, first 2 shown]
	v_add_nc_u32_e32 v24, 0x500, v36
	v_add_nc_u64_e32 v[68:69], v[52:53], v[8:9]
	v_add_nc_u64_e32 v[70:71], v[54:55], v[8:9]
	;; [unrolled: 1-line block ×4, first 2 shown]
	v_add_nc_u32_e32 v50, 0xa00, v36
	v_cmp_gt_i32_e64 s3, 32, v35
	s_mul_u64 s[24:25], s[4:5], s[10:11]
	s_clause 0x3
	global_load_b128 v[52:55], v[68:69], off
	global_load_b128 v[56:59], v[70:71], off
	;; [unrolled: 1-line block ×4, first 2 shown]
	s_wait_xcnt 0x3
	v_add_nc_u32_e32 v68, 0xf00, v36
	s_lshl_b64 s[24:25], s[24:25], 2
	s_wait_loadcnt 0x3
	ds_store_b128 v36, v[52:55]
	s_wait_loadcnt 0x2
	ds_store_b128 v24, v[56:59]
	;; [unrolled: 2-line block ×4, first 2 shown]
	s_wait_dscnt 0x0
	s_barrier_signal -1
	s_barrier_wait -1
	ds_load_b128 v[52:55], v37
	ds_load_b128 v[56:59], v25
	v_dual_mov_b32 v50, 0 :: v_dual_add_nc_u32 v24, s4, v40
	s_add_nc_u64 s[24:25], s[8:9], s[24:25]
	s_wait_dscnt 0x0
	;;#ASMSTART
	v_dot2_f32_f16 v50, v52, v56, v50
	;;#ASMEND
	;;#ASMSTART
	v_dot2_f32_f16 v50, v53, v57, v50
	;;#ASMEND
	;;#ASMSTART
	v_dot2_f32_f16 v50, v54, v58, v50
	;;#ASMEND
	;;#ASMSTART
	v_dot2_f32_f16 v50, v55, v59, v50
	;;#ASMEND
	ds_load_b128 v[52:55], v37 offset:16
	ds_load_b128 v[56:59], v25 offset:16
	s_wait_dscnt 0x0
	;;#ASMSTART
	v_dot2_f32_f16 v50, v52, v56, v50
	;;#ASMEND
	;;#ASMSTART
	v_dot2_f32_f16 v50, v53, v57, v50
	;;#ASMEND
	;;#ASMSTART
	v_dot2_f32_f16 v50, v54, v58, v50
	;;#ASMEND
	;;#ASMSTART
	v_dot2_f32_f16 v50, v55, v59, v50
	;;#ASMEND
	ds_load_b128 v[52:55], v37 offset:32
	ds_load_b128 v[56:59], v25 offset:32
	;; [unrolled: 15-line block ×8, first 2 shown]
	s_wait_dscnt 0x0
	;;#ASMSTART
	v_dot2_f32_f16 v50, v52, v56, v50
	;;#ASMEND
	;;#ASMSTART
	v_dot2_f32_f16 v50, v53, v57, v50
	;;#ASMEND
	;; [unrolled: 3-line block ×4, first 2 shown]
	global_load_u16 v24, v24, s[34:35] scale_offset
	s_wait_loadcnt 0x0
	s_barrier_signal -1
	s_barrier_wait -1
	s_wait_xcnt 0x0
	v_cvt_f32_f16_e32 v24, v24
	s_delay_alu instid0(VALU_DEP_1) | instskip(SKIP_2) | instid1(VALU_DEP_3)
	v_dual_add_f32 v50, v50, v24 :: v_dual_cndmask_b32 v24, v1, v35, s3
	v_max_num_f32_e32 v52, v51, v51
	v_cmp_gt_i32_e64 s3, 32, v34
	v_dual_add_f32 v53, 0x40051340, v50 :: v_dual_lshlrev_b32 v24, 2, v24
	s_delay_alu instid0(VALU_DEP_1) | instskip(SKIP_4) | instid1(VALU_DEP_2)
	v_max_num_f32_e32 v52, v52, v53
	ds_bpermute_b32 v24, v24, v52
	v_cndmask_b32_e64 v53, v1, v34, s3
	v_cmp_gt_i32_e64 s3, 32, v33
	s_wait_dscnt 0x0
	v_dual_max_num_f32 v24, v24, v24 :: v_dual_lshlrev_b32 v53, 2, v53
	s_delay_alu instid0(VALU_DEP_1) | instskip(SKIP_4) | instid1(VALU_DEP_2)
	v_max_num_f32_e32 v24, v52, v24
	ds_bpermute_b32 v52, v53, v24
	v_cndmask_b32_e64 v53, v1, v33, s3
	v_cmp_gt_i32_e64 s3, 32, v32
	s_wait_dscnt 0x0
	v_dual_max_num_f32 v52, v52, v52 :: v_dual_lshlrev_b32 v53, 2, v53
	;; [unrolled: 7-line block ×3, first 2 shown]
	s_delay_alu instid0(VALU_DEP_1) | instskip(SKIP_3) | instid1(VALU_DEP_1)
	v_max_num_f32_e32 v24, v24, v52
	ds_bpermute_b32 v52, v53, v24
	v_cndmask_b32_e64 v53, v1, v31, s3
	s_wait_dscnt 0x0
	v_dual_max_num_f32 v52, v52, v52 :: v_dual_lshlrev_b32 v53, 2, v53
	s_delay_alu instid0(VALU_DEP_1) | instskip(SKIP_3) | instid1(VALU_DEP_1)
	v_max_num_f32_e32 v24, v24, v52
	ds_bpermute_b32 v52, v53, v24
	s_wait_dscnt 0x0
	v_max_num_f32_e32 v52, v52, v52
	v_max_num_f32_e32 v24, v24, v52
	s_delay_alu instid0(VALU_DEP_1) | instskip(NEXT) | instid1(VALU_DEP_1)
	v_sub_f32_e32 v50, v50, v24
	v_mul_f32_e32 v52, 0x3fb8aa3b, v50
	s_delay_alu instid0(VALU_DEP_1) | instskip(SKIP_1) | instid1(VALU_DEP_2)
	v_fma_f32 v53, 0x3fb8aa3b, v50, -v52
	v_rndne_f32_e32 v54, v52
	v_fmac_f32_e32 v53, 0x32a5705f, v50
	s_delay_alu instid0(VALU_DEP_2) | instskip(NEXT) | instid1(VALU_DEP_1)
	v_sub_f32_e32 v52, v52, v54
	v_add_f32_e32 v52, v52, v53
	v_cvt_i32_f32_e32 v53, v54
	v_cmp_ngt_f32_e64 s3, 0xc2ce8ed0, v50
	s_delay_alu instid0(VALU_DEP_3) | instskip(SKIP_1) | instid1(TRANS32_DEP_1)
	v_exp_f32_e32 v52, v52
	v_nop
	v_ldexp_f32 v52, v52, v53
	s_delay_alu instid0(VALU_DEP_1) | instskip(SKIP_1) | instid1(VALU_DEP_1)
	v_cndmask_b32_e64 v52, 0, v52, s3
	v_cmp_nlt_f32_e64 s3, 0x42b17218, v50
	v_cndmask_b32_e64 v50, 0x7f800000, v52, s3
	s_delay_alu instid0(VALU_DEP_1)
	v_cvt_f16_f32_e32 v52, v50
	ds_store_b16 v41, v52
	s_and_saveexec_b32 s3, vcc_lo
	s_cbranch_execz .LBB49_15
; %bb.14:                               ;   in Loop: Header=BB49_11 Depth=1
	v_lshl_add_u64 v[52:53], v[16:17], 2, s[24:25]
	global_load_b128 v[52:55], v[52:53], off offset:128
	s_wait_loadcnt 0x0
	ds_store_b128 v43, v[52:55]
.LBB49_15:                              ;   in Loop: Header=BB49_11 Depth=1
	s_or_b32 exec_lo, exec_lo, s3
	v_lshl_add_u64 v[52:53], v[20:21], 2, s[24:25]
	v_lshl_add_u64 v[54:55], v[22:23], 2, s[24:25]
	;; [unrolled: 1-line block ×4, first 2 shown]
	v_sub_f32_e32 v51, v51, v24
	v_add_nc_u64_e32 v[68:69], v[52:53], v[8:9]
	v_add_nc_u64_e32 v[70:71], v[54:55], v[8:9]
	v_add_nc_u64_e32 v[72:73], v[56:57], v[8:9]
	v_add_nc_u64_e32 v[74:75], v[58:59], v[8:9]
	v_add_nc_u32_e32 v76, 0x800, v29
	s_clause 0x3
	global_load_b128 v[52:55], v[68:69], off
	global_load_b128 v[56:59], v[70:71], off
	;; [unrolled: 1-line block ×4, first 2 shown]
	s_wait_loadcnt 0x3
	ds_store_b128 v46, v[52:55]
	s_wait_loadcnt 0x2
	ds_store_b128 v45, v[56:59]
	;; [unrolled: 2-line block ×4, first 2 shown]
	s_wait_dscnt 0x0
	s_barrier_signal -1
	s_barrier_wait -1
	ds_load_b128 v[52:55], v38
	v_mul_f32_e32 v68, 0x3fb8aa3b, v51
	s_delay_alu instid0(VALU_DEP_1) | instskip(SKIP_1) | instid1(VALU_DEP_1)
	v_fma_f32 v69, 0x3fb8aa3b, v51, -v68
	v_rndne_f32_e32 v70, v68
	v_dual_sub_f32 v68, v68, v70 :: v_dual_fmac_f32 v69, 0x32a5705f, v51
	v_cmp_ngt_f32_e64 s3, 0xc2ce8ed0, v51
	s_delay_alu instid0(VALU_DEP_2) | instskip(SKIP_1) | instid1(VALU_DEP_2)
	v_add_f32_e32 v68, v68, v69
	v_cvt_i32_f32_e32 v69, v70
	v_exp_f32_e32 v68, v68
	v_nop
	s_delay_alu instid0(TRANS32_DEP_1) | instskip(NEXT) | instid1(VALU_DEP_1)
	v_ldexp_f32 v56, v68, v69
	v_cndmask_b32_e64 v60, 0, v56, s3
	ds_load_2addr_b64 v[56:59], v29 offset1:18
	v_cmp_nlt_f32_e64 s3, 0x42b17218, v51
	s_delay_alu instid0(VALU_DEP_1)
	v_cndmask_b32_e64 v51, 0x7f800000, v60, s3
	ds_load_b128 v[60:63], v38 offset:16
	s_wait_dscnt 0x2
	v_and_b32_e32 v68, 0xffff, v52
	v_lshrrev_b32_e32 v52, 16, v52
	v_and_b32_e32 v73, 0xffff, v53
	v_cvt_f16_f32_e32 v64, v51
	v_lshrrev_b32_e32 v53, 16, v53
	v_mul_u32_u24_e32 v68, 0x10001, v68
	v_mul_u32_u24_e32 v52, 0x10001, v52
	v_dual_fmac_f32 v50, v47, v51 :: v_dual_add_nc_u32 v77, 0xc00, v29
	v_and_b32_e32 v69, 0xffff, v64
	ds_load_2addr_b64 v[64:67], v29 offset0:36 offset1:54
	v_mul_u32_u24_e32 v53, 0x10001, v53
	s_wait_dscnt 0x2
	v_pk_mul_f16 v56, v56, v68
	v_pk_mul_f16 v57, v57, v68
	v_mul_u32_u24_e32 v72, 0x10001, v69
	ds_load_2addr_b64 v[68:71], v29 offset0:72 offset1:90
	v_pk_fma_f16 v49, v49, v72, v56
	v_pk_fma_f16 v48, v48, v72, v57
	v_mul_u32_u24_e32 v72, 0x10001, v73
	s_wait_dscnt 0x2
	v_and_b32_e32 v73, 0xffff, v61
	v_lshrrev_b32_e32 v61, 16, v61
	v_pk_fma_f16 v49, v58, v52, v49
	v_pk_fma_f16 v48, v59, v52, v48
	ds_load_2addr_b64 v[56:59], v29 offset0:108 offset1:126
	v_and_b32_e32 v52, 0xffff, v54
	v_lshrrev_b32_e32 v54, 16, v54
	v_mul_u32_u24_e32 v73, 0x10001, v73
	s_wait_dscnt 0x2
	v_pk_fma_f16 v49, v64, v72, v49
	v_pk_fma_f16 v48, v65, v72, v48
	v_mul_u32_u24_e32 v52, 0x10001, v52
	v_add_nc_u32_e32 v72, 0x400, v29
	v_mul_u32_u24_e32 v61, 0x10001, v61
	v_pk_fma_f16 v49, v66, v53, v49
	v_pk_fma_f16 v48, v67, v53, v48
	ds_load_2addr_b64 v[64:67], v29 offset0:144 offset1:162
	v_and_b32_e32 v53, 0xffff, v55
	s_wait_dscnt 0x2
	v_pk_fma_f16 v49, v68, v52, v49
	v_pk_fma_f16 v48, v69, v52, v48
	v_lshrrev_b32_e32 v68, 16, v55
	v_mul_u32_u24_e32 v54, 0x10001, v54
	v_mul_u32_u24_e32 v69, 0x10001, v53
	s_delay_alu instid0(VALU_DEP_3) | instskip(NEXT) | instid1(VALU_DEP_3)
	v_mul_u32_u24_e32 v68, 0x10001, v68
	v_pk_fma_f16 v49, v70, v54, v49
	v_pk_fma_f16 v48, v71, v54, v48
	ds_load_2addr_b64 v[52:55], v29 offset0:180 offset1:198
	v_and_b32_e32 v70, 0xffff, v60
	v_lshrrev_b32_e32 v60, 16, v60
	s_wait_dscnt 0x2
	v_pk_fma_f16 v49, v56, v69, v49
	v_pk_fma_f16 v48, v57, v69, v48
	v_mul_u32_u24_e32 v69, 0x10001, v70
	v_mul_u32_u24_e32 v60, 0x10001, v60
	s_delay_alu instid0(VALU_DEP_4) | instskip(NEXT) | instid1(VALU_DEP_4)
	v_pk_fma_f16 v49, v58, v68, v49
	v_pk_fma_f16 v48, v59, v68, v48
	ds_load_2addr_b64 v[56:59], v29 offset0:216 offset1:234
	s_wait_dscnt 0x2
	v_pk_fma_f16 v49, v64, v69, v49
	v_pk_fma_f16 v48, v65, v69, v48
	ds_load_b128 v[68:71], v38 offset:32
	v_pk_fma_f16 v49, v66, v60, v49
	v_pk_fma_f16 v48, v67, v60, v48
	ds_load_2addr_b64 v[64:67], v72 offset0:124 offset1:142
	v_and_b32_e32 v60, 0xffff, v62
	v_lshrrev_b32_e32 v62, 16, v62
	s_wait_dscnt 0x3
	v_pk_fma_f16 v49, v52, v73, v49
	v_pk_fma_f16 v48, v53, v73, v48
	ds_load_b128 v[72:75], v38 offset:48
	v_mul_u32_u24_e32 v60, 0x10001, v60
	v_pk_fma_f16 v49, v54, v61, v49
	v_pk_fma_f16 v48, v55, v61, v48
	ds_load_2addr_b64 v[52:55], v76 offset0:32 offset1:50
	v_and_b32_e32 v61, 0xffff, v63
	s_wait_dscnt 0x4
	v_pk_fma_f16 v49, v56, v60, v49
	v_pk_fma_f16 v48, v57, v60, v48
	v_lshrrev_b32_e32 v60, 16, v63
	v_mul_u32_u24_e32 v62, 0x10001, v62
	v_mul_u32_u24_e32 v61, 0x10001, v61
	s_wait_dscnt 0x3
	v_and_b32_e32 v80, 0xffff, v71
	v_mul_u32_u24_e32 v60, 0x10001, v60
	v_pk_fma_f16 v49, v58, v62, v49
	v_pk_fma_f16 v48, v59, v62, v48
	ds_load_2addr_b64 v[56:59], v76 offset0:68 offset1:86
	v_and_b32_e32 v62, 0xffff, v68
	s_wait_dscnt 0x3
	v_pk_fma_f16 v49, v64, v61, v49
	v_pk_fma_f16 v48, v65, v61, v48
	v_lshrrev_b32_e32 v64, 16, v68
	v_mul_u32_u24_e32 v65, 0x10001, v62
	v_add_nc_u32_e32 v68, 0x1000, v29
	v_pk_fma_f16 v49, v66, v60, v49
	v_pk_fma_f16 v48, v67, v60, v48
	ds_load_2addr_b64 v[60:63], v76 offset0:104 offset1:122
	v_and_b32_e32 v66, 0xffff, v69
	s_wait_dscnt 0x2
	v_pk_fma_f16 v49, v52, v65, v49
	v_pk_fma_f16 v48, v53, v65, v48
	v_lshrrev_b32_e32 v65, 16, v69
	v_mul_u32_u24_e32 v64, 0x10001, v64
	v_mul_u32_u24_e32 v66, 0x10001, v66
	v_and_b32_e32 v69, 0xffff, v70
	v_lshrrev_b32_e32 v70, 16, v70
	v_mul_u32_u24_e32 v78, 0x10001, v65
	v_pk_fma_f16 v49, v54, v64, v49
	v_pk_fma_f16 v48, v55, v64, v48
	ds_load_2addr_b64 v[52:55], v76 offset0:140 offset1:158
	v_mul_u32_u24_e32 v69, 0x10001, v69
	s_wait_dscnt 0x2
	v_pk_fma_f16 v49, v56, v66, v49
	v_pk_fma_f16 v48, v57, v66, v48
	ds_load_2addr_b64 v[64:67], v76 offset0:176 offset1:194
	v_pk_fma_f16 v49, v58, v78, v49
	v_pk_fma_f16 v48, v59, v78, v48
	ds_load_2addr_b64 v[56:59], v76 offset0:212 offset1:230
	ds_load_2addr_b64 v[76:79], v77 offset0:120 offset1:138
	s_wait_dscnt 0x4
	v_pk_fma_f16 v49, v60, v69, v49
	v_pk_fma_f16 v48, v61, v69, v48
	v_lshrrev_b32_e32 v69, 16, v71
	v_mul_u32_u24_e32 v70, 0x10001, v70
	v_mul_u32_u24_e32 v71, 0x10001, v80
	s_delay_alu instid0(VALU_DEP_3) | instskip(NEXT) | instid1(VALU_DEP_3)
	v_mul_u32_u24_e32 v69, 0x10001, v69
	v_pk_fma_f16 v49, v62, v70, v49
	v_pk_fma_f16 v48, v63, v70, v48
	ds_load_2addr_b64 v[60:63], v68 offset0:28 offset1:46
	v_and_b32_e32 v68, 0xffff, v72
	s_wait_dscnt 0x0
	v_pk_fma_f16 v49, v52, v71, v49
	v_pk_fma_f16 v48, v53, v71, v48
	v_lshrrev_b32_e32 v52, 16, v72
	v_mul_u32_u24_e32 v53, 0x10001, v68
	s_barrier_signal -1
	v_pk_fma_f16 v49, v54, v69, v49
	v_pk_fma_f16 v48, v55, v69, v48
	v_and_b32_e32 v54, 0xffff, v73
	s_barrier_wait -1
	s_delay_alu instid0(VALU_DEP_3) | instskip(NEXT) | instid1(VALU_DEP_3)
	v_pk_fma_f16 v49, v64, v53, v49
	v_pk_fma_f16 v48, v65, v53, v48
	v_lshrrev_b32_e32 v53, 16, v73
	v_mul_u32_u24_e32 v52, 0x10001, v52
	v_mul_u32_u24_e32 v54, 0x10001, v54
	s_load_b32 s3, s[20:21], 0x4
	s_delay_alu instid0(VALU_DEP_3) | instskip(NEXT) | instid1(VALU_DEP_3)
	v_mul_u32_u24_e32 v53, 0x10001, v53
	v_pk_fma_f16 v49, v66, v52, v49
	v_pk_fma_f16 v48, v67, v52, v48
	v_and_b32_e32 v52, 0xffff, v74
	s_delay_alu instid0(VALU_DEP_3) | instskip(NEXT) | instid1(VALU_DEP_3)
	v_pk_fma_f16 v49, v56, v54, v49
	v_pk_fma_f16 v48, v57, v54, v48
	v_lshrrev_b32_e32 v54, 16, v74
	s_delay_alu instid0(VALU_DEP_4) | instskip(NEXT) | instid1(VALU_DEP_4)
	v_mul_u32_u24_e32 v52, 0x10001, v52
	v_pk_fma_f16 v49, v58, v53, v49
	s_delay_alu instid0(VALU_DEP_4) | instskip(SKIP_1) | instid1(VALU_DEP_3)
	v_pk_fma_f16 v48, v59, v53, v48
	v_and_b32_e32 v53, 0xffff, v75
	v_pk_fma_f16 v49, v76, v52, v49
	s_delay_alu instid0(VALU_DEP_3)
	v_pk_fma_f16 v48, v77, v52, v48
	v_lshrrev_b32_e32 v52, 16, v75
	v_mul_u32_u24_e32 v54, 0x10001, v54
	v_mul_u32_u24_e32 v53, 0x10001, v53
	s_wait_kmcnt 0x0
	s_lshl_b32 s3, s3, 5
	v_mul_u32_u24_e32 v52, 0x10001, v52
	v_pk_fma_f16 v49, v78, v54, v49
	v_pk_fma_f16 v48, v79, v54, v48
	s_add_co_i32 s4, s3, s4
	s_delay_alu instid0(SALU_CYCLE_1) | instskip(NEXT) | instid1(VALU_DEP_2)
	s_cmp_ge_i32 s4, s30
	v_pk_fma_f16 v49, v60, v53, v49
	s_delay_alu instid0(VALU_DEP_2) | instskip(NEXT) | instid1(VALU_DEP_2)
	v_pk_fma_f16 v48, v61, v53, v48
	v_pk_fma_f16 v49, v62, v52, v49
	s_delay_alu instid0(VALU_DEP_2)
	v_pk_fma_f16 v48, v63, v52, v48
	s_cbranch_scc1 .LBB49_17
; %bb.16:                               ;   in Loop: Header=BB49_11 Depth=1
	v_dual_mov_b32 v51, v24 :: v_dual_mov_b32 v47, v50
	s_branch .LBB49_11
.LBB49_17:
	v_mov_b32_e32 v2, v1
.LBB49_18:
	v_cmp_lt_i32_e32 vcc_lo, v35, v30
	s_cmp_lg_u64 s[12:13], 0
	s_cselect_b32 s3, -1, 0
	s_cmp_eq_u32 s38, 0
	v_cndmask_b32_e32 v1, v2, v35, vcc_lo
	v_cmp_lt_i32_e32 vcc_lo, v34, v30
	s_cselect_b32 s4, -1, 0
	s_delay_alu instid0(SALU_CYCLE_1) | instskip(NEXT) | instid1(VALU_DEP_2)
	s_and_b32 s3, s4, s3
	v_dual_cndmask_b32 v3, v2, v34, vcc_lo :: v_dual_lshlrev_b32 v1, 2, v1
	v_cmp_lt_i32_e32 vcc_lo, v33, v30
	s_delay_alu instid0(VALU_DEP_2) | instskip(SKIP_4) | instid1(VALU_DEP_2)
	v_lshlrev_b32_e32 v3, 2, v3
	ds_bpermute_b32 v1, v1, v50
	v_cndmask_b32_e32 v4, v2, v33, vcc_lo
	v_cmp_lt_i32_e32 vcc_lo, v32, v30
	s_wait_dscnt 0x0
	v_dual_add_f32 v1, v50, v1 :: v_dual_lshlrev_b32 v4, 2, v4
	ds_bpermute_b32 v3, v3, v1
	s_wait_dscnt 0x0
	v_add_f32_e32 v1, v1, v3
	ds_bpermute_b32 v3, v4, v1
	v_cndmask_b32_e32 v4, v2, v32, vcc_lo
	v_cmp_lt_i32_e32 vcc_lo, v31, v30
	v_cndmask_b32_e32 v2, v2, v31, vcc_lo
	s_and_b32 vcc_lo, exec_lo, s3
	s_wait_dscnt 0x0
	v_dual_add_f32 v1, v1, v3 :: v_dual_lshlrev_b32 v4, 2, v4
	ds_bpermute_b32 v3, v4, v1
	s_wait_dscnt 0x0
	v_dual_add_f32 v1, v1, v3 :: v_dual_lshlrev_b32 v2, 2, v2
	ds_bpermute_b32 v3, v2, v1
	s_wait_dscnt 0x0
	v_dual_add_f32 v25, v1, v3 :: v_dual_add_nc_u32 v2, s33, v0
	s_cbranch_vccz .LBB49_20
; %bb.19:
	global_load_b32 v1, v2, s[12:13] scale_offset
	s_wait_loadcnt 0x0
	v_dual_max_num_f32 v0, v24, v24 :: v_dual_max_num_f32 v3, v1, v1
	s_delay_alu instid0(VALU_DEP_1) | instskip(NEXT) | instid1(VALU_DEP_1)
	v_max_num_f32_e32 v0, v0, v3
	v_sub_f32_e32 v1, v1, v0
	s_delay_alu instid0(VALU_DEP_1) | instskip(NEXT) | instid1(VALU_DEP_1)
	v_mul_f32_e32 v7, 0x3fb8aa3b, v1
	v_fma_f32 v8, 0x3fb8aa3b, v1, -v7
	v_sub_f32_e32 v3, v24, v0
	v_rndne_f32_e32 v9, v7
	s_delay_alu instid0(VALU_DEP_3) | instskip(NEXT) | instid1(VALU_DEP_3)
	v_fmac_f32_e32 v8, 0x32a5705f, v1
	v_mul_f32_e32 v4, 0x3fb8aa3b, v3
	v_cmp_ngt_f32_e32 vcc_lo, 0xc2ce8ed0, v3
	s_delay_alu instid0(VALU_DEP_2) | instskip(SKIP_1) | instid1(VALU_DEP_1)
	v_fma_f32 v5, 0x3fb8aa3b, v3, -v4
	v_rndne_f32_e32 v6, v4
	v_dual_fmac_f32 v5, 0x32a5705f, v3 :: v_dual_sub_f32 v4, v4, v6
	v_cvt_i32_f32_e32 v6, v6
	s_delay_alu instid0(VALU_DEP_2) | instskip(SKIP_1) | instid1(VALU_DEP_1)
	v_add_f32_e32 v4, v4, v5
	v_sub_f32_e32 v5, v7, v9
	v_add_f32_e32 v5, v5, v8
	s_delay_alu instid0(VALU_DEP_3) | instskip(NEXT) | instid1(VALU_DEP_1)
	v_exp_f32_e32 v4, v4
	v_exp_f32_e32 v5, v5
	s_delay_alu instid0(TRANS32_DEP_2) | instskip(SKIP_1) | instid1(VALU_DEP_2)
	v_ldexp_f32 v4, v4, v6
	v_cvt_i32_f32_e32 v6, v9
	v_cndmask_b32_e32 v4, 0, v4, vcc_lo
	v_cmp_nlt_f32_e32 vcc_lo, 0x42b17218, v3
	s_delay_alu instid0(VALU_DEP_2)
	v_cndmask_b32_e32 v3, 0x7f800000, v4, vcc_lo
	s_delay_alu instid0(TRANS32_DEP_1) | instid1(VALU_DEP_4)
	v_ldexp_f32 v4, v5, v6
	v_cmp_ngt_f32_e32 vcc_lo, 0xc2ce8ed0, v1
	s_delay_alu instid0(VALU_DEP_3) | instskip(NEXT) | instid1(VALU_DEP_3)
	v_cvt_f16_f32_e32 v5, v3
	v_cndmask_b32_e32 v4, 0, v4, vcc_lo
	v_cmp_nlt_f32_e32 vcc_lo, 0x42b17218, v1
	s_delay_alu instid0(VALU_DEP_3) | instskip(NEXT) | instid1(VALU_DEP_3)
	v_and_b32_e32 v5, 0xffff, v5
	v_cndmask_b32_e32 v1, 0x7f800000, v4, vcc_lo
	s_delay_alu instid0(VALU_DEP_2) | instskip(NEXT) | instid1(VALU_DEP_2)
	v_mul_u32_u24_e32 v4, 0x10001, v5
	v_fmac_f32_e32 v1, v25, v3
	s_delay_alu instid0(VALU_DEP_2) | instskip(SKIP_1) | instid1(VALU_DEP_3)
	v_pk_mul_f16 v49, v49, v4
	v_pk_mul_f16 v48, v48, v4
	v_mov_b64_e32 v[24:25], v[0:1]
	s_branch .LBB49_21
.LBB49_20:
	s_delay_alu instid0(VALU_DEP_1)
	v_mov_b32_e32 v1, v25
.LBB49_21:
	s_load_b32 s0, s[0:1], 0xd4
	s_wait_xcnt 0x0
	s_mul_i32 s1, s28, s22
	s_delay_alu instid0(SALU_CYCLE_1) | instskip(NEXT) | instid1(VALU_DEP_1)
	v_add3_u32 v0, s1, s31, v27
	v_mad_u32 v0, v0, s23, v2
	s_wait_kmcnt 0x0
	s_delay_alu instid0(VALU_DEP_1)
	v_mad_u32 v0, s0, v0, s38
	s_cmp_lg_u32 s0, 1
	s_cselect_b32 s0, -1, 0
	s_and_saveexec_b32 s1, s2
	s_cbranch_execz .LBB49_23
; %bb.22:
	v_div_scale_f32 v2, null, v1, v1, 1.0
	v_div_scale_f32 v5, vcc_lo, 1.0, v1, 1.0
	v_lshrrev_b32_e32 v7, 16, v48
	s_delay_alu instid0(VALU_DEP_3) | instskip(NEXT) | instid1(VALU_DEP_1)
	v_rcp_f32_e32 v3, v2
	v_cvt_f32_f16_e32 v7, v7
	s_delay_alu instid0(TRANS32_DEP_1) | instskip(NEXT) | instid1(VALU_DEP_1)
	v_fma_f32 v4, -v2, v3, 1.0
	v_fmac_f32_e32 v3, v4, v3
	s_delay_alu instid0(VALU_DEP_1) | instskip(NEXT) | instid1(VALU_DEP_1)
	v_mul_f32_e32 v4, v5, v3
	v_fma_f32 v6, -v2, v4, v5
	s_delay_alu instid0(VALU_DEP_1) | instskip(SKIP_1) | instid1(VALU_DEP_2)
	v_fmac_f32_e32 v4, v6, v3
	v_cvt_f32_f16_e32 v6, v48
	v_dual_fma_f32 v2, -v2, v4, v5 :: v_dual_lshrrev_b32 v5, 16, v49
	s_delay_alu instid0(VALU_DEP_1) | instskip(SKIP_2) | instid1(VALU_DEP_4)
	v_div_fmas_f32 v4, v2, v3, v4
	v_mad_u32 v2, 0x48, v0, v28
	v_mov_b32_e32 v3, 0
	v_cvt_f32_f16_e32 v5, v5
	s_delay_alu instid0(VALU_DEP_4) | instskip(SKIP_1) | instid1(VALU_DEP_2)
	v_div_fixup_f32 v1, v4, v1, 1.0
	v_cvt_f32_f16_e32 v4, v49
	v_cndmask_b32_e64 v8, v1, 1.0, s0
	v_lshl_add_u64 v[10:11], v[2:3], 2, s[16:17]
	s_delay_alu instid0(VALU_DEP_2)
	v_pk_mul_f32 v[2:3], v[8:9], v[4:5] op_sel_hi:[0,1]
	v_pk_mul_f32 v[4:5], v[8:9], v[6:7] op_sel_hi:[0,1]
	global_store_b128 v[10:11], v[2:5], off
.LBB49_23:
	s_wait_xcnt 0x0
	s_or_b32 exec_lo, exec_lo, s1
	v_cmp_eq_u32_e32 vcc_lo, 0, v26
	s_and_b32 s0, vcc_lo, s0
	s_delay_alu instid0(SALU_CYCLE_1)
	s_and_saveexec_b32 s1, s0
	s_cbranch_execz .LBB49_25
; %bb.24:
	global_store_b64 v0, v[24:25], s[18:19] scale_offset
.LBB49_25:
	s_sendmsg sendmsg(MSG_DEALLOC_VGPRS)
	s_endpgm
	.section	.rodata,"a",@progbits
	.p2align	6, 0x0
	.amdhsa_kernel _ZL15flash_attn_tileILi72ELi72ELi1ELi2ELb0EEvPKcS1_S1_S1_S1_PKiPfP15HIP_vector_typeIfLj2EEffffjfiS5_IjLj3EEiiiiiiiiiiiliiliiiiil
		.amdhsa_group_segment_fixed_size 5760
		.amdhsa_private_segment_fixed_size 0
		.amdhsa_kernarg_size 464
		.amdhsa_user_sgpr_count 2
		.amdhsa_user_sgpr_dispatch_ptr 0
		.amdhsa_user_sgpr_queue_ptr 0
		.amdhsa_user_sgpr_kernarg_segment_ptr 1
		.amdhsa_user_sgpr_dispatch_id 0
		.amdhsa_user_sgpr_kernarg_preload_length 0
		.amdhsa_user_sgpr_kernarg_preload_offset 0
		.amdhsa_user_sgpr_private_segment_size 0
		.amdhsa_wavefront_size32 1
		.amdhsa_uses_dynamic_stack 0
		.amdhsa_enable_private_segment 0
		.amdhsa_system_sgpr_workgroup_id_x 1
		.amdhsa_system_sgpr_workgroup_id_y 1
		.amdhsa_system_sgpr_workgroup_id_z 1
		.amdhsa_system_sgpr_workgroup_info 0
		.amdhsa_system_vgpr_workitem_id 1
		.amdhsa_next_free_vgpr 81
		.amdhsa_next_free_sgpr 46
		.amdhsa_named_barrier_count 0
		.amdhsa_reserve_vcc 1
		.amdhsa_float_round_mode_32 0
		.amdhsa_float_round_mode_16_64 0
		.amdhsa_float_denorm_mode_32 3
		.amdhsa_float_denorm_mode_16_64 3
		.amdhsa_fp16_overflow 0
		.amdhsa_memory_ordered 1
		.amdhsa_forward_progress 1
		.amdhsa_inst_pref_size 41
		.amdhsa_round_robin_scheduling 0
		.amdhsa_exception_fp_ieee_invalid_op 0
		.amdhsa_exception_fp_denorm_src 0
		.amdhsa_exception_fp_ieee_div_zero 0
		.amdhsa_exception_fp_ieee_overflow 0
		.amdhsa_exception_fp_ieee_underflow 0
		.amdhsa_exception_fp_ieee_inexact 0
		.amdhsa_exception_int_div_zero 0
	.end_amdhsa_kernel
	.section	.text._ZL15flash_attn_tileILi72ELi72ELi1ELi2ELb0EEvPKcS1_S1_S1_S1_PKiPfP15HIP_vector_typeIfLj2EEffffjfiS5_IjLj3EEiiiiiiiiiiiliiliiiiil,"axG",@progbits,_ZL15flash_attn_tileILi72ELi72ELi1ELi2ELb0EEvPKcS1_S1_S1_S1_PKiPfP15HIP_vector_typeIfLj2EEffffjfiS5_IjLj3EEiiiiiiiiiiiliiliiiiil,comdat
.Lfunc_end49:
	.size	_ZL15flash_attn_tileILi72ELi72ELi1ELi2ELb0EEvPKcS1_S1_S1_S1_PKiPfP15HIP_vector_typeIfLj2EEffffjfiS5_IjLj3EEiiiiiiiiiiiliiliiiiil, .Lfunc_end49-_ZL15flash_attn_tileILi72ELi72ELi1ELi2ELb0EEvPKcS1_S1_S1_S1_PKiPfP15HIP_vector_typeIfLj2EEffffjfiS5_IjLj3EEiiiiiiiiiiiliiliiiiil
                                        ; -- End function
	.set _ZL15flash_attn_tileILi72ELi72ELi1ELi2ELb0EEvPKcS1_S1_S1_S1_PKiPfP15HIP_vector_typeIfLj2EEffffjfiS5_IjLj3EEiiiiiiiiiiiliiliiiiil.num_vgpr, 81
	.set _ZL15flash_attn_tileILi72ELi72ELi1ELi2ELb0EEvPKcS1_S1_S1_S1_PKiPfP15HIP_vector_typeIfLj2EEffffjfiS5_IjLj3EEiiiiiiiiiiiliiliiiiil.num_agpr, 0
	.set _ZL15flash_attn_tileILi72ELi72ELi1ELi2ELb0EEvPKcS1_S1_S1_S1_PKiPfP15HIP_vector_typeIfLj2EEffffjfiS5_IjLj3EEiiiiiiiiiiiliiliiiiil.numbered_sgpr, 46
	.set _ZL15flash_attn_tileILi72ELi72ELi1ELi2ELb0EEvPKcS1_S1_S1_S1_PKiPfP15HIP_vector_typeIfLj2EEffffjfiS5_IjLj3EEiiiiiiiiiiiliiliiiiil.num_named_barrier, 0
	.set _ZL15flash_attn_tileILi72ELi72ELi1ELi2ELb0EEvPKcS1_S1_S1_S1_PKiPfP15HIP_vector_typeIfLj2EEffffjfiS5_IjLj3EEiiiiiiiiiiiliiliiiiil.private_seg_size, 0
	.set _ZL15flash_attn_tileILi72ELi72ELi1ELi2ELb0EEvPKcS1_S1_S1_S1_PKiPfP15HIP_vector_typeIfLj2EEffffjfiS5_IjLj3EEiiiiiiiiiiiliiliiiiil.uses_vcc, 1
	.set _ZL15flash_attn_tileILi72ELi72ELi1ELi2ELb0EEvPKcS1_S1_S1_S1_PKiPfP15HIP_vector_typeIfLj2EEffffjfiS5_IjLj3EEiiiiiiiiiiiliiliiiiil.uses_flat_scratch, 0
	.set _ZL15flash_attn_tileILi72ELi72ELi1ELi2ELb0EEvPKcS1_S1_S1_S1_PKiPfP15HIP_vector_typeIfLj2EEffffjfiS5_IjLj3EEiiiiiiiiiiiliiliiiiil.has_dyn_sized_stack, 0
	.set _ZL15flash_attn_tileILi72ELi72ELi1ELi2ELb0EEvPKcS1_S1_S1_S1_PKiPfP15HIP_vector_typeIfLj2EEffffjfiS5_IjLj3EEiiiiiiiiiiiliiliiiiil.has_recursion, 0
	.set _ZL15flash_attn_tileILi72ELi72ELi1ELi2ELb0EEvPKcS1_S1_S1_S1_PKiPfP15HIP_vector_typeIfLj2EEffffjfiS5_IjLj3EEiiiiiiiiiiiliiliiiiil.has_indirect_call, 0
	.section	.AMDGPU.csdata,"",@progbits
; Kernel info:
; codeLenInByte = 5132
; TotalNumSgprs: 48
; NumVgprs: 81
; ScratchSize: 0
; MemoryBound: 0
; FloatMode: 240
; IeeeMode: 1
; LDSByteSize: 5760 bytes/workgroup (compile time only)
; SGPRBlocks: 0
; VGPRBlocks: 5
; NumSGPRsForWavesPerEU: 48
; NumVGPRsForWavesPerEU: 81
; NamedBarCnt: 0
; Occupancy: 10
; WaveLimiterHint : 1
; COMPUTE_PGM_RSRC2:SCRATCH_EN: 0
; COMPUTE_PGM_RSRC2:USER_SGPR: 2
; COMPUTE_PGM_RSRC2:TRAP_HANDLER: 0
; COMPUTE_PGM_RSRC2:TGID_X_EN: 1
; COMPUTE_PGM_RSRC2:TGID_Y_EN: 1
; COMPUTE_PGM_RSRC2:TGID_Z_EN: 1
; COMPUTE_PGM_RSRC2:TIDIG_COMP_CNT: 1
	.section	.text._ZL33flash_attn_stream_k_fixup_uniformILi72ELi1ELi2EEvPfPK15HIP_vector_typeIfLj2EEiiiiiiS1_IjLj3EES5_S5_,"axG",@progbits,_ZL33flash_attn_stream_k_fixup_uniformILi72ELi1ELi2EEvPfPK15HIP_vector_typeIfLj2EEiiiiiiS1_IjLj3EES5_S5_,comdat
	.globl	_ZL33flash_attn_stream_k_fixup_uniformILi72ELi1ELi2EEvPfPK15HIP_vector_typeIfLj2EEiiiiiiS1_IjLj3EES5_S5_ ; -- Begin function _ZL33flash_attn_stream_k_fixup_uniformILi72ELi1ELi2EEvPfPK15HIP_vector_typeIfLj2EEiiiiiiS1_IjLj3EES5_S5_
	.p2align	8
	.type	_ZL33flash_attn_stream_k_fixup_uniformILi72ELi1ELi2EEvPfPK15HIP_vector_typeIfLj2EEiiiiiiS1_IjLj3EES5_S5_,@function
_ZL33flash_attn_stream_k_fixup_uniformILi72ELi1ELi2EEvPfPK15HIP_vector_typeIfLj2EEiiiiiiS1_IjLj3EES5_S5_: ; @_ZL33flash_attn_stream_k_fixup_uniformILi72ELi1ELi2EEvPfPK15HIP_vector_typeIfLj2EEiiiiiiS1_IjLj3EES5_S5_
; %bb.0:
	s_load_b256 s[4:11], s[0:1], 0x1c
	s_bfe_u32 s2, ttmp6, 0x40014
	s_lshr_b32 s3, ttmp7, 16
	s_add_co_i32 s2, s2, 1
	s_bfe_u32 s13, ttmp6, 0x40010
	s_mul_i32 s2, s3, s2
	s_bfe_u32 s12, ttmp6, 0x40008
	s_and_b32 s15, ttmp7, 0xffff
	s_add_co_i32 s13, s13, 1
	s_bfe_u32 s14, ttmp6, 0x4000c
	s_add_co_i32 s12, s12, s2
	s_mul_i32 s2, s15, s13
	s_bfe_u32 s13, ttmp6, 0x40004
	s_add_co_i32 s14, s14, 1
	s_add_co_i32 s13, s13, s2
	s_and_b32 s2, ttmp6, 15
	s_mul_i32 s14, ttmp9, s14
	s_getreg_b32 s20, hwreg(HW_REG_IB_STS2, 6, 4)
	s_add_co_i32 s2, s2, s14
	s_load_b128 s[16:19], s[0:1], 0x3c
	s_cmp_eq_u32 s20, 0
	s_cselect_b32 s14, ttmp9, s2
	s_cselect_b32 s13, s15, s13
	s_wait_kmcnt 0x0
	s_mul_hi_u32 s2, s7, s14
	s_cselect_b32 s12, s3, s12
	s_add_co_i32 s2, s14, s2
	s_delay_alu instid0(SALU_CYCLE_1) | instskip(NEXT) | instid1(SALU_CYCLE_1)
	s_lshr_b32 s7, s2, s8
	s_mul_i32 s2, s7, s9
	s_delay_alu instid0(SALU_CYCLE_1) | instskip(SKIP_2) | instid1(SALU_CYCLE_1)
	s_sub_co_i32 s8, s14, s2
	s_load_b64 s[2:3], s[0:1], 0x10
	s_mul_hi_u32 s9, s8, s10
	s_add_co_i32 s9, s8, s9
	s_delay_alu instid0(SALU_CYCLE_1) | instskip(NEXT) | instid1(SALU_CYCLE_1)
	s_lshr_b32 s15, s9, s11
	s_mul_i32 s9, s15, s16
	s_delay_alu instid0(SALU_CYCLE_1) | instskip(NEXT) | instid1(SALU_CYCLE_1)
	s_sub_co_i32 s8, s8, s9
	s_mul_hi_u32 s9, s8, s17
	s_delay_alu instid0(SALU_CYCLE_1) | instskip(NEXT) | instid1(SALU_CYCLE_1)
	s_add_co_i32 s9, s8, s9
	s_lshr_b32 s9, s9, s18
	s_delay_alu instid0(SALU_CYCLE_1) | instskip(SKIP_2) | instid1(SALU_CYCLE_1)
	s_mul_i32 s10, s9, s19
	s_lshl_b32 s17, s9, 1
	s_sub_co_i32 s16, s8, s10
	s_add_co_i32 s16, s16, s13
	s_wait_kmcnt 0x0
	s_cmp_lt_i32 s16, s2
	s_cselect_b32 s8, -1, 0
	s_add_co_i32 s17, s17, s12
	s_delay_alu instid0(SALU_CYCLE_1) | instskip(SKIP_1) | instid1(SALU_CYCLE_1)
	s_cmp_lt_i32 s17, s5
	s_cselect_b32 s9, -1, 0
	s_and_b32 s8, s8, s9
	s_delay_alu instid0(SALU_CYCLE_1)
	s_and_not1_b32 vcc_lo, exec_lo, s8
	s_cbranch_vccnz .LBB50_6
; %bb.1:
	s_load_b128 s[8:11], s[0:1], 0x0
	s_mul_i32 s7, s7, s2
	s_mul_i32 s15, s15, s5
	s_wait_xcnt 0x0
	s_add_co_i32 s0, s16, s7
	s_add_co_i32 s1, s17, s15
	s_mul_i32 s0, s0, s3
	s_mul_i32 s7, s6, s14
	s_add_co_i32 s1, s1, s0
	s_add_co_i32 s5, s7, s6
	v_mad_u32 v4, 0x48, s1, v0
	s_add_co_i32 s0, s13, s5
	s_add_co_i32 s2, s5, -2
	s_lshl_b32 s0, s0, 1
	s_delay_alu instid0(SALU_CYCLE_1) | instskip(NEXT) | instid1(SALU_CYCLE_1)
	s_add_co_i32 s0, s0, s12
	s_add_co_i32 s0, s0, -2
	s_delay_alu instid0(SALU_CYCLE_1) | instskip(NEXT) | instid1(SALU_CYCLE_1)
	s_ashr_i32 s1, s0, 31
	s_lshl_b64 s[0:1], s[0:1], 3
	s_wait_kmcnt 0x0
	global_load_b32 v3, v4, s[8:9] scale_offset
	s_add_nc_u64 s[0:1], s[10:11], s[0:1]
	v_ashrrev_i32_e32 v5, 31, v4
	s_load_b32 s15, s[0:1], 0x4
	s_cmp_lt_i32 s2, s7
	s_cbranch_scc1 .LBB50_4
; %bb.2:
	s_wait_xcnt 0x0
	s_load_b32 s0, s[0:1], 0x0
	s_add_co_i32 s14, s14, 1
	s_lshl_b32 s2, s4, 3
	s_wait_xcnt 0x0
	s_mul_i32 s1, s6, s14
	s_mul_i32 s6, s13, 0x90
	;; [unrolled: 1-line block ×3, first 2 shown]
	s_add_co_i32 s4, s13, s4
	s_mulk_i32 s1, 0x90
	s_add_co_i32 s6, s14, s6
	s_add_co_i32 s4, s4, s5
	;; [unrolled: 1-line block ×3, first 2 shown]
	s_ashr_i32 s3, s2, 31
	s_lshl_b32 s1, s4, 1
	v_add3_u32 v0, s6, v0, 0xfffffee0
	s_wait_kmcnt 0x0
	v_mov_b32_e32 v2, s15
	s_lshl_b64 s[2:3], s[2:3], 2
	s_add_co_i32 s4, s12, s1
	s_add_nc_u64 s[2:3], s[10:11], s[2:3]
	s_add_co_i32 s1, s5, -1
	s_add_co_i32 s4, s4, -4
.LBB50_3:                               ; =>This Inner Loop Header: Depth=1
	global_load_b32 v7, v0, s[2:3] scale_offset
	s_ashr_i32 s5, s4, 31
	v_max_num_f32_e64 v1, s0, s0
	s_lshl_b64 s[12:13], s[4:5], 3
	s_delay_alu instid0(SALU_CYCLE_1) | instskip(SKIP_1) | instid1(VALU_DEP_1)
	s_add_nc_u64 s[12:13], s[10:11], s[12:13]
	s_load_b64 s[12:13], s[12:13], 0x0
	v_readfirstlane_b32 s5, v1
	v_add_nc_u32_e32 v0, 0xffffff70, v0
	s_wait_kmcnt 0x0
	v_max_num_f32_e64 v1, s12, s12
	s_delay_alu instid0(VALU_DEP_1) | instskip(SKIP_1) | instid1(SALU_CYCLE_3)
	v_readfirstlane_b32 s6, v1
	s_max_num_f32 s5, s5, s6
	s_sub_f32 s0, s0, s5
	s_sub_f32 s6, s12, s5
	s_delay_alu instid0(SALU_CYCLE_2) | instskip(NEXT) | instid1(SALU_CYCLE_2)
	s_mul_f32 s12, s0, 0x3fb8aa3b
	s_mul_f32 s14, s6, 0x3fb8aa3b
	s_delay_alu instid0(SALU_CYCLE_2)
	s_xor_b32 s15, s12, 0x80000000
	s_rndne_f32 s16, s12
	s_fmamk_f32 s15, s0, 0x3fb8aa3b, s15
	s_cmp_nlt_f32 s0, 0xc2ce8ed0
	s_rndne_f32 s17, s14
	s_sub_f32 s12, s12, s16
	s_fmamk_f32 s15, s0, 0x32a5705f, s15
	s_cselect_b32 vcc_lo, -1, 0
	s_cmp_ngt_f32 s0, 0x42b17218
	s_delay_alu instid0(SALU_CYCLE_1) | instskip(SKIP_2) | instid1(SALU_CYCLE_1)
	s_add_f32 s12, s12, s15
	s_cvt_i32_f32 s15, s16
	s_sub_f32 s16, s14, s17
	v_s_exp_f32 s12, s12
	v_nop
	s_delay_alu instid0(TRANS32_DEP_1) | instskip(SKIP_1) | instid1(VALU_DEP_1)
	v_ldexp_f32 v1, s12, s15
	s_cvt_i32_f32 s12, s17
	v_cndmask_b32_e32 v1, 0, v1, vcc_lo
	s_cselect_b32 vcc_lo, -1, 0
	s_cmp_ge_f32 s0, 0xc1a00000
	s_delay_alu instid0(VALU_DEP_1)
	v_cndmask_b32_e32 v1, 0x7f800000, v1, vcc_lo
	s_cselect_b32 vcc_lo, -1, 0
	s_xor_b32 s0, s14, 0x80000000
	s_cmp_nlt_f32 s6, 0xc2ce8ed0
	s_fmamk_f32 s0, s6, 0x3fb8aa3b, s0
	v_cndmask_b32_e32 v10, 0, v1, vcc_lo
	s_delay_alu instid0(SALU_CYCLE_2) | instskip(NEXT) | instid1(SALU_CYCLE_3)
	s_fmamk_f32 s0, s6, 0x32a5705f, s0
	s_add_f32 s0, s16, s0
	s_delay_alu instid0(SALU_CYCLE_3) | instskip(SKIP_1) | instid1(TRANS32_DEP_1)
	v_s_exp_f32 s0, s0
	v_nop
	v_ldexp_f32 v6, s0, s12
	s_cselect_b32 s0, -1, 0
	s_cmp_ngt_f32 s6, 0x42b17218
	s_delay_alu instid0(VALU_DEP_1) | instskip(SKIP_2) | instid1(VALU_DEP_1)
	v_cndmask_b32_e64 v6, 0, v6, s0
	s_cselect_b32 s0, -1, 0
	s_cmp_ge_f32 s6, 0xc1a00000
	v_cndmask_b32_e64 v8, 0x7f800000, v6, s0
	s_cselect_b32 s0, -1, 0
	v_mov_b32_e32 v6, s13
	s_add_co_i32 s1, s1, -1
	s_add_co_i32 s4, s4, -2
	v_cndmask_b32_e64 v8, 0, v8, s0
	s_cmp_le_i32 s1, s7
	s_mov_b32 s0, s5
	s_wait_loadcnt 0x0
	s_delay_alu instid0(VALU_DEP_1) | instskip(NEXT) | instid1(VALU_DEP_1)
	v_pk_mul_f32 v[6:7], v[6:7], v[8:9] op_sel_hi:[1,0]
	v_pk_fma_f32 v[2:3], v[2:3], v[10:11], v[6:7] op_sel_hi:[1,0,1]
	s_cbranch_scc0 .LBB50_3
	s_branch .LBB50_5
.LBB50_4:
	s_wait_kmcnt 0x0
	v_mov_b32_e32 v2, s15
.LBB50_5:
	v_lshl_add_u64 v[0:1], v[4:5], 2, s[8:9]
	s_wait_loadcnt 0x0
	s_delay_alu instid0(VALU_DEP_2) | instskip(NEXT) | instid1(VALU_DEP_1)
	v_div_scale_f32 v4, null, v2, v2, v3
	v_rcp_f32_e32 v5, v4
	v_nop
	s_delay_alu instid0(TRANS32_DEP_1) | instskip(NEXT) | instid1(VALU_DEP_1)
	v_fma_f32 v6, -v4, v5, 1.0
	v_fmac_f32_e32 v5, v6, v5
	v_div_scale_f32 v6, vcc_lo, v3, v2, v3
	s_delay_alu instid0(VALU_DEP_1) | instskip(NEXT) | instid1(VALU_DEP_1)
	v_mul_f32_e32 v7, v6, v5
	v_fma_f32 v8, -v4, v7, v6
	s_delay_alu instid0(VALU_DEP_1) | instskip(NEXT) | instid1(VALU_DEP_1)
	v_fmac_f32_e32 v7, v8, v5
	v_fma_f32 v4, -v4, v7, v6
	s_delay_alu instid0(VALU_DEP_1) | instskip(NEXT) | instid1(VALU_DEP_1)
	v_div_fmas_f32 v4, v4, v5, v7
	v_div_fixup_f32 v2, v4, v2, v3
	global_store_b32 v[0:1], v2, off
.LBB50_6:
	s_endpgm
	.section	.rodata,"a",@progbits
	.p2align	6, 0x0
	.amdhsa_kernel _ZL33flash_attn_stream_k_fixup_uniformILi72ELi1ELi2EEvPfPK15HIP_vector_typeIfLj2EEiiiiiiS1_IjLj3EES5_S5_
		.amdhsa_group_segment_fixed_size 0
		.amdhsa_private_segment_fixed_size 0
		.amdhsa_kernarg_size 76
		.amdhsa_user_sgpr_count 2
		.amdhsa_user_sgpr_dispatch_ptr 0
		.amdhsa_user_sgpr_queue_ptr 0
		.amdhsa_user_sgpr_kernarg_segment_ptr 1
		.amdhsa_user_sgpr_dispatch_id 0
		.amdhsa_user_sgpr_kernarg_preload_length 0
		.amdhsa_user_sgpr_kernarg_preload_offset 0
		.amdhsa_user_sgpr_private_segment_size 0
		.amdhsa_wavefront_size32 1
		.amdhsa_uses_dynamic_stack 0
		.amdhsa_enable_private_segment 0
		.amdhsa_system_sgpr_workgroup_id_x 1
		.amdhsa_system_sgpr_workgroup_id_y 1
		.amdhsa_system_sgpr_workgroup_id_z 1
		.amdhsa_system_sgpr_workgroup_info 0
		.amdhsa_system_vgpr_workitem_id 0
		.amdhsa_next_free_vgpr 12
		.amdhsa_next_free_sgpr 21
		.amdhsa_named_barrier_count 0
		.amdhsa_reserve_vcc 1
		.amdhsa_float_round_mode_32 0
		.amdhsa_float_round_mode_16_64 0
		.amdhsa_float_denorm_mode_32 3
		.amdhsa_float_denorm_mode_16_64 3
		.amdhsa_fp16_overflow 0
		.amdhsa_memory_ordered 1
		.amdhsa_forward_progress 1
		.amdhsa_inst_pref_size 9
		.amdhsa_round_robin_scheduling 0
		.amdhsa_exception_fp_ieee_invalid_op 0
		.amdhsa_exception_fp_denorm_src 0
		.amdhsa_exception_fp_ieee_div_zero 0
		.amdhsa_exception_fp_ieee_overflow 0
		.amdhsa_exception_fp_ieee_underflow 0
		.amdhsa_exception_fp_ieee_inexact 0
		.amdhsa_exception_int_div_zero 0
	.end_amdhsa_kernel
	.section	.text._ZL33flash_attn_stream_k_fixup_uniformILi72ELi1ELi2EEvPfPK15HIP_vector_typeIfLj2EEiiiiiiS1_IjLj3EES5_S5_,"axG",@progbits,_ZL33flash_attn_stream_k_fixup_uniformILi72ELi1ELi2EEvPfPK15HIP_vector_typeIfLj2EEiiiiiiS1_IjLj3EES5_S5_,comdat
.Lfunc_end50:
	.size	_ZL33flash_attn_stream_k_fixup_uniformILi72ELi1ELi2EEvPfPK15HIP_vector_typeIfLj2EEiiiiiiS1_IjLj3EES5_S5_, .Lfunc_end50-_ZL33flash_attn_stream_k_fixup_uniformILi72ELi1ELi2EEvPfPK15HIP_vector_typeIfLj2EEiiiiiiS1_IjLj3EES5_S5_
                                        ; -- End function
	.set _ZL33flash_attn_stream_k_fixup_uniformILi72ELi1ELi2EEvPfPK15HIP_vector_typeIfLj2EEiiiiiiS1_IjLj3EES5_S5_.num_vgpr, 12
	.set _ZL33flash_attn_stream_k_fixup_uniformILi72ELi1ELi2EEvPfPK15HIP_vector_typeIfLj2EEiiiiiiS1_IjLj3EES5_S5_.num_agpr, 0
	.set _ZL33flash_attn_stream_k_fixup_uniformILi72ELi1ELi2EEvPfPK15HIP_vector_typeIfLj2EEiiiiiiS1_IjLj3EES5_S5_.numbered_sgpr, 21
	.set _ZL33flash_attn_stream_k_fixup_uniformILi72ELi1ELi2EEvPfPK15HIP_vector_typeIfLj2EEiiiiiiS1_IjLj3EES5_S5_.num_named_barrier, 0
	.set _ZL33flash_attn_stream_k_fixup_uniformILi72ELi1ELi2EEvPfPK15HIP_vector_typeIfLj2EEiiiiiiS1_IjLj3EES5_S5_.private_seg_size, 0
	.set _ZL33flash_attn_stream_k_fixup_uniformILi72ELi1ELi2EEvPfPK15HIP_vector_typeIfLj2EEiiiiiiS1_IjLj3EES5_S5_.uses_vcc, 1
	.set _ZL33flash_attn_stream_k_fixup_uniformILi72ELi1ELi2EEvPfPK15HIP_vector_typeIfLj2EEiiiiiiS1_IjLj3EES5_S5_.uses_flat_scratch, 0
	.set _ZL33flash_attn_stream_k_fixup_uniformILi72ELi1ELi2EEvPfPK15HIP_vector_typeIfLj2EEiiiiiiS1_IjLj3EES5_S5_.has_dyn_sized_stack, 0
	.set _ZL33flash_attn_stream_k_fixup_uniformILi72ELi1ELi2EEvPfPK15HIP_vector_typeIfLj2EEiiiiiiS1_IjLj3EES5_S5_.has_recursion, 0
	.set _ZL33flash_attn_stream_k_fixup_uniformILi72ELi1ELi2EEvPfPK15HIP_vector_typeIfLj2EEiiiiiiS1_IjLj3EES5_S5_.has_indirect_call, 0
	.section	.AMDGPU.csdata,"",@progbits
; Kernel info:
; codeLenInByte = 1076
; TotalNumSgprs: 23
; NumVgprs: 12
; ScratchSize: 0
; MemoryBound: 0
; FloatMode: 240
; IeeeMode: 1
; LDSByteSize: 0 bytes/workgroup (compile time only)
; SGPRBlocks: 0
; VGPRBlocks: 0
; NumSGPRsForWavesPerEU: 23
; NumVGPRsForWavesPerEU: 12
; NamedBarCnt: 0
; Occupancy: 16
; WaveLimiterHint : 0
; COMPUTE_PGM_RSRC2:SCRATCH_EN: 0
; COMPUTE_PGM_RSRC2:USER_SGPR: 2
; COMPUTE_PGM_RSRC2:TRAP_HANDLER: 0
; COMPUTE_PGM_RSRC2:TGID_X_EN: 1
; COMPUTE_PGM_RSRC2:TGID_Y_EN: 1
; COMPUTE_PGM_RSRC2:TGID_Z_EN: 1
; COMPUTE_PGM_RSRC2:TIDIG_COMP_CNT: 0
	.section	.text._ZL33flash_attn_stream_k_fixup_generalILi72ELi1ELi2EEvPfPK15HIP_vector_typeIfLj2EEiiiiS1_IjLj3EES5_S5_S5_,"axG",@progbits,_ZL33flash_attn_stream_k_fixup_generalILi72ELi1ELi2EEvPfPK15HIP_vector_typeIfLj2EEiiiiS1_IjLj3EES5_S5_S5_,comdat
	.globl	_ZL33flash_attn_stream_k_fixup_generalILi72ELi1ELi2EEvPfPK15HIP_vector_typeIfLj2EEiiiiS1_IjLj3EES5_S5_S5_ ; -- Begin function _ZL33flash_attn_stream_k_fixup_generalILi72ELi1ELi2EEvPfPK15HIP_vector_typeIfLj2EEiiiiS1_IjLj3EES5_S5_S5_
	.p2align	8
	.type	_ZL33flash_attn_stream_k_fixup_generalILi72ELi1ELi2EEvPfPK15HIP_vector_typeIfLj2EEiiiiS1_IjLj3EES5_S5_S5_,@function
_ZL33flash_attn_stream_k_fixup_generalILi72ELi1ELi2EEvPfPK15HIP_vector_typeIfLj2EEiiiiS1_IjLj3EES5_S5_S5_: ; @_ZL33flash_attn_stream_k_fixup_generalILi72ELi1ELi2EEvPfPK15HIP_vector_typeIfLj2EEiiiiS1_IjLj3EES5_S5_S5_
; %bb.0:
	s_clause 0x1
	s_load_b128 s[4:7], s[0:1], 0x10
	s_load_b32 s16, s[0:1], 0x50
	s_bfe_u32 s2, ttmp6, 0x4000c
	s_and_b32 s3, ttmp6, 15
	s_add_co_i32 s2, s2, 1
	s_getreg_b32 s15, hwreg(HW_REG_IB_STS2, 6, 4)
	s_mul_i32 s2, ttmp9, s2
	s_mov_b32 s17, 0
	s_add_co_i32 s3, s3, s2
	s_cmp_eq_u32 s15, 0
	s_cselect_b32 s2, ttmp9, s3
	s_delay_alu instid0(SALU_CYCLE_1) | instskip(SKIP_3) | instid1(SALU_CYCLE_1)
	s_ashr_i32 s3, s2, 31
	s_wait_kmcnt 0x0
	s_ashr_i32 s19, s7, 31
	s_mov_b32 s18, s7
	s_mul_u64 s[8:9], s[18:19], s[2:3]
	s_delay_alu instid0(SALU_CYCLE_1) | instskip(NEXT) | instid1(SALU_CYCLE_1)
	s_and_b64 s[10:11], s[8:9], 0xffffffff00000000
	s_cmp_lg_u64 s[10:11], 0
	s_cbranch_scc0 .LBB51_21
; %bb.1:
	s_add_nc_u64 s[10:11], s[16:17], 0
	s_mov_b32 s23, s17
	s_xor_b64 s[10:11], s[10:11], 0
	s_mov_b32 s27, s17
	s_cvt_f32_u32 s3, s10
	s_cvt_f32_u32 s7, s11
	s_sub_nc_u64 s[20:21], 0, s[10:11]
	s_delay_alu instid0(SALU_CYCLE_2) | instskip(NEXT) | instid1(SALU_CYCLE_3)
	s_fmamk_f32 s3, s7, 0x4f800000, s3
	v_s_rcp_f32 s3, s3
	s_delay_alu instid0(TRANS32_DEP_1) | instskip(NEXT) | instid1(SALU_CYCLE_3)
	s_mul_f32 s3, s3, 0x5f7ffffc
	s_mul_f32 s7, s3, 0x2f800000
	s_delay_alu instid0(SALU_CYCLE_3) | instskip(NEXT) | instid1(SALU_CYCLE_3)
	s_trunc_f32 s7, s7
	s_fmamk_f32 s3, s7, 0xcf800000, s3
	s_cvt_u32_f32 s13, s7
	s_delay_alu instid0(SALU_CYCLE_2) | instskip(NEXT) | instid1(SALU_CYCLE_3)
	s_cvt_u32_f32 s12, s3
	s_mul_u64 s[24:25], s[20:21], s[12:13]
	s_delay_alu instid0(SALU_CYCLE_1)
	s_mul_hi_u32 s29, s12, s25
	s_mul_i32 s28, s12, s25
	s_mul_hi_u32 s22, s12, s24
	s_mul_i32 s7, s13, s24
	s_add_nc_u64 s[22:23], s[22:23], s[28:29]
	s_mul_hi_u32 s3, s13, s24
	s_mul_hi_u32 s14, s13, s25
	s_add_co_u32 s7, s22, s7
	s_add_co_ci_u32 s26, s23, s3
	s_mul_i32 s24, s13, s25
	s_add_co_ci_u32 s25, s14, 0
	s_delay_alu instid0(SALU_CYCLE_1) | instskip(SKIP_3) | instid1(SALU_CYCLE_1)
	s_add_nc_u64 s[22:23], s[26:27], s[24:25]
	s_mov_b32 s25, s17
	s_add_co_u32 s12, s12, s22
	s_cselect_b32 s3, -1, 0
	s_cmp_lg_u32 s3, 0
	s_add_co_ci_u32 s13, s13, s23
	s_mov_b32 s23, s17
	s_mul_u64 s[20:21], s[20:21], s[12:13]
	s_delay_alu instid0(SALU_CYCLE_1)
	s_mul_hi_u32 s27, s12, s21
	s_mul_i32 s26, s12, s21
	s_mul_hi_u32 s22, s12, s20
	s_mul_i32 s7, s13, s20
	s_add_nc_u64 s[22:23], s[22:23], s[26:27]
	s_mul_hi_u32 s3, s13, s20
	s_mul_hi_u32 s14, s13, s21
	s_add_co_u32 s7, s22, s7
	s_add_co_ci_u32 s24, s23, s3
	s_mul_i32 s20, s13, s21
	s_add_co_ci_u32 s21, s14, 0
	s_mov_b32 s23, s17
	s_add_nc_u64 s[20:21], s[24:25], s[20:21]
	s_delay_alu instid0(SALU_CYCLE_1) | instskip(SKIP_1) | instid1(SALU_CYCLE_1)
	s_add_co_u32 s3, s12, s20
	s_cselect_b32 s7, -1, 0
	s_cmp_lg_u32 s7, 0
	s_add_co_ci_u32 s7, s13, s21
	s_ashr_i32 s12, s9, 31
	s_delay_alu instid0(SALU_CYCLE_1) | instskip(NEXT) | instid1(SALU_CYCLE_1)
	s_mov_b32 s13, s12
	s_add_nc_u64 s[20:21], s[8:9], s[12:13]
	s_delay_alu instid0(SALU_CYCLE_1) | instskip(NEXT) | instid1(SALU_CYCLE_1)
	s_xor_b64 s[20:21], s[20:21], s[12:13]
	s_mul_hi_u32 s27, s20, s7
	s_mul_i32 s26, s20, s7
	s_mul_hi_u32 s22, s20, s3
	s_mul_hi_u32 s14, s21, s3
	s_mul_i32 s3, s21, s3
	s_add_nc_u64 s[22:23], s[22:23], s[26:27]
	s_mul_hi_u32 s9, s21, s7
	s_add_co_u32 s3, s22, s3
	s_add_co_ci_u32 s24, s23, s14
	s_mul_i32 s26, s21, s7
	s_add_co_ci_u32 s27, s9, 0
	s_delay_alu instid0(SALU_CYCLE_1) | instskip(NEXT) | instid1(SALU_CYCLE_1)
	s_add_nc_u64 s[22:23], s[24:25], s[26:27]
	s_and_b64 s[24:25], s[22:23], 0xffffffff00000000
	s_delay_alu instid0(SALU_CYCLE_1) | instskip(NEXT) | instid1(SALU_CYCLE_1)
	s_or_b32 s24, s24, s22
	s_mul_u64 s[22:23], s[10:11], s[24:25]
	s_add_nc_u64 s[26:27], s[24:25], 1
	s_sub_co_u32 s3, s20, s22
	s_cselect_b32 s7, -1, 0
	s_sub_co_i32 s9, s21, s23
	s_cmp_lg_u32 s7, 0
	s_add_nc_u64 s[28:29], s[24:25], 2
	s_sub_co_ci_u32 s9, s9, s11
	s_sub_co_u32 s14, s3, s10
	s_cselect_b32 s20, -1, 0
	s_delay_alu instid0(SALU_CYCLE_1) | instskip(SKIP_1) | instid1(SALU_CYCLE_1)
	s_cmp_lg_u32 s20, 0
	s_sub_co_ci_u32 s9, s9, 0
	s_cmp_ge_u32 s9, s11
	s_cselect_b32 s20, -1, 0
	s_cmp_ge_u32 s14, s10
	s_cselect_b32 s14, -1, 0
	s_cmp_eq_u32 s9, s11
	s_cselect_b32 s9, s14, s20
	s_delay_alu instid0(SALU_CYCLE_1) | instskip(SKIP_4) | instid1(SALU_CYCLE_1)
	s_cmp_lg_u32 s9, 0
	s_cselect_b32 s9, s28, s26
	s_cselect_b32 s14, s29, s27
	s_cmp_lg_u32 s7, 0
	s_sub_co_ci_u32 s7, s21, s23
	s_cmp_ge_u32 s7, s11
	s_cselect_b32 s20, -1, 0
	s_cmp_ge_u32 s3, s10
	s_cselect_b32 s3, -1, 0
	s_cmp_eq_u32 s7, s11
	s_cselect_b32 s3, s3, s20
	s_delay_alu instid0(SALU_CYCLE_1) | instskip(SKIP_4) | instid1(SALU_CYCLE_1)
	s_cmp_lg_u32 s3, 0
	s_mov_b32 s3, s17
	s_cselect_b32 s11, s14, s25
	s_cselect_b32 s10, s9, s24
	s_xor_b64 s[12:13], s[12:13], 0
	s_xor_b64 s[10:11], s[10:11], s[12:13]
	s_delay_alu instid0(SALU_CYCLE_1)
	s_sub_nc_u64 s[20:21], s[10:11], s[12:13]
	s_and_not1_b32 vcc_lo, exec_lo, s3
	s_cbranch_vccnz .LBB51_3
.LBB51_2:
	v_cvt_f32_u32_e32 v1, s16
	s_sub_co_i32 s7, 0, s16
	s_mov_b32 s21, 0
	s_delay_alu instid0(VALU_DEP_1) | instskip(SKIP_1) | instid1(TRANS32_DEP_1)
	v_rcp_iflag_f32_e32 v1, v1
	v_nop
	v_mul_f32_e32 v1, 0x4f7ffffe, v1
	s_delay_alu instid0(VALU_DEP_1) | instskip(NEXT) | instid1(VALU_DEP_1)
	v_cvt_u32_f32_e32 v1, v1
	v_readfirstlane_b32 s3, v1
	s_mul_i32 s7, s7, s3
	s_delay_alu instid0(SALU_CYCLE_1) | instskip(NEXT) | instid1(SALU_CYCLE_1)
	s_mul_hi_u32 s7, s3, s7
	s_add_co_i32 s3, s3, s7
	s_delay_alu instid0(SALU_CYCLE_1) | instskip(NEXT) | instid1(SALU_CYCLE_1)
	s_mul_hi_u32 s3, s8, s3
	s_mul_i32 s7, s3, s16
	s_delay_alu instid0(SALU_CYCLE_1)
	s_sub_co_i32 s7, s8, s7
	s_add_co_i32 s8, s3, 1
	s_sub_co_i32 s9, s7, s16
	s_cmp_ge_u32 s7, s16
	s_cselect_b32 s3, s8, s3
	s_cselect_b32 s7, s9, s7
	s_add_co_i32 s8, s3, 1
	s_cmp_ge_u32 s7, s16
	s_cselect_b32 s20, s8, s3
.LBB51_3:
	s_add_co_i32 s8, s2, 1
	s_delay_alu instid0(SALU_CYCLE_1) | instskip(NEXT) | instid1(SALU_CYCLE_1)
	s_ashr_i32 s9, s8, 31
	s_mul_u64 s[8:9], s[18:19], s[8:9]
	s_delay_alu instid0(SALU_CYCLE_1) | instskip(NEXT) | instid1(SALU_CYCLE_1)
	s_and_b64 s[10:11], s[8:9], 0xffffffff00000000
	s_cmp_lg_u64 s[10:11], 0
	s_cbranch_scc0 .LBB51_22
; %bb.4:
	s_add_nc_u64 s[10:11], s[16:17], 0
	s_delay_alu instid0(SALU_CYCLE_1) | instskip(SKIP_4) | instid1(SALU_CYCLE_2)
	s_xor_b64 s[12:13], s[10:11], 0
	s_mov_b32 s11, 0
	s_cvt_f32_u32 s3, s12
	s_cvt_f32_u32 s7, s13
	s_sub_nc_u64 s[24:25], 0, s[12:13]
	s_fmamk_f32 s3, s7, 0x4f800000, s3
	s_delay_alu instid0(SALU_CYCLE_3) | instskip(NEXT) | instid1(TRANS32_DEP_1)
	v_s_rcp_f32 s3, s3
	s_mul_f32 s3, s3, 0x5f7ffffc
	s_delay_alu instid0(SALU_CYCLE_3) | instskip(NEXT) | instid1(SALU_CYCLE_3)
	s_mul_f32 s7, s3, 0x2f800000
	s_trunc_f32 s7, s7
	s_delay_alu instid0(SALU_CYCLE_3) | instskip(SKIP_1) | instid1(SALU_CYCLE_2)
	s_fmamk_f32 s3, s7, 0xcf800000, s3
	s_cvt_u32_f32 s23, s7
	s_cvt_u32_f32 s22, s3
	s_delay_alu instid0(SALU_CYCLE_3) | instskip(NEXT) | instid1(SALU_CYCLE_1)
	s_mul_u64 s[26:27], s[24:25], s[22:23]
	s_mul_hi_u32 s29, s22, s27
	s_mul_i32 s28, s22, s27
	s_mul_hi_u32 s10, s22, s26
	s_mul_i32 s7, s23, s26
	s_add_nc_u64 s[28:29], s[10:11], s[28:29]
	s_mul_hi_u32 s3, s23, s26
	s_mul_hi_u32 s14, s23, s27
	s_add_co_u32 s7, s28, s7
	s_add_co_ci_u32 s10, s29, s3
	s_mul_i32 s26, s23, s27
	s_add_co_ci_u32 s27, s14, 0
	s_delay_alu instid0(SALU_CYCLE_1) | instskip(NEXT) | instid1(SALU_CYCLE_1)
	s_add_nc_u64 s[26:27], s[10:11], s[26:27]
	s_add_co_u32 s22, s22, s26
	s_cselect_b32 s3, -1, 0
	s_delay_alu instid0(SALU_CYCLE_1) | instskip(SKIP_1) | instid1(SALU_CYCLE_1)
	s_cmp_lg_u32 s3, 0
	s_add_co_ci_u32 s23, s23, s27
	s_mul_u64 s[24:25], s[24:25], s[22:23]
	s_delay_alu instid0(SALU_CYCLE_1)
	s_mul_hi_u32 s27, s22, s25
	s_mul_i32 s26, s22, s25
	s_mul_hi_u32 s10, s22, s24
	s_mul_i32 s7, s23, s24
	s_add_nc_u64 s[26:27], s[10:11], s[26:27]
	s_mul_hi_u32 s3, s23, s24
	s_mul_hi_u32 s14, s23, s25
	s_add_co_u32 s7, s26, s7
	s_add_co_ci_u32 s10, s27, s3
	s_mul_i32 s24, s23, s25
	s_add_co_ci_u32 s25, s14, 0
	s_delay_alu instid0(SALU_CYCLE_1) | instskip(NEXT) | instid1(SALU_CYCLE_1)
	s_add_nc_u64 s[24:25], s[10:11], s[24:25]
	s_add_co_u32 s3, s22, s24
	s_cselect_b32 s7, -1, 0
	s_delay_alu instid0(SALU_CYCLE_1) | instskip(SKIP_2) | instid1(SALU_CYCLE_1)
	s_cmp_lg_u32 s7, 0
	s_add_co_ci_u32 s7, s23, s25
	s_ashr_i32 s22, s9, 31
	s_mov_b32 s23, s22
	s_delay_alu instid0(SALU_CYCLE_1) | instskip(NEXT) | instid1(SALU_CYCLE_1)
	s_add_nc_u64 s[24:25], s[8:9], s[22:23]
	s_xor_b64 s[24:25], s[24:25], s[22:23]
	s_delay_alu instid0(SALU_CYCLE_1)
	s_mul_hi_u32 s27, s24, s7
	s_mul_i32 s26, s24, s7
	s_mul_hi_u32 s10, s24, s3
	s_mul_hi_u32 s14, s25, s3
	s_mul_i32 s3, s25, s3
	s_add_nc_u64 s[26:27], s[10:11], s[26:27]
	s_mul_hi_u32 s9, s25, s7
	s_add_co_u32 s3, s26, s3
	s_add_co_ci_u32 s10, s27, s14
	s_mul_i32 s28, s25, s7
	s_add_co_ci_u32 s29, s9, 0
	s_delay_alu instid0(SALU_CYCLE_1) | instskip(NEXT) | instid1(SALU_CYCLE_1)
	s_add_nc_u64 s[26:27], s[10:11], s[28:29]
	s_and_b64 s[28:29], s[26:27], 0xffffffff00000000
	s_delay_alu instid0(SALU_CYCLE_1) | instskip(NEXT) | instid1(SALU_CYCLE_1)
	s_or_b32 s28, s28, s26
	s_mul_u64 s[26:27], s[12:13], s[28:29]
	s_add_nc_u64 s[30:31], s[28:29], 1
	s_sub_co_u32 s3, s24, s26
	s_cselect_b32 s7, -1, 0
	s_sub_co_i32 s9, s25, s27
	s_cmp_lg_u32 s7, 0
	s_add_nc_u64 s[34:35], s[28:29], 2
	s_sub_co_ci_u32 s9, s9, s13
	s_sub_co_u32 s10, s3, s12
	s_cselect_b32 s14, -1, 0
	s_delay_alu instid0(SALU_CYCLE_1) | instskip(SKIP_1) | instid1(SALU_CYCLE_1)
	s_cmp_lg_u32 s14, 0
	s_sub_co_ci_u32 s9, s9, 0
	s_cmp_ge_u32 s9, s13
	s_cselect_b32 s14, -1, 0
	s_cmp_ge_u32 s10, s12
	s_cselect_b32 s10, -1, 0
	s_cmp_eq_u32 s9, s13
	s_cselect_b32 s9, s10, s14
	s_delay_alu instid0(SALU_CYCLE_1) | instskip(SKIP_4) | instid1(SALU_CYCLE_1)
	s_cmp_lg_u32 s9, 0
	s_cselect_b32 s9, s34, s30
	s_cselect_b32 s10, s35, s31
	s_cmp_lg_u32 s7, 0
	s_sub_co_ci_u32 s7, s25, s27
	s_cmp_ge_u32 s7, s13
	s_cselect_b32 s14, -1, 0
	s_cmp_ge_u32 s3, s12
	s_cselect_b32 s3, -1, 0
	s_cmp_eq_u32 s7, s13
	s_cselect_b32 s3, s3, s14
	s_delay_alu instid0(SALU_CYCLE_1) | instskip(SKIP_3) | instid1(SALU_CYCLE_1)
	s_cmp_lg_u32 s3, 0
	s_cselect_b32 s13, s10, s29
	s_cselect_b32 s12, s9, s28
	s_xor_b64 s[22:23], s[22:23], 0
	s_xor_b64 s[12:13], s[12:13], s[22:23]
	s_delay_alu instid0(SALU_CYCLE_1)
	s_sub_nc_u64 s[24:25], s[12:13], s[22:23]
	s_load_b96 s[12:14], s[0:1], 0x44
	s_cbranch_execnz .LBB51_6
.LBB51_5:
	v_cvt_f32_u32_e32 v1, s16
	s_sub_co_i32 s7, 0, s16
	s_delay_alu instid0(VALU_DEP_1) | instskip(SKIP_1) | instid1(TRANS32_DEP_1)
	v_rcp_iflag_f32_e32 v1, v1
	v_nop
	v_mul_f32_e32 v1, 0x4f7ffffe, v1
	s_delay_alu instid0(VALU_DEP_1) | instskip(NEXT) | instid1(VALU_DEP_1)
	v_cvt_u32_f32_e32 v1, v1
	v_readfirstlane_b32 s3, v1
	s_mul_i32 s7, s7, s3
	s_delay_alu instid0(SALU_CYCLE_1) | instskip(NEXT) | instid1(SALU_CYCLE_1)
	s_mul_hi_u32 s7, s3, s7
	s_add_co_i32 s3, s3, s7
	s_delay_alu instid0(SALU_CYCLE_1) | instskip(NEXT) | instid1(SALU_CYCLE_1)
	s_mul_hi_u32 s3, s8, s3
	s_mul_i32 s7, s3, s16
	s_delay_alu instid0(SALU_CYCLE_1)
	s_sub_co_i32 s7, s8, s7
	s_add_co_i32 s8, s3, 1
	s_sub_co_i32 s9, s7, s16
	s_cmp_ge_u32 s7, s16
	s_cselect_b32 s3, s8, s3
	s_cselect_b32 s7, s9, s7
	s_add_co_i32 s8, s3, 1
	s_cmp_ge_u32 s7, s16
	s_cselect_b32 s24, s8, s3
.LBB51_6:
	s_delay_alu instid0(SALU_CYCLE_1)
	s_cmp_eq_u32 s20, s24
	s_mov_b64 s[8:9], 0xffffffff
	s_cselect_b32 s3, -1, 0
	s_and_b64 s[8:9], s[20:21], s[8:9]
	s_mov_b32 s23, 0
	s_wait_kmcnt 0x0
	s_mov_b32 s22, s12
	s_mov_b32 s25, s23
	s_mul_u64 s[10:11], s[8:9], s[22:23]
	s_delay_alu instid0(SALU_CYCLE_1) | instskip(SKIP_2) | instid1(SALU_CYCLE_1)
	s_add_co_i32 s7, s11, s20
	s_mul_u64 s[10:11], s[24:25], s[22:23]
	s_lshr_b32 s12, s7, s13
	s_mul_i32 s7, s12, s14
	s_delay_alu instid0(SALU_CYCLE_1) | instskip(SKIP_2) | instid1(SALU_CYCLE_1)
	s_cmp_eq_u32 s7, s20
	s_cselect_b32 s7, -1, 0
	s_add_co_i32 s10, s11, s24
	s_lshr_b32 s10, s10, s13
	s_delay_alu instid0(SALU_CYCLE_1)
	s_cmp_eq_u32 s12, s10
	s_mul_i32 s10, s10, s14
	s_cselect_b32 s11, -1, 0
	s_cmp_lg_u32 s10, s24
	s_cselect_b32 s10, -1, 0
	s_or_b32 s3, s3, s7
	s_and_b32 s10, s11, s10
	s_delay_alu instid0(SALU_CYCLE_1) | instskip(NEXT) | instid1(SALU_CYCLE_1)
	s_or_b32 s3, s3, s10
	s_and_b32 vcc_lo, exec_lo, s3
	s_cbranch_vccnz .LBB51_24
; %bb.7:
	s_load_b256 s[24:31], s[0:1], 0x20
	s_bfe_u32 s3, ttmp6, 0x40014
	s_bfe_u32 s33, ttmp6, 0x40010
	s_lshr_b32 s7, ttmp7, 16
	s_add_co_i32 s3, s3, 1
	s_and_b32 s21, ttmp7, 0xffff
	s_add_co_i32 s33, s33, 1
	s_bfe_u32 s10, ttmp6, 0x40008
	s_mul_i32 s3, s7, s3
	s_bfe_u32 s34, ttmp6, 0x40004
	s_mul_i32 s33, s21, s33
	s_mov_b32 s11, s23
	s_add_co_i32 s35, s10, s3
	s_add_co_i32 s34, s34, s33
	s_cmp_eq_u32 s15, 0
	s_cselect_b32 s3, s21, s34
	s_cselect_b32 s15, s7, s35
	s_wait_kmcnt 0x0
	s_mov_b32 s10, s24
	s_delay_alu instid0(SALU_CYCLE_1) | instskip(SKIP_2) | instid1(SALU_CYCLE_1)
	s_mul_u64 s[8:9], s[8:9], s[10:11]
	s_load_b32 s8, s[0:1], 0x40
	s_add_co_i32 s7, s9, s20
	s_lshr_b32 s7, s7, s25
	s_delay_alu instid0(SALU_CYCLE_1) | instskip(NEXT) | instid1(SALU_CYCLE_1)
	s_mul_i32 s9, s7, s26
	s_sub_co_i32 s9, s20, s9
	s_delay_alu instid0(SALU_CYCLE_1) | instskip(NEXT) | instid1(SALU_CYCLE_1)
	s_mul_hi_u32 s10, s9, s27
	s_add_co_i32 s10, s9, s10
	s_delay_alu instid0(SALU_CYCLE_1) | instskip(NEXT) | instid1(SALU_CYCLE_1)
	s_lshr_b32 s21, s10, s28
	s_mul_i32 s10, s21, s29
	s_delay_alu instid0(SALU_CYCLE_1) | instskip(NEXT) | instid1(SALU_CYCLE_1)
	s_sub_co_i32 s10, s9, s10
	s_mul_hi_u32 s9, s10, s30
	s_delay_alu instid0(SALU_CYCLE_1) | instskip(NEXT) | instid1(SALU_CYCLE_1)
	s_add_co_i32 s9, s10, s9
	s_lshr_b32 s25, s9, s31
	s_mov_b32 s9, s23
	s_wait_kmcnt 0x0
	s_mul_i32 s8, s25, s8
	s_lshl_b32 s25, s25, 1
	s_sub_co_i32 s8, s10, s8
	s_delay_alu instid0(SALU_CYCLE_1) | instskip(NEXT) | instid1(SALU_CYCLE_1)
	s_mul_u64 s[10:11], s[8:9], s[22:23]
	s_add_co_i32 s8, s8, s11
	s_delay_alu instid0(SALU_CYCLE_1) | instskip(NEXT) | instid1(SALU_CYCLE_1)
	s_lshr_b32 s24, s8, s13
	s_add_co_i32 s24, s24, s3
	s_delay_alu instid0(SALU_CYCLE_1) | instskip(SKIP_2) | instid1(SALU_CYCLE_1)
	s_cmp_lt_i32 s24, s4
	s_cselect_b32 s8, -1, 0
	s_add_co_i32 s25, s25, s15
	s_cmp_lt_i32 s25, s6
	s_cselect_b32 s9, -1, 0
	s_delay_alu instid0(SALU_CYCLE_1) | instskip(NEXT) | instid1(SALU_CYCLE_1)
	s_and_b32 s8, s8, s9
	s_and_not1_b32 vcc_lo, exec_lo, s8
	s_cbranch_vccnz .LBB51_24
; %bb.8:
	s_load_b128 s[8:11], s[0:1], 0x0
	s_mul_i32 s7, s7, s4
	s_mul_i32 s21, s21, s6
	s_wait_xcnt 0x0
	s_add_co_i32 s0, s24, s7
	s_add_co_i32 s1, s25, s21
	s_mul_i32 s0, s0, s5
	s_add_co_i32 s4, s3, s2
	s_add_co_i32 s1, s1, s0
	s_lshl_b32 s4, s4, 1
	v_mad_u32 v2, 0x48, s1, v0
	s_add_nc_u64 s[0:1], s[16:17], 0
	v_cvt_f32_u32_e32 v4, s16
	s_xor_b64 s[6:7], s[0:1], 0
	s_add_co_i32 s0, s4, s15
	s_cvt_f32_u32 s4, s6
	s_cvt_f32_u32 s5, s7
	s_ashr_i32 s1, s0, 31
	v_rcp_iflag_f32_e32 v4, v4
	s_lshl_b64 s[0:1], s[0:1], 3
	s_fmamk_f32 s4, s5, 0x4f800000, s4
	s_wait_kmcnt 0x0
	global_load_b32 v1, v2, s[8:9] scale_offset
	s_add_nc_u64 s[0:1], s[10:11], s[0:1]
	s_lshl_b32 s24, s16, 3
	s_load_b64 s[28:29], s[0:1], 0x0
	s_wait_xcnt 0x0
	v_s_rcp_f32 s0, s4
	s_lshl_b32 s1, s3, 1
	s_mov_b32 s25, 0
	s_add_co_i32 s4, s1, s15
	v_dual_mul_f32 v4, 0x4f7ffffe, v4 :: v_dual_ashrrev_i32 v3, 31, v2
	v_mad_u32 v6, 0x48, s4, v0
	s_add_co_i32 s36, s2, -1
	s_delay_alu instid0(TRANS32_DEP_1)
	s_mul_f32 s5, s0, 0x5f7ffffc
	s_lshl_b64 s[0:1], s[24:25], 2
	v_lshl_add_u64 v[2:3], v[2:3], 2, s[8:9]
	s_add_nc_u64 s[26:27], s[10:11], s[0:1]
	s_mul_f32 s17, s5, 0x2f800000
	v_cvt_u32_f32_e32 v7, v4
	s_mov_b64 s[8:9], 0xffffffff
	s_sub_nc_u64 s[34:35], 0, s[6:7]
	s_trunc_f32 s0, s17
	s_add_co_i32 s17, s16, s3
	s_wait_kmcnt 0x0
	v_mov_b32_e32 v0, s29
	s_fmamk_f32 s1, s0, 0xcf800000, s5
	s_cvt_u32_f32 s31, s0
	s_delay_alu instid0(SALU_CYCLE_2)
	s_cvt_u32_f32 s30, s1
.LBB51_9:                               ; =>This Inner Loop Header: Depth=1
	s_ashr_i32 s37, s36, 31
                                        ; implicit-def: $sgpr40_sgpr41
	s_delay_alu instid0(SALU_CYCLE_1) | instskip(NEXT) | instid1(SALU_CYCLE_1)
	s_mul_u64 s[0:1], s[36:37], s[18:19]
	s_and_b64 s[2:3], s[0:1], 0xffffffff00000000
	s_delay_alu instid0(SALU_CYCLE_1)
	s_cmp_lg_u64 s[2:3], 0
	s_mov_b32 s2, -1
	s_cbranch_scc0 .LBB51_11
; %bb.10:                               ;   in Loop: Header=BB51_9 Depth=1
	s_mul_u64 s[2:3], s[34:35], s[30:31]
	s_delay_alu instid0(SALU_CYCLE_1)
	s_mul_hi_u32 s5, s30, s3
	s_mul_i32 s4, s30, s3
	s_mul_hi_u32 s24, s30, s2
	s_mul_hi_u32 s21, s31, s2
	s_add_nc_u64 s[4:5], s[24:25], s[4:5]
	s_mul_i32 s2, s31, s2
	s_mul_hi_u32 s29, s31, s3
	s_add_co_u32 s2, s4, s2
	s_add_co_ci_u32 s24, s5, s21
	s_add_co_ci_u32 s5, s29, 0
	s_mul_i32 s4, s31, s3
	s_delay_alu instid0(SALU_CYCLE_1) | instskip(NEXT) | instid1(SALU_CYCLE_1)
	s_add_nc_u64 s[2:3], s[24:25], s[4:5]
	s_add_co_u32 s2, s30, s2
	s_cselect_b32 s4, -1, 0
	s_delay_alu instid0(SALU_CYCLE_1) | instskip(SKIP_1) | instid1(SALU_CYCLE_1)
	s_cmp_lg_u32 s4, 0
	s_add_co_ci_u32 s3, s31, s3
	s_mul_u64 s[4:5], s[34:35], s[2:3]
	s_delay_alu instid0(SALU_CYCLE_1)
	s_mul_hi_u32 s39, s2, s5
	s_mul_i32 s38, s2, s5
	s_mul_hi_u32 s24, s2, s4
	s_mul_hi_u32 s21, s3, s4
	s_mul_i32 s4, s3, s4
	s_add_nc_u64 s[38:39], s[24:25], s[38:39]
	s_mul_hi_u32 s29, s3, s5
	s_add_co_u32 s4, s38, s4
	s_add_co_ci_u32 s24, s39, s21
	s_mul_i32 s4, s3, s5
	s_add_co_ci_u32 s5, s29, 0
	s_delay_alu instid0(SALU_CYCLE_1) | instskip(NEXT) | instid1(SALU_CYCLE_1)
	s_add_nc_u64 s[4:5], s[24:25], s[4:5]
	s_add_co_u32 s21, s2, s4
	s_cselect_b32 s2, -1, 0
	s_delay_alu instid0(SALU_CYCLE_1) | instskip(SKIP_2) | instid1(SALU_CYCLE_1)
	s_cmp_lg_u32 s2, 0
	s_add_co_ci_u32 s29, s3, s5
	s_ashr_i32 s2, s1, 31
	s_mov_b32 s3, s2
	s_delay_alu instid0(SALU_CYCLE_1) | instskip(NEXT) | instid1(SALU_CYCLE_1)
	s_add_nc_u64 s[4:5], s[0:1], s[2:3]
	s_xor_b64 s[4:5], s[4:5], s[2:3]
	s_delay_alu instid0(SALU_CYCLE_1)
	s_mul_hi_u32 s39, s4, s29
	s_mul_i32 s38, s4, s29
	s_mul_hi_u32 s24, s4, s21
	s_mul_hi_u32 s33, s5, s21
	s_mul_i32 s21, s5, s21
	s_add_nc_u64 s[38:39], s[24:25], s[38:39]
	s_mul_hi_u32 s1, s5, s29
	s_add_co_u32 s21, s38, s21
	s_add_co_ci_u32 s24, s39, s33
	s_mul_i32 s40, s5, s29
	s_add_co_ci_u32 s41, s1, 0
	s_delay_alu instid0(SALU_CYCLE_1) | instskip(NEXT) | instid1(SALU_CYCLE_1)
	s_add_nc_u64 s[38:39], s[24:25], s[40:41]
	s_and_b64 s[40:41], s[38:39], 0xffffffff00000000
	s_delay_alu instid0(SALU_CYCLE_1) | instskip(NEXT) | instid1(SALU_CYCLE_1)
	s_or_b32 s40, s40, s38
	s_mul_u64 s[38:39], s[6:7], s[40:41]
	s_add_nc_u64 s[42:43], s[40:41], 1
	s_sub_co_u32 s1, s4, s38
	s_cselect_b32 s4, -1, 0
	s_sub_co_i32 s21, s5, s39
	s_cmp_lg_u32 s4, 0
	s_add_nc_u64 s[44:45], s[40:41], 2
	s_sub_co_ci_u32 s21, s21, s7
	s_sub_co_u32 s24, s1, s6
	s_cselect_b32 s29, -1, 0
	s_delay_alu instid0(SALU_CYCLE_1) | instskip(SKIP_1) | instid1(SALU_CYCLE_1)
	s_cmp_lg_u32 s29, 0
	s_sub_co_ci_u32 s21, s21, 0
	s_cmp_ge_u32 s21, s7
	s_cselect_b32 s29, -1, 0
	s_cmp_ge_u32 s24, s6
	s_cselect_b32 s24, -1, 0
	s_cmp_eq_u32 s21, s7
	s_cselect_b32 s21, s24, s29
	s_delay_alu instid0(SALU_CYCLE_1) | instskip(SKIP_4) | instid1(SALU_CYCLE_1)
	s_cmp_lg_u32 s21, 0
	s_cselect_b32 s21, s44, s42
	s_cselect_b32 s24, s45, s43
	s_cmp_lg_u32 s4, 0
	s_sub_co_ci_u32 s4, s5, s39
	s_cmp_ge_u32 s4, s7
	s_cselect_b32 s5, -1, 0
	s_cmp_ge_u32 s1, s6
	s_cselect_b32 s1, -1, 0
	s_cmp_eq_u32 s4, s7
	s_cselect_b32 s1, s1, s5
	s_delay_alu instid0(SALU_CYCLE_1) | instskip(SKIP_3) | instid1(SALU_CYCLE_1)
	s_cmp_lg_u32 s1, 0
	s_cselect_b32 s5, s24, s41
	s_cselect_b32 s4, s21, s40
	s_xor_b64 s[2:3], s[2:3], 0
	s_xor_b64 s[4:5], s[4:5], s[2:3]
	s_delay_alu instid0(SALU_CYCLE_1)
	s_sub_nc_u64 s[40:41], s[4:5], s[2:3]
	s_mov_b32 s2, 0
.LBB51_11:                              ;   in Loop: Header=BB51_9 Depth=1
	s_delay_alu instid0(SALU_CYCLE_1)
	s_and_not1_b32 vcc_lo, exec_lo, s2
	s_cbranch_vccnz .LBB51_13
; %bb.12:                               ;   in Loop: Header=BB51_9 Depth=1
	v_readfirstlane_b32 s1, v7
	s_sub_co_i32 s2, 0, s16
	s_delay_alu instid0(SALU_CYCLE_1) | instskip(NEXT) | instid1(SALU_CYCLE_1)
	s_mul_i32 s2, s2, s1
	s_mul_hi_u32 s2, s1, s2
	s_delay_alu instid0(SALU_CYCLE_1) | instskip(NEXT) | instid1(SALU_CYCLE_1)
	s_add_co_i32 s1, s1, s2
	s_mul_hi_u32 s1, s0, s1
	s_delay_alu instid0(SALU_CYCLE_1) | instskip(NEXT) | instid1(SALU_CYCLE_1)
	s_mul_i32 s2, s1, s16
	s_sub_co_i32 s0, s0, s2
	s_add_co_i32 s2, s1, 1
	s_sub_co_i32 s3, s0, s16
	s_cmp_ge_u32 s0, s16
	s_cselect_b32 s1, s2, s1
	s_cselect_b32 s0, s3, s0
	s_add_co_i32 s2, s1, 1
	s_cmp_ge_u32 s0, s16
	s_cselect_b32 s24, s2, s1
	s_delay_alu instid0(SALU_CYCLE_1)
	s_mov_b64 s[40:41], s[24:25]
.LBB51_13:                              ;   in Loop: Header=BB51_9 Depth=1
	s_delay_alu instid0(SALU_CYCLE_1)
	s_cmp_lg_u32 s20, s40
	s_mov_b32 s0, -1
                                        ; implicit-def: $vgpr4_vgpr5
                                        ; implicit-def: $sgpr29
                                        ; implicit-def: $sgpr21
                                        ; implicit-def: $sgpr24
                                        ; implicit-def: $sgpr33
	s_cbranch_scc0 .LBB51_18
; %bb.14:                               ;   in Loop: Header=BB51_9 Depth=1
	s_add_co_i32 s0, s17, s36
	v_max_num_f32_e64 v4, s28, s28
	s_lshl_b32 s0, s0, 1
	s_mov_b32 s33, s20
	s_add_co_i32 s0, s0, s15
	s_load_b64 s[38:39], s[10:11], s0 offset:0x0 scale_offset
	s_wait_xcnt 0x0
	v_readfirstlane_b32 s0, v4
	s_wait_kmcnt 0x0
	v_max_num_f32_e64 v5, s38, s38
	s_delay_alu instid0(VALU_DEP_1) | instskip(SKIP_1) | instid1(SALU_CYCLE_3)
	v_readfirstlane_b32 s1, v5
	s_max_num_f32 s21, s0, s1
	s_sub_f32 s37, s28, s21
	s_sub_f32 s38, s38, s21
	s_delay_alu instid0(SALU_CYCLE_2)
	s_cmp_nlt_f32 s37, 0xc2ce8ed0
	s_cselect_b32 s1, -1, 0
	s_cmp_ngt_f32 s37, 0x42b17218
	s_cselect_b32 s2, -1, 0
	s_cmp_ge_f32 s37, 0xc1a00000
	s_cselect_b32 s0, -1, 0
	s_cmp_nlt_f32 s38, 0xc2ce8ed0
	s_cselect_b32 s3, -1, 0
	s_cmp_ngt_f32 s38, 0x42b17218
	s_cselect_b32 s4, -1, 0
	s_cmp_ge_f32 s38, 0xc1a00000
	s_cselect_b32 s5, -1, 0
	s_and_b64 s[42:43], s[40:41], s[8:9]
	s_delay_alu instid0(SALU_CYCLE_1) | instskip(NEXT) | instid1(SALU_CYCLE_1)
	s_mul_u64 s[42:43], s[42:43], s[22:23]
	s_add_co_i32 s24, s43, s40
	s_delay_alu instid0(SALU_CYCLE_1) | instskip(NEXT) | instid1(SALU_CYCLE_1)
	s_lshr_b32 s24, s24, s13
	s_mul_i32 s29, s24, s14
	s_delay_alu instid0(SALU_CYCLE_1) | instskip(SKIP_3) | instid1(SALU_CYCLE_1)
	s_cmp_eq_u32 s29, s40
	s_cselect_b32 s29, -1, 0
	s_cmp_lt_u32 s24, s12
	s_cselect_b32 s24, -1, 0
	s_or_b32 s24, s24, s29
	s_mov_b32 s29, -1
	s_and_b32 vcc_lo, exec_lo, s24
	s_mov_b32 s24, s36
	s_cbranch_vccnz .LBB51_16
; %bb.15:                               ;   in Loop: Header=BB51_9 Depth=1
	s_add_co_i32 s24, s36, -1
	s_mov_b32 s29, 0
	s_mov_b32 s33, s40
.LBB51_16:                              ;   in Loop: Header=BB51_9 Depth=1
	v_mad_u32 v4, 0x90, s36, v6
	s_mul_f32 s41, s37, 0x3fb8aa3b
	s_mul_f32 s40, s38, 0x3fb8aa3b
	s_delay_alu instid0(SALU_CYCLE_2)
	s_xor_b32 s43, s41, 0x80000000
	s_rndne_f32 s45, s41
	s_fmamk_f32 s43, s37, 0x3fb8aa3b, s43
	s_xor_b32 s42, s40, 0x80000000
	s_rndne_f32 s44, s40
	s_sub_f32 s41, s41, s45
	global_load_b32 v5, v4, s[26:27] scale_offset
	s_fmamk_f32 s37, s37, 0x32a5705f, s43
	s_fmamk_f32 s42, s38, 0x3fb8aa3b, s42
	s_sub_f32 s40, s40, s44
	s_delay_alu instid0(SALU_CYCLE_1) | instskip(NEXT) | instid1(SALU_CYCLE_1)
	s_add_f32 s37, s41, s37
	s_fmamk_f32 s38, s38, 0x32a5705f, s42
	s_cvt_i32_f32 s41, s45
	s_delay_alu instid0(SALU_CYCLE_1) | instskip(NEXT) | instid1(SALU_CYCLE_1)
	v_s_exp_f32 s37, s37
	s_add_f32 s38, s40, s38
	s_cvt_i32_f32 s40, s44
	s_delay_alu instid0(SALU_CYCLE_2) | instskip(NEXT) | instid1(TRANS32_DEP_2)
	v_s_exp_f32 s38, s38
	v_ldexp_f32 v8, s37, s41
	s_wait_xcnt 0x0
	s_delay_alu instid0(TRANS32_DEP_1) | instskip(NEXT) | instid1(VALU_DEP_2)
	v_ldexp_f32 v4, s38, s40
	v_cndmask_b32_e64 v8, 0, v8, s1
	s_delay_alu instid0(VALU_DEP_1) | instskip(NEXT) | instid1(VALU_DEP_1)
	v_cndmask_b32_e64 v9, 0x7f800000, v8, s2
	v_dual_cndmask_b32 v4, 0, v4, s3 :: v_dual_cndmask_b32 v10, 0, v9, s0
	s_delay_alu instid0(VALU_DEP_1) | instskip(NEXT) | instid1(VALU_DEP_1)
	v_cndmask_b32_e64 v4, 0x7f800000, v4, s4
	v_dual_cndmask_b32 v8, 0, v4, s5 :: v_dual_mov_b32 v4, s39
	s_wait_loadcnt 0x0
	s_delay_alu instid0(VALU_DEP_1) | instskip(NEXT) | instid1(VALU_DEP_1)
	v_pk_mul_f32 v[4:5], v[4:5], v[8:9] op_sel_hi:[1,0]
	v_pk_fma_f32 v[4:5], v[0:1], v[10:11], v[4:5] op_sel_hi:[1,0,1]
	s_cbranch_execz .LBB51_19
.LBB51_17:                              ;   in Loop: Header=BB51_9 Depth=1
	s_and_not1_b32 vcc_lo, exec_lo, s29
	s_cbranch_vccnz .LBB51_20
	s_branch .LBB51_23
.LBB51_18:                              ;   in Loop: Header=BB51_9 Depth=1
	s_and_not1_b32 vcc_lo, exec_lo, s0
	s_cbranch_vccnz .LBB51_17
.LBB51_19:                              ;   in Loop: Header=BB51_9 Depth=1
	s_wait_loadcnt 0x0
	v_mov_b64_e32 v[4:5], v[0:1]
	s_add_co_i32 s24, s36, -1
	s_mov_b32 s33, s20
	s_mov_b32 s21, s28
	s_cbranch_execz .LBB51_23
.LBB51_20:                              ;   in Loop: Header=BB51_9 Depth=1
	s_wait_loadcnt 0x0
	s_delay_alu instid0(VALU_DEP_1)
	v_mov_b64_e32 v[0:1], v[4:5]
	s_mov_b32 s20, s33
	s_mov_b32 s36, s24
	;; [unrolled: 1-line block ×3, first 2 shown]
	s_branch .LBB51_9
.LBB51_21:
                                        ; implicit-def: $sgpr20_sgpr21
	s_branch .LBB51_2
.LBB51_22:
                                        ; implicit-def: $sgpr24_sgpr25
	s_load_b96 s[12:14], s[0:1], 0x44
	s_branch .LBB51_5
.LBB51_23:
	s_delay_alu instid0(VALU_DEP_1) | instskip(SKIP_1) | instid1(VALU_DEP_1)
	v_div_scale_f32 v0, null, v4, v4, v5
	s_wait_loadcnt 0x0
	v_rcp_f32_e32 v1, v0
	v_nop
	s_delay_alu instid0(TRANS32_DEP_1) | instskip(NEXT) | instid1(VALU_DEP_1)
	v_fma_f32 v6, -v0, v1, 1.0
	v_fmac_f32_e32 v1, v6, v1
	v_div_scale_f32 v6, vcc_lo, v5, v4, v5
	s_delay_alu instid0(VALU_DEP_1) | instskip(NEXT) | instid1(VALU_DEP_1)
	v_mul_f32_e32 v7, v6, v1
	v_fma_f32 v8, -v0, v7, v6
	s_delay_alu instid0(VALU_DEP_1) | instskip(NEXT) | instid1(VALU_DEP_1)
	v_fmac_f32_e32 v7, v8, v1
	v_fma_f32 v0, -v0, v7, v6
	s_delay_alu instid0(VALU_DEP_1) | instskip(NEXT) | instid1(VALU_DEP_1)
	v_div_fmas_f32 v0, v0, v1, v7
	v_div_fixup_f32 v0, v0, v4, v5
	global_store_b32 v[2:3], v0, off
.LBB51_24:
	s_endpgm
	.section	.rodata,"a",@progbits
	.p2align	6, 0x0
	.amdhsa_kernel _ZL33flash_attn_stream_k_fixup_generalILi72ELi1ELi2EEvPfPK15HIP_vector_typeIfLj2EEiiiiS1_IjLj3EES5_S5_S5_
		.amdhsa_group_segment_fixed_size 0
		.amdhsa_private_segment_fixed_size 0
		.amdhsa_kernarg_size 336
		.amdhsa_user_sgpr_count 2
		.amdhsa_user_sgpr_dispatch_ptr 0
		.amdhsa_user_sgpr_queue_ptr 0
		.amdhsa_user_sgpr_kernarg_segment_ptr 1
		.amdhsa_user_sgpr_dispatch_id 0
		.amdhsa_user_sgpr_kernarg_preload_length 0
		.amdhsa_user_sgpr_kernarg_preload_offset 0
		.amdhsa_user_sgpr_private_segment_size 0
		.amdhsa_wavefront_size32 1
		.amdhsa_uses_dynamic_stack 0
		.amdhsa_enable_private_segment 0
		.amdhsa_system_sgpr_workgroup_id_x 1
		.amdhsa_system_sgpr_workgroup_id_y 1
		.amdhsa_system_sgpr_workgroup_id_z 1
		.amdhsa_system_sgpr_workgroup_info 0
		.amdhsa_system_vgpr_workitem_id 0
		.amdhsa_next_free_vgpr 12
		.amdhsa_next_free_sgpr 46
		.amdhsa_named_barrier_count 0
		.amdhsa_reserve_vcc 1
		.amdhsa_float_round_mode_32 0
		.amdhsa_float_round_mode_16_64 0
		.amdhsa_float_denorm_mode_32 3
		.amdhsa_float_denorm_mode_16_64 3
		.amdhsa_fp16_overflow 0
		.amdhsa_memory_ordered 1
		.amdhsa_forward_progress 1
		.amdhsa_inst_pref_size 27
		.amdhsa_round_robin_scheduling 0
		.amdhsa_exception_fp_ieee_invalid_op 0
		.amdhsa_exception_fp_denorm_src 0
		.amdhsa_exception_fp_ieee_div_zero 0
		.amdhsa_exception_fp_ieee_overflow 0
		.amdhsa_exception_fp_ieee_underflow 0
		.amdhsa_exception_fp_ieee_inexact 0
		.amdhsa_exception_int_div_zero 0
	.end_amdhsa_kernel
	.section	.text._ZL33flash_attn_stream_k_fixup_generalILi72ELi1ELi2EEvPfPK15HIP_vector_typeIfLj2EEiiiiS1_IjLj3EES5_S5_S5_,"axG",@progbits,_ZL33flash_attn_stream_k_fixup_generalILi72ELi1ELi2EEvPfPK15HIP_vector_typeIfLj2EEiiiiS1_IjLj3EES5_S5_S5_,comdat
.Lfunc_end51:
	.size	_ZL33flash_attn_stream_k_fixup_generalILi72ELi1ELi2EEvPfPK15HIP_vector_typeIfLj2EEiiiiS1_IjLj3EES5_S5_S5_, .Lfunc_end51-_ZL33flash_attn_stream_k_fixup_generalILi72ELi1ELi2EEvPfPK15HIP_vector_typeIfLj2EEiiiiS1_IjLj3EES5_S5_S5_
                                        ; -- End function
	.set _ZL33flash_attn_stream_k_fixup_generalILi72ELi1ELi2EEvPfPK15HIP_vector_typeIfLj2EEiiiiS1_IjLj3EES5_S5_S5_.num_vgpr, 12
	.set _ZL33flash_attn_stream_k_fixup_generalILi72ELi1ELi2EEvPfPK15HIP_vector_typeIfLj2EEiiiiS1_IjLj3EES5_S5_S5_.num_agpr, 0
	.set _ZL33flash_attn_stream_k_fixup_generalILi72ELi1ELi2EEvPfPK15HIP_vector_typeIfLj2EEiiiiS1_IjLj3EES5_S5_S5_.numbered_sgpr, 46
	.set _ZL33flash_attn_stream_k_fixup_generalILi72ELi1ELi2EEvPfPK15HIP_vector_typeIfLj2EEiiiiS1_IjLj3EES5_S5_S5_.num_named_barrier, 0
	.set _ZL33flash_attn_stream_k_fixup_generalILi72ELi1ELi2EEvPfPK15HIP_vector_typeIfLj2EEiiiiS1_IjLj3EES5_S5_S5_.private_seg_size, 0
	.set _ZL33flash_attn_stream_k_fixup_generalILi72ELi1ELi2EEvPfPK15HIP_vector_typeIfLj2EEiiiiS1_IjLj3EES5_S5_S5_.uses_vcc, 1
	.set _ZL33flash_attn_stream_k_fixup_generalILi72ELi1ELi2EEvPfPK15HIP_vector_typeIfLj2EEiiiiS1_IjLj3EES5_S5_S5_.uses_flat_scratch, 0
	.set _ZL33flash_attn_stream_k_fixup_generalILi72ELi1ELi2EEvPfPK15HIP_vector_typeIfLj2EEiiiiS1_IjLj3EES5_S5_S5_.has_dyn_sized_stack, 0
	.set _ZL33flash_attn_stream_k_fixup_generalILi72ELi1ELi2EEvPfPK15HIP_vector_typeIfLj2EEiiiiS1_IjLj3EES5_S5_S5_.has_recursion, 0
	.set _ZL33flash_attn_stream_k_fixup_generalILi72ELi1ELi2EEvPfPK15HIP_vector_typeIfLj2EEiiiiS1_IjLj3EES5_S5_S5_.has_indirect_call, 0
	.section	.AMDGPU.csdata,"",@progbits
; Kernel info:
; codeLenInByte = 3348
; TotalNumSgprs: 48
; NumVgprs: 12
; ScratchSize: 0
; MemoryBound: 0
; FloatMode: 240
; IeeeMode: 1
; LDSByteSize: 0 bytes/workgroup (compile time only)
; SGPRBlocks: 0
; VGPRBlocks: 0
; NumSGPRsForWavesPerEU: 48
; NumVGPRsForWavesPerEU: 12
; NamedBarCnt: 0
; Occupancy: 16
; WaveLimiterHint : 0
; COMPUTE_PGM_RSRC2:SCRATCH_EN: 0
; COMPUTE_PGM_RSRC2:USER_SGPR: 2
; COMPUTE_PGM_RSRC2:TRAP_HANDLER: 0
; COMPUTE_PGM_RSRC2:TGID_X_EN: 1
; COMPUTE_PGM_RSRC2:TGID_Y_EN: 1
; COMPUTE_PGM_RSRC2:TGID_Z_EN: 1
; COMPUTE_PGM_RSRC2:TIDIG_COMP_CNT: 0
	.section	.text._ZL15flash_attn_tileILi72ELi72ELi64ELi1ELb0EEvPKcS1_S1_S1_S1_PKiPfP15HIP_vector_typeIfLj2EEffffjfiS5_IjLj3EEiiiiiiiiiiiliiliiiiil,"axG",@progbits,_ZL15flash_attn_tileILi72ELi72ELi64ELi1ELb0EEvPKcS1_S1_S1_S1_PKiPfP15HIP_vector_typeIfLj2EEffffjfiS5_IjLj3EEiiiiiiiiiiiliiliiiiil,comdat
	.globl	_ZL15flash_attn_tileILi72ELi72ELi64ELi1ELb0EEvPKcS1_S1_S1_S1_PKiPfP15HIP_vector_typeIfLj2EEffffjfiS5_IjLj3EEiiiiiiiiiiiliiliiiiil ; -- Begin function _ZL15flash_attn_tileILi72ELi72ELi64ELi1ELb0EEvPKcS1_S1_S1_S1_PKiPfP15HIP_vector_typeIfLj2EEffffjfiS5_IjLj3EEiiiiiiiiiiiliiliiiiil
	.p2align	8
	.type	_ZL15flash_attn_tileILi72ELi72ELi64ELi1ELb0EEvPKcS1_S1_S1_S1_PKiPfP15HIP_vector_typeIfLj2EEffffjfiS5_IjLj3EEiiiiiiiiiiiliiliiiiil,@function
_ZL15flash_attn_tileILi72ELi72ELi64ELi1ELb0EEvPKcS1_S1_S1_S1_PKiPfP15HIP_vector_typeIfLj2EEffffjfiS5_IjLj3EEiiiiiiiiiiiliiliiiiil: ; @_ZL15flash_attn_tileILi72ELi72ELi64ELi1ELb0EEvPKcS1_S1_S1_S1_PKiPfP15HIP_vector_typeIfLj2EEffffjfiS5_IjLj3EEiiiiiiiiiiiliiliiiiil
; %bb.0:
	s_clause 0x1
	s_load_b128 s[28:31], s[0:1], 0x5c
	s_load_b64 s[44:45], s[0:1], 0x80
	s_bfe_u32 s4, ttmp6, 0x40014
	s_lshr_b32 s3, ttmp7, 16
	s_add_co_i32 s4, s4, 1
	s_bfe_u32 s5, ttmp6, 0x40008
	s_mul_i32 s4, s3, s4
	s_getreg_b32 s40, hwreg(HW_REG_IB_STS2, 6, 4)
	s_add_co_i32 s5, s5, s4
	s_load_b512 s[12:27], s[0:1], 0x0
	s_mov_b32 s11, 0
	s_mov_b64 s[36:37], 0
	s_wait_kmcnt 0x0
	s_cvt_f32_u32 s2, s31
	s_sub_co_i32 s6, 0, s31
	s_delay_alu instid0(SALU_CYCLE_2) | instskip(SKIP_1) | instid1(TRANS32_DEP_1)
	v_rcp_iflag_f32_e32 v1, s2
	v_nop
	v_readfirstlane_b32 s2, v1
	s_mul_f32 s2, s2, 0x4f7ffffe
	s_delay_alu instid0(SALU_CYCLE_3) | instskip(NEXT) | instid1(SALU_CYCLE_3)
	s_cvt_u32_f32 s2, s2
	s_mul_i32 s6, s6, s2
	s_delay_alu instid0(SALU_CYCLE_1) | instskip(NEXT) | instid1(SALU_CYCLE_1)
	s_mul_hi_u32 s6, s2, s6
	s_add_co_i32 s2, s2, s6
	s_cmp_eq_u32 s40, 0
	s_cselect_b32 s8, s3, s5
	s_delay_alu instid0(SALU_CYCLE_1) | instskip(NEXT) | instid1(SALU_CYCLE_1)
	s_mul_hi_u32 s2, s8, s2
	s_mul_i32 s3, s2, s31
	s_add_co_i32 s4, s2, 1
	s_sub_co_i32 s3, s8, s3
	s_delay_alu instid0(SALU_CYCLE_1)
	s_sub_co_i32 s5, s3, s31
	s_cmp_ge_u32 s3, s31
	s_cselect_b32 s2, s4, s2
	s_cselect_b32 s3, s5, s3
	s_add_co_i32 s4, s2, 1
	s_cmp_ge_u32 s3, s31
	s_cselect_b32 s34, s4, s2
	s_abs_i32 s2, s45
	s_abs_i32 s5, s31
	s_cvt_f32_u32 s3, s2
	s_sub_co_i32 s4, 0, s2
	s_mul_i32 s9, s34, s31
	s_delay_alu instid0(SALU_CYCLE_1) | instskip(SKIP_1) | instid1(TRANS32_DEP_1)
	v_rcp_iflag_f32_e32 v1, s3
	v_nop
	v_readfirstlane_b32 s3, v1
	s_mul_f32 s3, s3, 0x4f7ffffe
	s_delay_alu instid0(SALU_CYCLE_3) | instskip(NEXT) | instid1(SALU_CYCLE_3)
	s_cvt_u32_f32 s3, s3
	s_mul_i32 s4, s4, s3
	s_delay_alu instid0(SALU_CYCLE_1) | instskip(NEXT) | instid1(SALU_CYCLE_1)
	s_mul_hi_u32 s4, s3, s4
	s_add_co_i32 s3, s3, s4
	s_xor_b32 s4, s31, s45
	s_mul_hi_u32 s3, s5, s3
	s_ashr_i32 s4, s4, 31
	s_mul_i32 s6, s3, s2
	s_delay_alu instid0(SALU_CYCLE_1)
	s_sub_co_i32 s5, s5, s6
	s_add_co_i32 s6, s3, 1
	s_sub_co_i32 s7, s5, s2
	s_cmp_ge_u32 s5, s2
	s_cselect_b32 s3, s6, s3
	s_cselect_b32 s5, s7, s5
	s_add_co_i32 s6, s3, 1
	s_cmp_ge_u32 s5, s2
	s_cselect_b32 s2, s6, s3
	s_delay_alu instid0(SALU_CYCLE_1) | instskip(SKIP_2) | instid1(SALU_CYCLE_1)
	s_xor_b32 s5, s2, s4
	s_load_b64 s[2:3], s[0:1], 0xb8
	s_sub_co_i32 s35, s5, s4
	s_abs_i32 s41, s35
	s_cmp_eq_u64 s[18:19], 0
	s_cvt_f32_u32 s4, s41
	s_delay_alu instid0(SALU_CYCLE_3) | instskip(SKIP_1) | instid1(TRANS32_DEP_1)
	v_rcp_iflag_f32_e32 v1, s4
	v_nop
	v_readfirstlane_b32 s42, v1
	s_cbranch_scc1 .LBB52_2
; %bb.1:
	s_wait_kmcnt 0x0
	s_abs_i32 s2, s2
	s_abs_i32 s6, s34
	s_cvt_f32_u32 s4, s2
	s_sub_co_i32 s5, 0, s2
	s_delay_alu instid0(SALU_CYCLE_2) | instskip(SKIP_1) | instid1(TRANS32_DEP_1)
	v_rcp_iflag_f32_e32 v1, s4
	v_nop
	v_readfirstlane_b32 s4, v1
	s_mul_f32 s4, s4, 0x4f7ffffe
	s_delay_alu instid0(SALU_CYCLE_3) | instskip(NEXT) | instid1(SALU_CYCLE_3)
	s_cvt_u32_f32 s4, s4
	s_mul_i32 s5, s5, s4
	s_delay_alu instid0(SALU_CYCLE_1) | instskip(NEXT) | instid1(SALU_CYCLE_1)
	s_mul_hi_u32 s5, s4, s5
	s_add_co_i32 s4, s4, s5
	s_delay_alu instid0(SALU_CYCLE_1) | instskip(SKIP_2) | instid1(SALU_CYCLE_1)
	s_mul_hi_u32 s7, s6, s4
	s_load_b64 s[4:5], s[0:1], 0xc8
	s_mul_i32 s7, s7, s2
	s_sub_co_i32 s6, s6, s7
	s_ashr_i32 s7, s34, 31
	s_sub_co_i32 s10, s6, s2
	s_cmp_ge_u32 s6, s2
	s_cselect_b32 s6, s10, s6
	s_delay_alu instid0(SALU_CYCLE_1) | instskip(SKIP_2) | instid1(SALU_CYCLE_1)
	s_sub_co_i32 s10, s6, s2
	s_cmp_ge_u32 s6, s2
	s_cselect_b32 s2, s10, s6
	s_xor_b32 s2, s2, s7
	s_delay_alu instid0(SALU_CYCLE_1) | instskip(NEXT) | instid1(SALU_CYCLE_1)
	s_sub_co_i32 s6, s2, s7
	s_ashr_i32 s7, s6, 31
	s_wait_kmcnt 0x0
	s_mul_u64 s[4:5], s[4:5], s[6:7]
	s_delay_alu instid0(SALU_CYCLE_1)
	s_add_nc_u64 s[36:37], s[18:19], s[4:5]
.LBB52_2:
	s_load_b128 s[4:7], s[0:1], 0x40
	s_wait_kmcnt 0x0
	s_load_b32 s2, s[0:1], 0x50
	s_sub_co_i32 s19, s8, s9
	v_mov_b32_e32 v42, 1.0
	s_cmp_le_f32 s5, 0
	s_cbranch_scc1 .LBB52_4
; %bb.3:
	s_wait_kmcnt 0x0
	v_sub_co_u32 v1, s2, s19, s2
	s_and_b32 s8, s2, exec_lo
	s_cselect_b32 s6, s6, s7
	s_add_co_i32 s7, s19, 1
	v_readfirstlane_b32 s5, v1
	s_lshl_b32 s5, s5, 1
	s_delay_alu instid0(SALU_CYCLE_1) | instskip(SKIP_4) | instid1(SALU_CYCLE_3)
	s_or_b32 s5, s5, 1
	s_and_b32 s2, s2, exec_lo
	s_cselect_b32 s2, s7, s5
	s_cmp_neq_f32 s6, 1.0
	s_cvt_f32_i32 s2, s2
	s_cselect_b32 s5, s2, 1.0
	s_delay_alu instid0(SALU_CYCLE_1) | instskip(SKIP_1) | instid1(SALU_CYCLE_1)
	s_cmp_neq_f32 s5, 0
	s_cselect_b32 s2, s6, 1.0
	v_cvt_f64_f32_e64 v[2:3], |s2|
	s_delay_alu instid0(VALU_DEP_1) | instskip(SKIP_1) | instid1(VALU_DEP_1)
	v_frexp_exp_i32_f64_e32 v1, v[2:3]
	v_frexp_mant_f32_e64 v2, |s2|
	v_readfirstlane_b32 s6, v2
	s_cmp_lt_f32 s6, 0x3f2aaaab
	s_cselect_b32 vcc_lo, -1, 0
	s_delay_alu instid0(SALU_CYCLE_1) | instskip(SKIP_1) | instid1(SALU_CYCLE_1)
	s_and_b32 s7, vcc_lo, exec_lo
	s_cselect_b32 s7, 2.0, 1.0
	s_mul_f32 s6, s6, s7
	s_delay_alu instid0(SALU_CYCLE_3) | instskip(SKIP_1) | instid1(SALU_CYCLE_2)
	s_add_f32 s7, s6, 1.0
	s_add_f32 s9, s6, -1.0
	v_s_rcp_f32 s8, s7
	s_add_f32 s33, s7, -1.0
	v_subrev_co_ci_u32_e64 v1, null, 0, v1, vcc_lo
	s_delay_alu instid0(SALU_CYCLE_2) | instskip(NEXT) | instid1(TRANS32_DEP_1)
	s_sub_f32 s6, s6, s33
	s_mul_f32 s10, s9, s8
	v_cvt_f32_i32_e32 v1, v1
	s_delay_alu instid0(SALU_CYCLE_2) | instskip(NEXT) | instid1(SALU_CYCLE_3)
	s_mul_f32 s18, s7, s10
	v_dual_mov_b32 v3, s9 :: v_dual_mov_b32 v4, s18
	s_xor_b32 s38, s18, 0x80000000
	s_delay_alu instid0(SALU_CYCLE_1) | instskip(NEXT) | instid1(SALU_CYCLE_3)
	s_fmac_f32 s38, s10, s7
	s_fmac_f32 s38, s10, s6
	s_delay_alu instid0(SALU_CYCLE_3) | instskip(SKIP_2) | instid1(SALU_CYCLE_1)
	s_add_f32 s6, s18, s38
	v_mov_b32_e32 v6, s38
	s_mov_b32 s18, 0x3e76c4e1
	s_sub_f32 s7, s9, s6
	v_dual_mov_b32 v2, s6 :: v_dual_mov_b32 v7, s6
	s_delay_alu instid0(SALU_CYCLE_2) | instskip(NEXT) | instid1(VALU_DEP_1)
	v_mov_b32_e32 v5, s7
	v_pk_add_f32 v[2:3], v[2:3], v[4:5] neg_lo:[0,1] neg_hi:[0,1]
	s_delay_alu instid0(VALU_DEP_1) | instskip(NEXT) | instid1(VALU_DEP_1)
	v_pk_add_f32 v[2:3], v[2:3], v[6:7] neg_lo:[0,1] neg_hi:[0,1]
	v_readfirstlane_b32 s6, v3
	s_delay_alu instid0(VALU_DEP_2) | instskip(SKIP_1) | instid1(SALU_CYCLE_3)
	v_readfirstlane_b32 s9, v2
	s_add_f32 s6, s9, s6
	s_add_f32 s6, s7, s6
	s_delay_alu instid0(SALU_CYCLE_3) | instskip(NEXT) | instid1(SALU_CYCLE_3)
	s_mul_f32 s7, s8, s6
	s_add_f32 s6, s10, s7
	s_delay_alu instid0(SALU_CYCLE_3) | instskip(SKIP_1) | instid1(SALU_CYCLE_2)
	s_sub_f32 s8, s6, s10
	s_mul_f32 s9, s6, s6
	s_sub_f32 s10, s7, s8
	s_delay_alu instid0(SALU_CYCLE_2) | instskip(NEXT) | instid1(SALU_CYCLE_1)
	s_xor_b32 s7, s9, 0x80000000
	s_fmac_f32 s7, s6, s6
	s_delay_alu instid0(SALU_CYCLE_1) | instskip(NEXT) | instid1(SALU_CYCLE_3)
	s_add_f32 s8, s10, s10
	s_fmac_f32 s7, s6, s8
	s_delay_alu instid0(SALU_CYCLE_3) | instskip(NEXT) | instid1(SALU_CYCLE_3)
	s_add_f32 s8, s9, s7
	s_fmaak_f32 s18, s8, s18, 0x3e91f4c4
	s_sub_f32 s9, s8, s9
	s_delay_alu instid0(SALU_CYCLE_2) | instskip(NEXT) | instid1(SALU_CYCLE_2)
	s_fmaak_f32 s18, s8, s18, 0x3ecccdef
	s_sub_f32 s39, s7, s9
	s_delay_alu instid0(SALU_CYCLE_2) | instskip(NEXT) | instid1(SALU_CYCLE_3)
	s_mul_f32 s33, s8, s18
	s_xor_b32 s38, s33, 0x80000000
	s_delay_alu instid0(SALU_CYCLE_1) | instskip(NEXT) | instid1(SALU_CYCLE_3)
	s_fmac_f32 s38, s8, s18
	s_fmac_f32 s38, s39, s18
	s_delay_alu instid0(SALU_CYCLE_3) | instskip(NEXT) | instid1(SALU_CYCLE_3)
	s_add_f32 s9, s33, s38
	s_sub_f32 s7, s9, s33
	s_add_f32 s18, s9, 0x3f2aaaaa
	s_delay_alu instid0(SALU_CYCLE_2) | instskip(NEXT) | instid1(SALU_CYCLE_2)
	s_sub_f32 s7, s38, s7
	s_add_f32 s33, s18, 0xbf2aaaaa
	s_delay_alu instid0(SALU_CYCLE_2) | instskip(NEXT) | instid1(SALU_CYCLE_2)
	s_add_f32 s7, s7, 0x31739010
	s_sub_f32 s9, s9, s33
	s_delay_alu instid0(SALU_CYCLE_2) | instskip(NEXT) | instid1(SALU_CYCLE_2)
	v_mov_b64_e32 v[2:3], s[6:7]
	v_mov_b64_e32 v[4:5], s[8:9]
	s_delay_alu instid0(VALU_DEP_1) | instskip(SKIP_2) | instid1(VALU_DEP_3)
	v_pk_mul_f32 v[6:7], v[2:3], v[4:5]
	v_pk_add_f32 v[2:3], v[2:3], v[4:5]
	v_mov_b32_e32 v9, s18
	v_xor_b32_e32 v8, 0x80000000, v6
	s_delay_alu instid0(VALU_DEP_3) | instskip(NEXT) | instid1(VALU_DEP_2)
	v_mov_b32_e32 v7, v3
	v_fmac_f32_e64 v8, s8, s6
	s_delay_alu instid0(VALU_DEP_1) | instskip(NEXT) | instid1(VALU_DEP_1)
	v_fmac_f32_e64 v8, s8, s10
	v_fmac_f32_e64 v8, s39, s6
	s_delay_alu instid0(VALU_DEP_1) | instskip(NEXT) | instid1(VALU_DEP_1)
	v_pk_add_f32 v[4:5], v[6:7], v[8:9]
	v_dual_mov_b32 v2, v5 :: v_dual_sub_f32 v7, s18, v5
	v_mul_f32_e32 v12, 0x3f317218, v1
	s_delay_alu instid0(VALU_DEP_2) | instskip(NEXT) | instid1(VALU_DEP_3)
	v_pk_mul_f32 v[10:11], v[4:5], v[2:3]
	v_add_f32_e32 v3, v3, v7
	s_delay_alu instid0(VALU_DEP_3) | instskip(NEXT) | instid1(VALU_DEP_3)
	v_xor_b32_e32 v7, 0x80000000, v12
	v_xor_b32_e32 v2, 0x80000000, v10
	s_delay_alu instid0(VALU_DEP_2) | instskip(NEXT) | instid1(VALU_DEP_2)
	v_dual_sub_f32 v6, v4, v6 :: v_dual_fmac_f32 v7, 0x3f317218, v1
	v_fmac_f32_e32 v2, v4, v5
	s_delay_alu instid0(VALU_DEP_2) | instskip(NEXT) | instid1(VALU_DEP_2)
	v_sub_f32_e32 v6, v8, v6
	v_fmac_f32_e32 v2, v4, v3
	s_delay_alu instid0(VALU_DEP_1) | instskip(SKIP_3) | instid1(VALU_DEP_2)
	v_fmac_f32_e32 v2, v6, v5
	v_fmamk_f32 v4, v1, 0xb102e308, v7
	v_ldexp_f32 v5, s6, 1
	v_ldexp_f32 v1, s10, 1
	v_dual_add_f32 v13, v10, v2 :: v_dual_mov_b32 v11, v5
	s_delay_alu instid0(VALU_DEP_1) | instskip(SKIP_1) | instid1(VALU_DEP_2)
	v_pk_add_f32 v[6:7], v[12:13], v[4:5]
	v_dual_mov_b32 v8, v13 :: v_dual_mov_b32 v3, v13
	v_dual_mov_b32 v9, v7 :: v_dual_mov_b32 v5, v6
	v_mov_b32_e32 v14, v7
	s_delay_alu instid0(VALU_DEP_2) | instskip(NEXT) | instid1(VALU_DEP_1)
	v_pk_add_f32 v[8:9], v[8:9], v[10:11] neg_lo:[0,1] neg_hi:[0,1]
	v_pk_add_f32 v[2:3], v[2:3], v[8:9] neg_lo:[0,1] neg_hi:[0,1]
	s_delay_alu instid0(VALU_DEP_1) | instskip(NEXT) | instid1(VALU_DEP_1)
	v_add_f32_e32 v1, v1, v2
	v_add_f32_e32 v13, v1, v3
	s_delay_alu instid0(VALU_DEP_1) | instskip(SKIP_1) | instid1(VALU_DEP_2)
	v_pk_add_f32 v[2:3], v[6:7], v[12:13]
	v_pk_add_f32 v[8:9], v[6:7], v[12:13] neg_lo:[0,1] neg_hi:[0,1]
	v_mov_b32_e32 v9, v3
	s_delay_alu instid0(VALU_DEP_1) | instskip(SKIP_2) | instid1(VALU_DEP_3)
	v_pk_add_f32 v[10:11], v[4:5], v[8:9]
	v_pk_add_f32 v[4:5], v[4:5], v[8:9] neg_lo:[0,1] neg_hi:[0,1]
	v_dual_mov_b32 v16, v3 :: v_dual_mov_b32 v5, v6
	v_dual_mov_b32 v12, v11 :: v_dual_mov_b32 v17, v11
	s_delay_alu instid0(VALU_DEP_3) | instskip(NEXT) | instid1(VALU_DEP_2)
	v_readfirstlane_b32 s6, v4
	v_pk_add_f32 v[8:9], v[12:13], v[6:7] neg_lo:[0,1] neg_hi:[0,1]
	s_delay_alu instid0(VALU_DEP_2) | instskip(NEXT) | instid1(VALU_DEP_2)
	v_dual_mov_b32 v4, v13 :: v_dual_mov_b32 v10, s6
	v_dual_mov_b32 v15, v8 :: v_dual_mov_b32 v1, v8
	s_delay_alu instid0(VALU_DEP_1) | instskip(NEXT) | instid1(VALU_DEP_2)
	v_pk_add_f32 v[6:7], v[16:17], v[14:15] neg_lo:[0,1] neg_hi:[0,1]
	v_pk_add_f32 v[2:3], v[2:3], v[0:1] neg_lo:[0,1] neg_hi:[0,1]
	v_mov_b32_e32 v2, s6
	s_delay_alu instid0(VALU_DEP_3) | instskip(NEXT) | instid1(VALU_DEP_1)
	v_pk_add_f32 v[4:5], v[4:5], v[6:7] neg_lo:[0,1] neg_hi:[0,1]
	v_pk_add_f32 v[2:3], v[2:3], v[4:5]
	s_delay_alu instid0(VALU_DEP_1) | instskip(NEXT) | instid1(VALU_DEP_2)
	v_readfirstlane_b32 s7, v2
	v_mov_b32_e32 v6, v3
	s_delay_alu instid0(VALU_DEP_1) | instskip(NEXT) | instid1(VALU_DEP_3)
	v_pk_add_f32 v[6:7], v[2:3], v[6:7]
	v_mov_b32_e32 v2, s7
	s_delay_alu instid0(VALU_DEP_2) | instskip(SKIP_1) | instid1(VALU_DEP_2)
	v_pk_add_f32 v[8:9], v[12:13], v[6:7]
	v_mov_b32_e32 v5, v6
	v_readfirstlane_b32 s8, v8
	s_delay_alu instid0(VALU_DEP_1) | instskip(NEXT) | instid1(VALU_DEP_1)
	v_mov_b32_e32 v3, s8
	v_pk_add_f32 v[2:3], v[2:3], v[10:11] neg_lo:[0,1] neg_hi:[0,1]
	s_delay_alu instid0(VALU_DEP_1) | instskip(NEXT) | instid1(VALU_DEP_2)
	v_readfirstlane_b32 s9, v2
	v_pk_add_f32 v[2:3], v[4:5], v[2:3] neg_lo:[0,1] neg_hi:[0,1]
	s_sub_f32 s7, s7, s9
	s_delay_alu instid0(VALU_DEP_1) | instskip(NEXT) | instid1(SALU_CYCLE_2)
	v_readfirstlane_b32 s9, v2
	s_sub_f32 s6, s6, s7
	v_readfirstlane_b32 s7, v3
	s_delay_alu instid0(SALU_CYCLE_2) | instskip(NEXT) | instid1(SALU_CYCLE_3)
	s_add_f32 s6, s9, s6
	s_add_f32 s6, s6, s7
	s_delay_alu instid0(SALU_CYCLE_3) | instskip(NEXT) | instid1(SALU_CYCLE_3)
	s_add_f32 s7, s8, s6
	s_mul_f32 s9, s5, s7
	s_sub_f32 s8, s7, s8
	s_delay_alu instid0(SALU_CYCLE_2) | instskip(NEXT) | instid1(SALU_CYCLE_2)
	s_xor_b32 s10, s9, 0x80000000
	s_sub_f32 s6, s6, s8
	s_fmac_f32 s10, s5, s7
	s_delay_alu instid0(SALU_CYCLE_3) | instskip(SKIP_1) | instid1(SALU_CYCLE_2)
	s_fmac_f32 s10, s5, s6
	v_cmp_class_f32_e64 s6, s9, 0x204
	s_add_f32 s7, s9, s10
	s_and_b32 s6, s6, exec_lo
	s_delay_alu instid0(SALU_CYCLE_2) | instskip(SKIP_1) | instid1(SALU_CYCLE_1)
	s_sub_f32 s6, s7, s9
	s_cselect_b32 s7, s9, s7
	s_and_b32 s8, s7, 0x7fffffff
	s_delay_alu instid0(SALU_CYCLE_1) | instskip(SKIP_1) | instid1(SALU_CYCLE_2)
	s_sub_f32 s6, s10, s6
	s_cmp_neq_f32 s8, 0x7f800000
	s_cselect_b32 s6, s6, 0
	s_cmp_eq_f32 s7, 0x42b17218
	s_cselect_b32 s8, 0x37000000, 0
	s_delay_alu instid0(SALU_CYCLE_1) | instskip(SKIP_1) | instid1(SALU_CYCLE_2)
	s_sub_f32 s7, s7, s8
	s_add_f32 s6, s8, s6
	s_mul_f32 s9, s7, 0x3fb8aa3b
	s_delay_alu instid0(SALU_CYCLE_3) | instskip(SKIP_3) | instid1(SALU_CYCLE_1)
	s_xor_b32 s10, s9, 0x80000000
	s_rndne_f32 s18, s9
	s_fmamk_f32 s10, s7, 0x3fb8aa3b, s10
	s_cmp_nlt_f32 s7, 0xc2ce8ed0
	s_sub_f32 s9, s9, s18
	s_delay_alu instid0(SALU_CYCLE_1)
	s_fmamk_f32 s10, s7, 0x32a5705f, s10
	s_cselect_b32 vcc_lo, -1, 0
	s_cmp_ngt_f32 s7, 0x42b17218
	s_trunc_f32 s7, s5
	s_add_f32 s9, s9, s10
	s_cvt_i32_f32 s10, s18
	s_delay_alu instid0(SALU_CYCLE_2)
	v_s_exp_f32 s9, s9
	v_nop
	s_delay_alu instid0(TRANS32_DEP_1) | instid1(SALU_CYCLE_1)
	v_ldexp_f32 v1, s9, s10
	s_mul_f32 s9, s5, 0.5
	s_delay_alu instid0(VALU_DEP_1) | instskip(SKIP_3) | instid1(VALU_DEP_1)
	v_cndmask_b32_e32 v1, 0, v1, vcc_lo
	s_cselect_b32 vcc_lo, -1, 0
	s_cmp_eq_f32 s7, s5
	s_trunc_f32 s10, s9
	v_cndmask_b32_e32 v1, 0x7f800000, v1, vcc_lo
	s_cselect_b32 s18, -1, 0
	s_delay_alu instid0(SALU_CYCLE_1) | instskip(NEXT) | instid1(VALU_DEP_1)
	s_cmp_neq_f32 s10, s9
	v_fma_f32 v2, s6, v1, v1
	v_cmp_class_f32_e64 vcc_lo, v1, 0x204
	s_cselect_b32 s8, -1, 0
	s_delay_alu instid0(SALU_CYCLE_1)
	s_and_b32 s6, s18, s8
	v_cndmask_b32_e32 v1, v2, v1, vcc_lo
	s_and_b32 s8, s6, exec_lo
	s_cselect_b32 s8, s2, 1.0
	s_cmp_eq_f32 s7, s5
	v_cmp_class_f32_e64 s7, s2, 0x204
	v_bfi_b32 v1, 0x7fffffff, v1, s8
	s_cselect_b32 vcc_lo, -1, 0
	s_cmp_lt_f32 s2, 0
	s_delay_alu instid0(VALU_DEP_1) | instskip(SKIP_2) | instid1(VALU_DEP_1)
	v_cndmask_b32_e32 v2, 0x7fc00000, v1, vcc_lo
	s_cselect_b32 vcc_lo, -1, 0
	s_cmp_eq_f32 s2, 0
	v_cndmask_b32_e32 v1, v1, v2, vcc_lo
	s_cselect_b32 s8, -1, 0
	s_delay_alu instid0(SALU_CYCLE_1) | instskip(SKIP_2) | instid1(SALU_CYCLE_1)
	s_or_b32 vcc_lo, s8, s7
	s_cmp_lt_f32 s5, 0
	s_cselect_b32 s5, -1, 0
	s_xor_b32 s5, s5, s8
	s_delay_alu instid0(SALU_CYCLE_1)
	s_and_b32 s5, s5, exec_lo
	s_cselect_b32 s5, 0, 0x7f800000
	s_and_b32 s6, s6, exec_lo
	s_cselect_b32 s6, s2, 0
	s_cmp_o_f32 s2, s2
	v_mov_b32_e32 v2, s6
	s_delay_alu instid0(VALU_DEP_1) | instskip(NEXT) | instid1(VALU_DEP_1)
	v_bfi_b32 v2, 0x7fffffff, s5, v2
	v_cndmask_b32_e32 v1, v1, v2, vcc_lo
	s_cselect_b32 vcc_lo, -1, 0
	s_delay_alu instid0(VALU_DEP_1)
	v_cndmask_b32_e32 v42, 0x7fc00000, v1, vcc_lo
.LBB52_4:
	s_load_b96 s[8:10], s[0:1], 0x70
	s_bfe_u32 s5, ttmp6, 0x4000c
	s_wait_kmcnt 0x0
	s_and_b32 s2, ttmp6, 15
	s_add_co_i32 s5, s5, 1
	v_and_b32_e32 v53, 0x3ff, v0
	s_mul_i32 s5, ttmp9, s5
	v_bfe_u32 v37, v0, 10, 10
	s_add_co_i32 s2, s2, s5
	s_cmp_eq_u32 s40, 0
	v_dual_mov_b32 v1, 0 :: v_dual_lshlrev_b32 v0, 4, v53
	s_cselect_b32 s5, ttmp9, s2
	v_lshlrev_b32_e32 v55, 3, v37
	s_lshl_b32 s33, s5, 6
	v_cmp_gt_u32_e64 s2, 18, v53
	v_lshlrev_b32_e32 v58, 3, v53
	s_mov_b32 s39, 0
	v_add_nc_u32_e32 v46, s33, v55
	s_mov_b32 s38, s28
	s_mul_i32 s6, s34, s10
	s_mul_i32 s46, s19, s9
	s_ashr_i32 s7, s6, 31
	s_ashr_i32 s47, s46, 31
	s_add_nc_u64 s[6:7], s[12:13], s[6:7]
	s_ashr_i32 s9, s8, 31
	s_add_nc_u64 s[6:7], s[6:7], s[46:47]
	s_delay_alu instid0(SALU_CYCLE_1)
	v_add_nc_u64_e32 v[2:3], s[6:7], v[0:1]
	s_lshr_b64 s[6:7], s[8:9], 2
	s_and_saveexec_b32 s8, s2
	s_cbranch_execz .LBB52_6
; %bb.5:
	v_mov_b32_e32 v47, v1
	s_delay_alu instid0(VALU_DEP_1) | instskip(NEXT) | instid1(VALU_DEP_1)
	v_mul_u64_e32 v[4:5], s[38:39], v[46:47]
	v_dual_mov_b32 v5, v1 :: v_dual_add_nc_u32 v4, v46, v5
	s_delay_alu instid0(VALU_DEP_1) | instskip(NEXT) | instid1(VALU_DEP_1)
	v_lshrrev_b32_e32 v4, s29, v4
	v_mul_lo_u32 v4, v4, s30
	s_delay_alu instid0(VALU_DEP_1) | instskip(NEXT) | instid1(VALU_DEP_1)
	v_sub_nc_u32_e32 v4, v46, v4
	v_mul_u64_e32 v[4:5], s[6:7], v[4:5]
	s_delay_alu instid0(VALU_DEP_1) | instskip(SKIP_3) | instid1(VALU_DEP_1)
	v_lshl_add_u64 v[4:5], v[4:5], 2, v[2:3]
	global_load_b128 v[4:7], v[4:5], off
	s_wait_loadcnt 0x0
	v_fma_mixlo_f16 v1, s4, v4, 0
	v_and_b32_e32 v1, 0xffff, v1
	v_mov_b32_e32 v4, v7
	s_delay_alu instid0(VALU_DEP_1) | instskip(NEXT) | instid1(VALU_DEP_1)
	v_pk_mul_f32 v[4:5], s[4:5], v[4:5] op_sel_hi:[0,1]
	v_cvt_pk_f16_f32 v4, v4, v5
	v_fma_mixlo_f16 v5, s4, v6, 0
	s_delay_alu instid0(VALU_DEP_2) | instskip(NEXT) | instid1(VALU_DEP_2)
	v_and_b32_e32 v6, 0xffff0000, v4
	v_and_b32_e32 v5, 0xffff, v5
	s_delay_alu instid0(VALU_DEP_2) | instskip(SKIP_1) | instid1(VALU_DEP_2)
	v_dual_lshlrev_b32 v4, 16, v4 :: v_dual_bitop2_b32 v1, v6, v1 bitop3:0x54
	v_mad_u32_u24 v6, 0x480, v37, v58
	v_or3_b32 v5, v4, v5, 0
	s_delay_alu instid0(VALU_DEP_3)
	v_or3_b32 v4, 0, 0, v1
	ds_store_b64 v6, v[4:5]
.LBB52_6:
	s_or_b32 exec_lo, exec_lo, s8
	v_or_b32_e32 v54, 1, v55
	s_delay_alu instid0(VALU_DEP_1)
	v_add_nc_u32_e32 v44, s33, v54
	s_and_saveexec_b32 s8, s2
	s_cbranch_execz .LBB52_8
; %bb.7:
	v_mov_b32_e32 v45, 0
	s_delay_alu instid0(VALU_DEP_1) | instskip(NEXT) | instid1(VALU_DEP_1)
	v_mul_u64_e32 v[4:5], s[38:39], v[44:45]
	v_dual_add_nc_u32 v1, v44, v5 :: v_dual_mov_b32 v5, v45
	s_delay_alu instid0(VALU_DEP_1) | instskip(NEXT) | instid1(VALU_DEP_1)
	v_lshrrev_b32_e32 v1, s29, v1
	v_mul_lo_u32 v1, v1, s30
	s_delay_alu instid0(VALU_DEP_1) | instskip(NEXT) | instid1(VALU_DEP_1)
	v_sub_nc_u32_e32 v4, v44, v1
	v_mul_u64_e32 v[4:5], s[6:7], v[4:5]
	s_delay_alu instid0(VALU_DEP_1) | instskip(SKIP_4) | instid1(VALU_DEP_2)
	v_lshl_add_u64 v[4:5], v[4:5], 2, v[2:3]
	global_load_b128 v[4:7], v[4:5], off
	s_wait_loadcnt 0x0
	v_fma_mixlo_f16 v1, s4, v4, 0
	v_mov_b32_e32 v4, v7
	v_and_b32_e32 v1, 0xffff, v1
	s_delay_alu instid0(VALU_DEP_2) | instskip(NEXT) | instid1(VALU_DEP_1)
	v_pk_mul_f32 v[4:5], s[4:5], v[4:5] op_sel_hi:[0,1]
	v_cvt_pk_f16_f32 v4, v4, v5
	v_fma_mixlo_f16 v5, s4, v6, 0
	s_delay_alu instid0(VALU_DEP_2) | instskip(NEXT) | instid1(VALU_DEP_2)
	v_and_b32_e32 v6, 0xffff0000, v4
	v_and_b32_e32 v5, 0xffff, v5
	s_delay_alu instid0(VALU_DEP_2) | instskip(SKIP_1) | instid1(VALU_DEP_2)
	v_dual_lshlrev_b32 v4, 16, v4 :: v_dual_bitop2_b32 v1, v6, v1 bitop3:0x54
	v_mad_u32_u24 v6, 0x90, v54, v58
	v_or3_b32 v5, v4, v5, 0
	s_delay_alu instid0(VALU_DEP_3)
	v_or3_b32 v4, 0, 0, v1
	ds_store_b64 v6, v[4:5]
.LBB52_8:
	s_or_b32 exec_lo, exec_lo, s8
	v_or_b32_e32 v52, 2, v55
	s_mul_f32 s8, s42, 0x4f7ffffe
	s_and_saveexec_b32 s9, s2
	s_cbranch_execz .LBB52_10
; %bb.9:
	s_delay_alu instid0(VALU_DEP_1) | instskip(NEXT) | instid1(VALU_DEP_1)
	v_dual_mov_b32 v5, 0 :: v_dual_add_nc_u32 v4, s33, v52
	v_mul_u64_e32 v[6:7], s[38:39], v[4:5]
	s_delay_alu instid0(VALU_DEP_1) | instskip(NEXT) | instid1(VALU_DEP_1)
	v_add_nc_u32_e32 v1, v4, v7
	v_lshrrev_b32_e32 v1, s29, v1
	s_delay_alu instid0(VALU_DEP_1) | instskip(NEXT) | instid1(VALU_DEP_1)
	v_mul_lo_u32 v1, v1, s30
	v_sub_nc_u32_e32 v4, v4, v1
	s_delay_alu instid0(VALU_DEP_1) | instskip(NEXT) | instid1(VALU_DEP_1)
	v_mul_u64_e32 v[4:5], s[6:7], v[4:5]
	v_lshl_add_u64 v[4:5], v[4:5], 2, v[2:3]
	global_load_b128 v[4:7], v[4:5], off
	s_wait_loadcnt 0x0
	v_fma_mixlo_f16 v1, s4, v4, 0
	v_mov_b32_e32 v4, v7
	s_delay_alu instid0(VALU_DEP_2) | instskip(NEXT) | instid1(VALU_DEP_2)
	v_and_b32_e32 v1, 0xffff, v1
	v_pk_mul_f32 v[4:5], s[4:5], v[4:5] op_sel_hi:[0,1]
	s_delay_alu instid0(VALU_DEP_1) | instskip(SKIP_1) | instid1(VALU_DEP_2)
	v_cvt_pk_f16_f32 v4, v4, v5
	v_fma_mixlo_f16 v5, s4, v6, 0
	v_and_b32_e32 v6, 0xffff0000, v4
	s_delay_alu instid0(VALU_DEP_2) | instskip(NEXT) | instid1(VALU_DEP_2)
	v_and_b32_e32 v5, 0xffff, v5
	v_dual_lshlrev_b32 v4, 16, v4 :: v_dual_bitop2_b32 v1, v6, v1 bitop3:0x54
	v_mad_u32_u24 v6, 0x90, v52, v58
	s_delay_alu instid0(VALU_DEP_2) | instskip(NEXT) | instid1(VALU_DEP_3)
	v_or3_b32 v5, v4, v5, 0
	v_or3_b32 v4, 0, 0, v1
	ds_store_b64 v6, v[4:5]
.LBB52_10:
	s_or_b32 exec_lo, exec_lo, s9
	v_or_b32_e32 v51, 3, v55
	s_cvt_u32_f32 s8, s8
	s_sub_co_i32 s9, 0, s41
	s_and_saveexec_b32 s10, s2
	s_cbranch_execz .LBB52_12
; %bb.11:
	v_dual_mov_b32 v5, 0 :: v_dual_add_nc_u32 v4, s33, v51
	s_delay_alu instid0(VALU_DEP_1) | instskip(NEXT) | instid1(VALU_DEP_1)
	v_mul_u64_e32 v[6:7], s[38:39], v[4:5]
	v_add_nc_u32_e32 v1, v4, v7
	s_delay_alu instid0(VALU_DEP_1) | instskip(NEXT) | instid1(VALU_DEP_1)
	v_lshrrev_b32_e32 v1, s29, v1
	v_mul_lo_u32 v1, v1, s30
	s_delay_alu instid0(VALU_DEP_1) | instskip(NEXT) | instid1(VALU_DEP_1)
	v_sub_nc_u32_e32 v4, v4, v1
	v_mul_u64_e32 v[4:5], s[6:7], v[4:5]
	s_delay_alu instid0(VALU_DEP_1) | instskip(SKIP_4) | instid1(VALU_DEP_2)
	v_lshl_add_u64 v[4:5], v[4:5], 2, v[2:3]
	global_load_b128 v[4:7], v[4:5], off
	s_wait_loadcnt 0x0
	v_fma_mixlo_f16 v1, s4, v4, 0
	v_mov_b32_e32 v4, v7
	v_and_b32_e32 v1, 0xffff, v1
	s_delay_alu instid0(VALU_DEP_2) | instskip(NEXT) | instid1(VALU_DEP_1)
	v_pk_mul_f32 v[4:5], s[4:5], v[4:5] op_sel_hi:[0,1]
	v_cvt_pk_f16_f32 v4, v4, v5
	v_fma_mixlo_f16 v5, s4, v6, 0
	s_delay_alu instid0(VALU_DEP_2) | instskip(NEXT) | instid1(VALU_DEP_2)
	v_and_b32_e32 v6, 0xffff0000, v4
	v_and_b32_e32 v5, 0xffff, v5
	s_delay_alu instid0(VALU_DEP_2) | instskip(SKIP_1) | instid1(VALU_DEP_2)
	v_dual_lshlrev_b32 v4, 16, v4 :: v_dual_bitop2_b32 v1, v6, v1 bitop3:0x54
	v_mad_u32_u24 v6, 0x90, v51, v58
	v_or3_b32 v5, v4, v5, 0
	s_delay_alu instid0(VALU_DEP_3)
	v_or3_b32 v4, 0, 0, v1
	ds_store_b64 v6, v[4:5]
.LBB52_12:
	s_or_b32 exec_lo, exec_lo, s10
	v_or_b32_e32 v50, 4, v55
	s_mul_i32 s9, s9, s8
	s_and_saveexec_b32 s10, s2
	s_cbranch_execz .LBB52_14
; %bb.13:
	s_delay_alu instid0(VALU_DEP_1) | instskip(NEXT) | instid1(VALU_DEP_1)
	v_dual_mov_b32 v5, 0 :: v_dual_add_nc_u32 v4, s33, v50
	v_mul_u64_e32 v[6:7], s[38:39], v[4:5]
	s_delay_alu instid0(VALU_DEP_1) | instskip(NEXT) | instid1(VALU_DEP_1)
	v_add_nc_u32_e32 v1, v4, v7
	v_lshrrev_b32_e32 v1, s29, v1
	s_delay_alu instid0(VALU_DEP_1) | instskip(NEXT) | instid1(VALU_DEP_1)
	v_mul_lo_u32 v1, v1, s30
	v_sub_nc_u32_e32 v4, v4, v1
	s_delay_alu instid0(VALU_DEP_1) | instskip(NEXT) | instid1(VALU_DEP_1)
	v_mul_u64_e32 v[4:5], s[6:7], v[4:5]
	v_lshl_add_u64 v[4:5], v[4:5], 2, v[2:3]
	global_load_b128 v[4:7], v[4:5], off
	s_wait_loadcnt 0x0
	v_fma_mixlo_f16 v1, s4, v4, 0
	v_mov_b32_e32 v4, v7
	s_delay_alu instid0(VALU_DEP_2) | instskip(NEXT) | instid1(VALU_DEP_2)
	v_and_b32_e32 v1, 0xffff, v1
	v_pk_mul_f32 v[4:5], s[4:5], v[4:5] op_sel_hi:[0,1]
	s_delay_alu instid0(VALU_DEP_1) | instskip(SKIP_1) | instid1(VALU_DEP_2)
	v_cvt_pk_f16_f32 v4, v4, v5
	v_fma_mixlo_f16 v5, s4, v6, 0
	v_and_b32_e32 v6, 0xffff0000, v4
	s_delay_alu instid0(VALU_DEP_2) | instskip(NEXT) | instid1(VALU_DEP_2)
	v_and_b32_e32 v5, 0xffff, v5
	v_dual_lshlrev_b32 v4, 16, v4 :: v_dual_bitop2_b32 v1, v6, v1 bitop3:0x54
	v_mad_u32_u24 v6, 0x90, v50, v58
	s_delay_alu instid0(VALU_DEP_2) | instskip(NEXT) | instid1(VALU_DEP_3)
	v_or3_b32 v5, v4, v5, 0
	v_or3_b32 v4, 0, 0, v1
	ds_store_b64 v6, v[4:5]
.LBB52_14:
	s_or_b32 exec_lo, exec_lo, s10
	v_or_b32_e32 v48, 5, v55
	s_mul_hi_u32 s9, s8, s9
	s_and_saveexec_b32 s10, s2
	s_cbranch_execz .LBB52_16
; %bb.15:
	s_delay_alu instid0(VALU_DEP_1) | instskip(NEXT) | instid1(VALU_DEP_1)
	v_dual_mov_b32 v5, 0 :: v_dual_add_nc_u32 v4, s33, v48
	v_mul_u64_e32 v[6:7], s[38:39], v[4:5]
	s_delay_alu instid0(VALU_DEP_1) | instskip(NEXT) | instid1(VALU_DEP_1)
	v_add_nc_u32_e32 v1, v4, v7
	v_lshrrev_b32_e32 v1, s29, v1
	s_delay_alu instid0(VALU_DEP_1) | instskip(NEXT) | instid1(VALU_DEP_1)
	v_mul_lo_u32 v1, v1, s30
	v_sub_nc_u32_e32 v4, v4, v1
	s_delay_alu instid0(VALU_DEP_1) | instskip(NEXT) | instid1(VALU_DEP_1)
	v_mul_u64_e32 v[4:5], s[6:7], v[4:5]
	v_lshl_add_u64 v[4:5], v[4:5], 2, v[2:3]
	global_load_b128 v[4:7], v[4:5], off
	s_wait_loadcnt 0x0
	v_fma_mixlo_f16 v1, s4, v4, 0
	v_mov_b32_e32 v4, v7
	s_delay_alu instid0(VALU_DEP_2) | instskip(NEXT) | instid1(VALU_DEP_2)
	v_and_b32_e32 v1, 0xffff, v1
	v_pk_mul_f32 v[4:5], s[4:5], v[4:5] op_sel_hi:[0,1]
	s_delay_alu instid0(VALU_DEP_1) | instskip(SKIP_1) | instid1(VALU_DEP_2)
	v_cvt_pk_f16_f32 v4, v4, v5
	v_fma_mixlo_f16 v5, s4, v6, 0
	v_and_b32_e32 v6, 0xffff0000, v4
	s_delay_alu instid0(VALU_DEP_2) | instskip(NEXT) | instid1(VALU_DEP_2)
	v_and_b32_e32 v5, 0xffff, v5
	v_dual_lshlrev_b32 v4, 16, v4 :: v_dual_bitop2_b32 v1, v6, v1 bitop3:0x54
	v_mad_u32_u24 v6, 0x90, v48, v58
	s_delay_alu instid0(VALU_DEP_2) | instskip(NEXT) | instid1(VALU_DEP_3)
	v_or3_b32 v5, v4, v5, 0
	v_or3_b32 v4, 0, 0, v1
	ds_store_b64 v6, v[4:5]
.LBB52_16:
	s_or_b32 exec_lo, exec_lo, s10
	v_or_b32_e32 v45, 6, v55
	s_abs_i32 s10, s19
	s_add_co_i32 s8, s8, s9
	s_and_saveexec_b32 s9, s2
	s_cbranch_execz .LBB52_18
; %bb.17:
	v_dual_mov_b32 v5, 0 :: v_dual_add_nc_u32 v4, s33, v45
	s_delay_alu instid0(VALU_DEP_1) | instskip(NEXT) | instid1(VALU_DEP_1)
	v_mul_u64_e32 v[6:7], s[38:39], v[4:5]
	v_add_nc_u32_e32 v1, v4, v7
	s_delay_alu instid0(VALU_DEP_1) | instskip(NEXT) | instid1(VALU_DEP_1)
	v_lshrrev_b32_e32 v1, s29, v1
	v_mul_lo_u32 v1, v1, s30
	s_delay_alu instid0(VALU_DEP_1) | instskip(NEXT) | instid1(VALU_DEP_1)
	v_sub_nc_u32_e32 v4, v4, v1
	v_mul_u64_e32 v[4:5], s[6:7], v[4:5]
	s_delay_alu instid0(VALU_DEP_1) | instskip(SKIP_4) | instid1(VALU_DEP_2)
	v_lshl_add_u64 v[4:5], v[4:5], 2, v[2:3]
	global_load_b128 v[4:7], v[4:5], off
	s_wait_loadcnt 0x0
	v_fma_mixlo_f16 v1, s4, v4, 0
	v_mov_b32_e32 v4, v7
	v_and_b32_e32 v1, 0xffff, v1
	s_delay_alu instid0(VALU_DEP_2) | instskip(NEXT) | instid1(VALU_DEP_1)
	v_pk_mul_f32 v[4:5], s[4:5], v[4:5] op_sel_hi:[0,1]
	v_cvt_pk_f16_f32 v4, v4, v5
	v_fma_mixlo_f16 v5, s4, v6, 0
	s_delay_alu instid0(VALU_DEP_2) | instskip(NEXT) | instid1(VALU_DEP_2)
	v_and_b32_e32 v6, 0xffff0000, v4
	v_and_b32_e32 v5, 0xffff, v5
	s_delay_alu instid0(VALU_DEP_2) | instskip(SKIP_1) | instid1(VALU_DEP_2)
	v_dual_lshlrev_b32 v4, 16, v4 :: v_dual_bitop2_b32 v1, v6, v1 bitop3:0x54
	v_mad_u32_u24 v6, 0x90, v45, v58
	v_or3_b32 v5, v4, v5, 0
	s_delay_alu instid0(VALU_DEP_3)
	v_or3_b32 v4, 0, 0, v1
	ds_store_b64 v6, v[4:5]
.LBB52_18:
	s_or_b32 exec_lo, exec_lo, s9
	v_or_b32_e32 v43, 7, v55
	s_mov_b32 s9, s11
	s_and_saveexec_b32 s12, s2
	s_cbranch_execz .LBB52_20
; %bb.19:
	s_delay_alu instid0(VALU_DEP_1) | instskip(NEXT) | instid1(VALU_DEP_1)
	v_dual_mov_b32 v5, 0 :: v_dual_add_nc_u32 v4, s33, v43
	v_mul_u64_e32 v[6:7], s[38:39], v[4:5]
	s_delay_alu instid0(VALU_DEP_1) | instskip(NEXT) | instid1(VALU_DEP_1)
	v_add_nc_u32_e32 v1, v4, v7
	v_lshrrev_b32_e32 v1, s29, v1
	s_delay_alu instid0(VALU_DEP_1) | instskip(NEXT) | instid1(VALU_DEP_1)
	v_mul_lo_u32 v1, v1, s30
	v_sub_nc_u32_e32 v4, v4, v1
	s_delay_alu instid0(VALU_DEP_1) | instskip(NEXT) | instid1(VALU_DEP_1)
	v_mul_u64_e32 v[4:5], s[6:7], v[4:5]
	v_lshl_add_u64 v[2:3], v[4:5], 2, v[2:3]
	global_load_b128 v[2:5], v[2:3], off
	s_wait_loadcnt 0x0
	v_fma_mixlo_f16 v1, s4, v2, 0
	v_mov_b32_e32 v2, v5
	s_delay_alu instid0(VALU_DEP_2) | instskip(NEXT) | instid1(VALU_DEP_2)
	v_and_b32_e32 v1, 0xffff, v1
	v_pk_mul_f32 v[2:3], s[4:5], v[2:3] op_sel_hi:[0,1]
	s_delay_alu instid0(VALU_DEP_1) | instskip(SKIP_1) | instid1(VALU_DEP_2)
	v_cvt_pk_f16_f32 v2, v2, v3
	v_fma_mixlo_f16 v3, s4, v4, 0
	v_and_b32_e32 v4, 0xffff0000, v2
	s_delay_alu instid0(VALU_DEP_2) | instskip(NEXT) | instid1(VALU_DEP_2)
	v_and_b32_e32 v3, 0xffff, v3
	v_dual_lshlrev_b32 v2, 16, v2 :: v_dual_bitop2_b32 v1, v4, v1 bitop3:0x54
	v_mad_u32_u24 v4, 0x90, v43, v58
	s_delay_alu instid0(VALU_DEP_2) | instskip(NEXT) | instid1(VALU_DEP_3)
	v_or3_b32 v3, v2, v3, 0
	v_or3_b32 v2, 0, 0, v1
	ds_store_b64 v4, v[2:3]
.LBB52_20:
	s_or_b32 exec_lo, exec_lo, s12
	s_ashr_i32 s12, s19, 31
	s_ashr_i32 s13, s35, 31
	s_mul_u64 s[8:9], s[10:11], s[8:9]
	s_cmp_eq_u64 s[22:23], 0
	s_wait_dscnt 0x0
	s_barrier_signal -1
	s_barrier_wait -1
	s_cbranch_scc1 .LBB52_22
; %bb.21:
	s_load_b32 s4, s[0:1], 0xd0
	s_wait_kmcnt 0x0
	s_mul_i32 s4, s4, s34
	s_delay_alu instid0(SALU_CYCLE_1)
	s_add_co_i32 s4, s4, s5
	s_load_b32 s44, s[22:23], s4 offset:0x0 scale_offset
.LBB52_22:
	s_wait_xcnt 0x0
	s_clause 0x2
	s_load_b64 s[22:23], s[0:1], 0x8c
	s_load_b128 s[4:7], s[0:1], 0x98
	s_load_b64 s[42:43], s[0:1], 0xa8
	s_mul_i32 s8, s9, s41
	s_ashr_i32 s45, s3, 1
	s_sub_co_i32 s8, s10, s8
	s_ashr_i32 s35, s34, 31
	s_xor_b32 s3, s12, s13
	s_add_co_i32 s12, s9, 1
	s_sub_co_i32 s13, s8, s41
	v_dual_lshlrev_b32 v49, 2, v53 :: v_dual_lshrrev_b32 v38, 3, v53
	v_lshl_add_u32 v59, v37, 5, v53
	v_mul_u32_u24_e32 v36, 0xa0, v53
	v_mul_u32_u24_e32 v19, 0x480, v37
	s_delay_alu instid0(VALU_DEP_4)
	v_and_b32_e32 v18, 28, v49
	v_lshl_add_u32 v57, v37, 9, 0x38e0
	v_mbcnt_lo_u32_b32 v56, -1, 0
	s_wait_kmcnt 0x0
	s_ashr_i32 s46, s22, 2
	s_ashr_i32 s22, s6, 2
	s_cmp_ge_u32 s8, s41
	s_mul_u64 s[4:5], s[4:5], s[34:35]
	s_cselect_b32 s6, s12, s9
	s_cselect_b32 s8, s13, s8
	s_add_co_i32 s9, s6, 1
	s_cmp_ge_u32 s8, s41
	s_mul_u64 s[10:11], s[42:43], s[34:35]
	s_cselect_b32 s6, s9, s6
	s_bfe_u32 s8, ttmp6, 0x40010
	s_xor_b32 s6, s6, s3
	s_and_b32 s12, ttmp7, 0xffff
	s_add_co_i32 s8, s8, 1
	s_sub_co_i32 s3, s6, s3
	s_bfe_u32 s9, ttmp6, 0x40004
	s_mul_i32 s13, s12, s8
	s_mul_i32 s6, s3, s23
	;; [unrolled: 1-line block ×3, first 2 shown]
	s_add_co_i32 s3, s9, s13
	s_ashr_i32 s7, s6, 31
	s_ashr_i32 s9, s8, 31
	s_cmp_eq_u32 s40, 0
	s_add_nc_u64 s[4:5], s[14:15], s[4:5]
	s_cselect_b32 s28, s12, s3
	s_add_nc_u64 s[48:49], s[4:5], s[6:7]
	s_sub_co_i32 s35, s44, 32
	s_lshl_b32 s40, s28, 5
	s_add_nc_u64 s[4:5], s[16:17], s[10:11]
	s_cmp_ge_i32 s40, s35
	s_add_nc_u64 s[42:43], s[4:5], s[8:9]
	s_cbranch_scc1 .LBB52_46
; %bb.23:
	v_dual_mov_b32 v17, 0 :: v_dual_bitop2_b32 v16, 1, v46 bitop3:0x54
	v_lshl_add_u32 v6, v37, 2, v38
	v_dual_mov_b32 v87, 0xfeffffff :: v_dual_add_nc_u32 v40, v57, v0
	v_mul_lo_u32 v22, s22, v59
	s_delay_alu instid0(VALU_DEP_4) | instskip(NEXT) | instid1(VALU_DEP_4)
	v_mul_u64_e32 v[2:3], s[38:39], v[16:17]
	v_mul_u32_u24_e32 v15, 0xa0, v6
	v_mul_u32_u24_e32 v21, 0x90, v6
	v_mul_lo_u32 v20, s46, v59
	v_mul_lo_u32 v24, s46, v6
	;; [unrolled: 1-line block ×3, first 2 shown]
	s_movk_i32 s4, 0x2480
	s_movk_i32 s5, 0x90
	s_ashr_i32 s47, s46, 31
	v_cmp_gt_u32_e64 s3, 32, v59
	v_dual_mov_b32 v60, v17 :: v_dual_add_nc_u32 v39, 0x2400, v58
	v_mbcnt_lo_u32_b32 v41, -1, 0
	v_mad_u32_u24 v76, v59, s5, 0x2480
	v_dual_mov_b32 v61, v17 :: v_dual_mov_b32 v63, v17
	v_dual_mov_b32 v62, v17 :: v_dual_mov_b32 v65, v17
	;; [unrolled: 1-line block ×9, first 2 shown]
	v_mov_b32_e32 v91, 0xfeffffff
	v_dual_mov_b32 v92, 0xfeffffff :: v_dual_add_nc_u32 v1, v16, v3
	v_dual_mov_b32 v93, 0xfeffffff :: v_dual_mov_b32 v94, 0xfeffffff
	s_cmp_lg_u64 s[36:37], 0
	s_delay_alu instid0(VALU_DEP_2)
	v_lshrrev_b32_e32 v1, s29, v1
	s_cselect_b32 s52, -1, 0
	s_add_nc_u64 s[50:51], s[0:1], 0xd0
	s_ashr_i32 s23, s22, 31
	v_mov_b32_e32 v47, v17
	v_mul_lo_u32 v1, v1, s30
	v_dual_mov_b32 v6, v17 :: v_dual_lshlrev_b32 v13, 2, v18
	v_ashrrev_i32_e32 v27, 31, v26
	s_delay_alu instid0(VALU_DEP_2) | instskip(SKIP_3) | instid1(VALU_DEP_1)
	v_add3_u32 v77, v15, v13, 0x2400
	v_add3_u32 v78, v21, v13, 0x2400
	v_dual_ashrrev_i32 v21, 31, v20 :: v_dual_sub_nc_u32 v8, v16, v1
	v_or_b32_e32 v16, 2, v46
	v_mul_u64_e32 v[2:3], s[38:39], v[16:17]
	s_delay_alu instid0(VALU_DEP_1) | instskip(NEXT) | instid1(VALU_DEP_4)
	v_add_nc_u32_e32 v1, v16, v3
	v_mul_lo_u32 v79, v8, s45
	s_delay_alu instid0(VALU_DEP_2) | instskip(NEXT) | instid1(VALU_DEP_1)
	v_lshrrev_b32_e32 v1, s29, v1
	v_mul_lo_u32 v1, v1, s30
	s_delay_alu instid0(VALU_DEP_1) | instskip(NEXT) | instid1(VALU_DEP_1)
	v_dual_sub_nc_u32 v9, v16, v1 :: v_dual_bitop2_b32 v16, 3, v46 bitop3:0x54
	v_mul_u64_e32 v[2:3], s[38:39], v[16:17]
	s_delay_alu instid0(VALU_DEP_1) | instskip(NEXT) | instid1(VALU_DEP_3)
	v_add_nc_u32_e32 v1, v16, v3
	v_mul_lo_u32 v81, v9, s45
	s_delay_alu instid0(VALU_DEP_2) | instskip(NEXT) | instid1(VALU_DEP_1)
	v_lshrrev_b32_e32 v1, s29, v1
	v_mul_lo_u32 v1, v1, s30
	s_delay_alu instid0(VALU_DEP_1) | instskip(NEXT) | instid1(VALU_DEP_1)
	v_dual_sub_nc_u32 v10, v16, v1 :: v_dual_bitop2_b32 v16, 4, v46 bitop3:0x54
	v_mul_u64_e32 v[2:3], s[38:39], v[16:17]
	s_delay_alu instid0(VALU_DEP_1) | instskip(NEXT) | instid1(VALU_DEP_3)
	;; [unrolled: 9-line block ×3, first 2 shown]
	v_add_nc_u32_e32 v1, v16, v3
	v_mul_lo_u32 v83, v11, s45
	s_delay_alu instid0(VALU_DEP_2) | instskip(NEXT) | instid1(VALU_DEP_1)
	v_lshrrev_b32_e32 v1, s29, v1
	v_mul_lo_u32 v1, v1, s30
	s_delay_alu instid0(VALU_DEP_1) | instskip(NEXT) | instid1(VALU_DEP_1)
	v_dual_sub_nc_u32 v12, v16, v1 :: v_dual_bitop2_b32 v16, 6, v46 bitop3:0x54
	v_mul_u64_e32 v[2:3], s[38:39], v[16:17]
	s_delay_alu instid0(VALU_DEP_1)
	v_add_nc_u32_e32 v1, v16, v3
	v_mul_u64_e32 v[2:3], s[38:39], v[46:47]
	v_mov_b32_e32 v70, v17
	v_mul_lo_u32 v84, v12, s45
	v_mad_u32_u24 v47, 0xa0, v59, s4
	v_dual_mov_b32 v2, v17 :: v_dual_lshrrev_b32 v1, s29, v1
	s_delay_alu instid0(VALU_DEP_1) | instskip(NEXT) | instid1(VALU_DEP_1)
	v_mul_lo_u32 v1, v1, s30
	v_dual_sub_nc_u32 v14, v16, v1 :: v_dual_bitop2_b32 v16, 7, v46 bitop3:0x54
	s_delay_alu instid0(VALU_DEP_1) | instskip(NEXT) | instid1(VALU_DEP_2)
	v_mul_lo_u32 v85, v14, s45
	v_mul_u64_e32 v[4:5], s[38:39], v[16:17]
	v_dual_mov_b32 v1, v17 :: v_dual_add_nc_u32 v0, v46, v3
	s_delay_alu instid0(VALU_DEP_1) | instskip(NEXT) | instid1(VALU_DEP_1)
	v_dual_mov_b32 v0, v17 :: v_dual_lshrrev_b32 v3, s29, v0
	v_mul_lo_u32 v23, v3, s30
	s_delay_alu instid0(VALU_DEP_1) | instskip(SKIP_2) | instid1(VALU_DEP_3)
	v_dual_mov_b32 v3, v17 :: v_dual_sub_nc_u32 v13, v46, v23
	v_dual_ashrrev_i32 v23, 31, v22 :: v_dual_add_nc_u32 v5, v16, v5
	v_mov_b32_e32 v4, v17
	v_mul_lo_u32 v80, v13, s45
	s_delay_alu instid0(VALU_DEP_3) | instskip(NEXT) | instid1(VALU_DEP_1)
	v_dual_lshrrev_b32 v25, s29, v5 :: v_dual_mov_b32 v5, v17
	v_mul_lo_u32 v15, v25, s30
	s_delay_alu instid0(VALU_DEP_1) | instskip(SKIP_1) | instid1(VALU_DEP_2)
	v_dual_ashrrev_i32 v25, 31, v24 :: v_dual_sub_nc_u32 v8, v16, v15
	v_lshlrev_b32_e32 v16, 2, v18
	v_mul_lo_u32 v86, v8, s45
.LBB52_24:                              ; =>This Inner Loop Header: Depth=1
	s_ashr_i32 s41, s40, 31
	s_delay_alu instid0(SALU_CYCLE_1) | instskip(NEXT) | instid1(SALU_CYCLE_1)
	s_mul_u64 s[4:5], s[40:41], s[46:47]
	s_lshl_b64 s[4:5], s[4:5], 2
	s_delay_alu instid0(SALU_CYCLE_1)
	s_add_nc_u64 s[4:5], s[48:49], s[4:5]
	s_and_saveexec_b32 s6, s3
	s_cbranch_execz .LBB52_26
; %bb.25:                               ;   in Loop: Header=BB52_24 Depth=1
	v_lshl_add_u64 v[8:9], v[20:21], 2, s[4:5]
	global_load_b128 v[8:11], v[8:9], off offset:128
	s_wait_loadcnt 0x0
	ds_store_b128 v47, v[8:11]
.LBB52_26:                              ;   in Loop: Header=BB52_24 Depth=1
	s_or_b32 exec_lo, exec_lo, s6
	v_lshl_add_u64 v[8:9], v[24:25], 2, s[4:5]
	v_dual_mov_b32 v35, 0 :: v_dual_mov_b32 v33, 0
	v_dual_mov_b32 v100, 0 :: v_dual_mov_b32 v95, 0
	s_delay_alu instid0(VALU_DEP_3)
	v_add_nc_u64_e32 v[8:9], v[8:9], v[16:17]
	v_dual_mov_b32 v105, 0 :: v_dual_mov_b32 v107, 0
	s_and_not1_b32 vcc_lo, exec_lo, s52
	v_mov_b32_e32 v30, 0
	global_load_b128 v[8:11], v[8:9], off
	s_wait_loadcnt 0x0
	ds_store_b128 v77, v[8:11]
	s_wait_dscnt 0x0
	s_barrier_signal -1
	s_barrier_wait -1
	ds_load_b128 v[12:15], v36 offset:9216
	ds_load_b128 v[96:99], v19
	ds_load_b128 v[108:111], v19 offset:144
	ds_load_b128 v[112:115], v19 offset:288
	;; [unrolled: 1-line block ×7, first 2 shown]
	v_dual_mov_b32 v10, 0 :: v_dual_add_nc_u32 v8, s40, v53
	v_mov_b32_e32 v9, 0
	s_wait_dscnt 0x7
	;;#ASMSTART
	v_dot2_f32_f16 v10, v12, v96, v10
	;;#ASMEND
	;;#ASMSTART
	v_dot2_f32_f16 v10, v13, v97, v10
	;;#ASMEND
	;;#ASMSTART
	v_dot2_f32_f16 v10, v14, v98, v10
	;;#ASMEND
	;;#ASMSTART
	v_dot2_f32_f16 v10, v15, v99, v10
	;;#ASMEND
	s_wait_dscnt 0x6
	;;#ASMSTART
	v_dot2_f32_f16 v30, v12, v108, v30
	;;#ASMEND
	;;#ASMSTART
	v_dot2_f32_f16 v30, v13, v109, v30
	;;#ASMEND
	;;#ASMSTART
	v_dot2_f32_f16 v30, v14, v110, v30
	;;#ASMEND
	;;#ASMSTART
	v_dot2_f32_f16 v30, v15, v111, v30
	;;#ASMEND
	;; [unrolled: 13-line block ×8, first 2 shown]
	ds_load_b128 v[12:15], v36 offset:9232
	ds_load_b128 v[96:99], v19 offset:16
	;; [unrolled: 1-line block ×9, first 2 shown]
	s_wait_dscnt 0x7
	;;#ASMSTART
	v_dot2_f32_f16 v10, v12, v96, v10
	;;#ASMEND
	;;#ASMSTART
	v_dot2_f32_f16 v10, v13, v97, v10
	;;#ASMEND
	;;#ASMSTART
	v_dot2_f32_f16 v10, v14, v98, v10
	;;#ASMEND
	;;#ASMSTART
	v_dot2_f32_f16 v10, v15, v99, v10
	;;#ASMEND
	s_wait_dscnt 0x6
	;;#ASMSTART
	v_dot2_f32_f16 v30, v12, v108, v30
	;;#ASMEND
	;;#ASMSTART
	v_dot2_f32_f16 v30, v13, v109, v30
	;;#ASMEND
	;;#ASMSTART
	v_dot2_f32_f16 v30, v14, v110, v30
	;;#ASMEND
	;;#ASMSTART
	v_dot2_f32_f16 v30, v15, v111, v30
	;;#ASMEND
	;; [unrolled: 13-line block ×8, first 2 shown]
	ds_load_b128 v[12:15], v36 offset:9248
	ds_load_b128 v[96:99], v19 offset:32
	;; [unrolled: 1-line block ×9, first 2 shown]
	s_wait_dscnt 0x7
	;;#ASMSTART
	v_dot2_f32_f16 v10, v12, v96, v10
	;;#ASMEND
	;;#ASMSTART
	v_dot2_f32_f16 v10, v13, v97, v10
	;;#ASMEND
	;;#ASMSTART
	v_dot2_f32_f16 v10, v14, v98, v10
	;;#ASMEND
	;;#ASMSTART
	v_dot2_f32_f16 v10, v15, v99, v10
	;;#ASMEND
	s_wait_dscnt 0x6
	;;#ASMSTART
	v_dot2_f32_f16 v30, v12, v108, v30
	;;#ASMEND
	;;#ASMSTART
	v_dot2_f32_f16 v30, v13, v109, v30
	;;#ASMEND
	;;#ASMSTART
	v_dot2_f32_f16 v30, v14, v110, v30
	;;#ASMEND
	;;#ASMSTART
	v_dot2_f32_f16 v30, v15, v111, v30
	;;#ASMEND
	;; [unrolled: 13-line block ×8, first 2 shown]
	ds_load_b128 v[12:15], v36 offset:9264
	ds_load_b128 v[96:99], v19 offset:48
	;; [unrolled: 1-line block ×9, first 2 shown]
	s_wait_dscnt 0x7
	;;#ASMSTART
	v_dot2_f32_f16 v10, v12, v96, v10
	;;#ASMEND
	;;#ASMSTART
	v_dot2_f32_f16 v10, v13, v97, v10
	;;#ASMEND
	;;#ASMSTART
	v_dot2_f32_f16 v10, v14, v98, v10
	;;#ASMEND
	;;#ASMSTART
	v_dot2_f32_f16 v10, v15, v99, v10
	;;#ASMEND
	s_wait_dscnt 0x6
	;;#ASMSTART
	v_dot2_f32_f16 v30, v12, v108, v30
	;;#ASMEND
	;;#ASMSTART
	v_dot2_f32_f16 v30, v13, v109, v30
	;;#ASMEND
	;;#ASMSTART
	v_dot2_f32_f16 v30, v14, v110, v30
	;;#ASMEND
	;;#ASMSTART
	v_dot2_f32_f16 v30, v15, v111, v30
	;;#ASMEND
	;; [unrolled: 13-line block ×8, first 2 shown]
	ds_load_b128 v[12:15], v36 offset:9280
	ds_load_b128 v[96:99], v19 offset:64
	;; [unrolled: 1-line block ×9, first 2 shown]
	s_wait_dscnt 0x7
	;;#ASMSTART
	v_dot2_f32_f16 v10, v12, v96, v10
	;;#ASMEND
	;;#ASMSTART
	v_dot2_f32_f16 v10, v13, v97, v10
	;;#ASMEND
	;;#ASMSTART
	v_dot2_f32_f16 v10, v14, v98, v10
	;;#ASMEND
	;;#ASMSTART
	v_dot2_f32_f16 v10, v15, v99, v10
	;;#ASMEND
	s_wait_dscnt 0x6
	;;#ASMSTART
	v_dot2_f32_f16 v30, v12, v108, v30
	;;#ASMEND
	;;#ASMSTART
	v_dot2_f32_f16 v30, v13, v109, v30
	;;#ASMEND
	;;#ASMSTART
	v_dot2_f32_f16 v30, v14, v110, v30
	;;#ASMEND
	;;#ASMSTART
	v_dot2_f32_f16 v30, v15, v111, v30
	;;#ASMEND
	;; [unrolled: 13-line block ×8, first 2 shown]
	ds_load_b128 v[12:15], v36 offset:9296
	ds_load_b128 v[96:99], v19 offset:80
	;; [unrolled: 1-line block ×9, first 2 shown]
	s_wait_dscnt 0x7
	;;#ASMSTART
	v_dot2_f32_f16 v10, v12, v96, v10
	;;#ASMEND
	;;#ASMSTART
	v_dot2_f32_f16 v10, v13, v97, v10
	;;#ASMEND
	;;#ASMSTART
	v_dot2_f32_f16 v10, v14, v98, v10
	;;#ASMEND
	;;#ASMSTART
	v_dot2_f32_f16 v10, v15, v99, v10
	;;#ASMEND
	s_wait_dscnt 0x6
	;;#ASMSTART
	v_dot2_f32_f16 v30, v12, v108, v30
	;;#ASMEND
	;;#ASMSTART
	v_dot2_f32_f16 v30, v13, v109, v30
	;;#ASMEND
	;;#ASMSTART
	v_dot2_f32_f16 v30, v14, v110, v30
	;;#ASMEND
	;;#ASMSTART
	v_dot2_f32_f16 v30, v15, v111, v30
	;;#ASMEND
	;; [unrolled: 13-line block ×8, first 2 shown]
	ds_load_b128 v[12:15], v36 offset:9312
	ds_load_b128 v[96:99], v19 offset:96
	;; [unrolled: 1-line block ×9, first 2 shown]
	s_wait_dscnt 0x7
	;;#ASMSTART
	v_dot2_f32_f16 v10, v12, v96, v10
	;;#ASMEND
	;;#ASMSTART
	v_dot2_f32_f16 v10, v13, v97, v10
	;;#ASMEND
	;;#ASMSTART
	v_dot2_f32_f16 v10, v14, v98, v10
	;;#ASMEND
	;;#ASMSTART
	v_dot2_f32_f16 v10, v15, v99, v10
	;;#ASMEND
	s_wait_dscnt 0x6
	;;#ASMSTART
	v_dot2_f32_f16 v30, v12, v108, v30
	;;#ASMEND
	;;#ASMSTART
	v_dot2_f32_f16 v30, v13, v109, v30
	;;#ASMEND
	;;#ASMSTART
	v_dot2_f32_f16 v30, v14, v110, v30
	;;#ASMEND
	;;#ASMSTART
	v_dot2_f32_f16 v30, v15, v111, v30
	;;#ASMEND
	;; [unrolled: 13-line block ×8, first 2 shown]
	ds_load_b128 v[12:15], v36 offset:9328
	ds_load_b128 v[96:99], v19 offset:112
	;; [unrolled: 1-line block ×9, first 2 shown]
	s_wait_dscnt 0x7
	;;#ASMSTART
	v_dot2_f32_f16 v10, v12, v96, v10
	;;#ASMEND
	;;#ASMSTART
	v_dot2_f32_f16 v10, v13, v97, v10
	;;#ASMEND
	;;#ASMSTART
	v_dot2_f32_f16 v10, v14, v98, v10
	;;#ASMEND
	;;#ASMSTART
	v_dot2_f32_f16 v10, v15, v99, v10
	;;#ASMEND
	s_wait_dscnt 0x6
	;;#ASMSTART
	v_dot2_f32_f16 v30, v12, v108, v30
	;;#ASMEND
	;;#ASMSTART
	v_dot2_f32_f16 v30, v13, v109, v30
	;;#ASMEND
	;;#ASMSTART
	v_dot2_f32_f16 v30, v14, v110, v30
	;;#ASMEND
	;;#ASMSTART
	v_dot2_f32_f16 v30, v15, v111, v30
	;;#ASMEND
	;; [unrolled: 13-line block ×8, first 2 shown]
	ds_load_b128 v[96:99], v36 offset:9344
	ds_load_b128 v[108:111], v19 offset:128
	;; [unrolled: 1-line block ×9, first 2 shown]
	s_wait_dscnt 0x7
	;;#ASMSTART
	v_dot2_f32_f16 v10, v96, v108, v10
	;;#ASMEND
	;;#ASMSTART
	v_dot2_f32_f16 v10, v97, v109, v10
	;;#ASMEND
	;;#ASMSTART
	v_dot2_f32_f16 v10, v98, v110, v10
	;;#ASMEND
	;;#ASMSTART
	v_dot2_f32_f16 v10, v99, v111, v10
	;;#ASMEND
	s_wait_dscnt 0x6
	;;#ASMSTART
	v_dot2_f32_f16 v30, v96, v112, v30
	;;#ASMEND
	;;#ASMSTART
	v_dot2_f32_f16 v30, v97, v113, v30
	;;#ASMEND
	;;#ASMSTART
	v_dot2_f32_f16 v30, v98, v114, v30
	;;#ASMEND
	;;#ASMSTART
	v_dot2_f32_f16 v30, v99, v115, v30
	;;#ASMEND
	;; [unrolled: 13-line block ×6, first 2 shown]
	s_wait_dscnt 0x1
	;;#ASMSTART
	v_dot2_f32_f16 v105, v96, v132, v105
	;;#ASMEND
	v_mov_b32_e32 v14, 0
	;;#ASMSTART
	v_dot2_f32_f16 v105, v97, v133, v105
	;;#ASMEND
	;;#ASMSTART
	v_dot2_f32_f16 v105, v98, v134, v105
	;;#ASMEND
	;; [unrolled: 3-line block ×3, first 2 shown]
	s_wait_dscnt 0x0
	;;#ASMSTART
	v_dot2_f32_f16 v107, v96, v136, v107
	;;#ASMEND
	;;#ASMSTART
	v_dot2_f32_f16 v107, v97, v137, v107
	;;#ASMEND
	;; [unrolled: 3-line block ×4, first 2 shown]
	s_cbranch_vccnz .LBB52_28
; %bb.27:                               ;   in Loop: Header=BB52_24 Depth=1
	v_add_nc_u32_e32 v9, v8, v80
	global_load_u16 v9, v9, s[36:37] scale_offset
	s_wait_loadcnt 0x0
	v_cvt_f32_f16_e32 v9, v9
	s_delay_alu instid0(VALU_DEP_1)
	v_mul_f32_e32 v9, v42, v9
.LBB52_28:                              ;   in Loop: Header=BB52_24 Depth=1
	v_xor_b32_e32 v11, 16, v41
	s_delay_alu instid0(VALU_DEP_2) | instskip(SKIP_1) | instid1(VALU_DEP_3)
	v_dual_add_f32 v29, v10, v9 :: v_dual_max_num_f32 v10, v87, v87
	v_xor_b32_e32 v12, 8, v41
	v_cmp_gt_i32_e32 vcc_lo, 32, v11
	v_cndmask_b32_e32 v9, v41, v11, vcc_lo
	s_delay_alu instid0(VALU_DEP_3) | instskip(SKIP_1) | instid1(VALU_DEP_1)
	v_cmp_gt_i32_e32 vcc_lo, 32, v12
	v_dual_add_f32 v11, 0x40051340, v29 :: v_dual_cndmask_b32 v12, v41, v12
	v_dual_max_num_f32 v10, v10, v11 :: v_dual_lshlrev_b32 v9, 2, v9
	ds_bpermute_b32 v11, v9, v10
	s_wait_dscnt 0x0
	v_dual_max_num_f32 v13, v11, v11 :: v_dual_lshlrev_b32 v11, 2, v12
	s_delay_alu instid0(VALU_DEP_1) | instskip(SKIP_3) | instid1(VALU_DEP_1)
	v_max_num_f32_e32 v12, v10, v13
	ds_bpermute_b32 v10, v11, v12
	s_wait_dscnt 0x0
	v_dual_max_num_f32 v15, v10, v10 :: v_dual_bitop2_b32 v13, 4, v41 bitop3:0x14
	v_cmp_gt_i32_e32 vcc_lo, 32, v13
	s_delay_alu instid0(VALU_DEP_2) | instskip(SKIP_1) | instid1(VALU_DEP_1)
	v_dual_max_num_f32 v12, v12, v15 :: v_dual_cndmask_b32 v13, v41, v13
	v_xor_b32_e32 v15, 2, v41
	v_cmp_gt_i32_e32 vcc_lo, 32, v15
	s_delay_alu instid0(VALU_DEP_3) | instskip(SKIP_2) | instid1(VALU_DEP_1)
	v_dual_cndmask_b32 v15, v41, v15 :: v_dual_lshlrev_b32 v10, 2, v13
	ds_bpermute_b32 v13, v10, v12
	v_dual_lshlrev_b32 v28, 2, v15 :: v_dual_bitop2_b32 v15, 1, v41 bitop3:0x14
	v_cmp_gt_i32_e32 vcc_lo, 32, v15
	v_cndmask_b32_e32 v15, v41, v15, vcc_lo
	s_and_not1_b32 vcc_lo, exec_lo, s52
	s_wait_dscnt 0x0
	s_delay_alu instid0(VALU_DEP_1) | instskip(NEXT) | instid1(VALU_DEP_1)
	v_dual_max_num_f32 v13, v13, v13 :: v_dual_lshlrev_b32 v15, 2, v15
	v_max_num_f32_e32 v12, v12, v13
	ds_bpermute_b32 v13, v28, v12
	s_wait_dscnt 0x0
	v_max_num_f32_e32 v13, v13, v13
	s_delay_alu instid0(VALU_DEP_1)
	v_max_num_f32_e32 v12, v12, v13
	ds_bpermute_b32 v13, v15, v12
	s_cbranch_vccnz .LBB52_30
; %bb.29:                               ;   in Loop: Header=BB52_24 Depth=1
	v_add_nc_u32_e32 v14, v8, v79
	global_load_u16 v14, v14, s[36:37] scale_offset
	s_wait_loadcnt 0x0
	v_cvt_f32_f16_e32 v14, v14
	s_delay_alu instid0(VALU_DEP_1)
	v_mul_f32_e32 v14, v42, v14
.LBB52_30:                              ;   in Loop: Header=BB52_24 Depth=1
	s_delay_alu instid0(VALU_DEP_1) | instskip(SKIP_2) | instid1(VALU_DEP_2)
	v_dual_add_f32 v30, v30, v14 :: v_dual_max_num_f32 v31, v88, v88
	s_and_not1_b32 vcc_lo, exec_lo, s52
	v_mov_b32_e32 v32, 0
	v_add_f32_e32 v14, 0x40051340, v30
	s_delay_alu instid0(VALU_DEP_1) | instskip(SKIP_3) | instid1(VALU_DEP_1)
	v_max_num_f32_e32 v14, v31, v14
	ds_bpermute_b32 v31, v9, v14
	s_wait_dscnt 0x0
	v_max_num_f32_e32 v31, v31, v31
	v_max_num_f32_e32 v14, v14, v31
	ds_bpermute_b32 v31, v11, v14
	s_wait_dscnt 0x0
	v_max_num_f32_e32 v31, v31, v31
	s_delay_alu instid0(VALU_DEP_1) | instskip(SKIP_3) | instid1(VALU_DEP_1)
	v_max_num_f32_e32 v14, v14, v31
	ds_bpermute_b32 v31, v10, v14
	s_wait_dscnt 0x0
	v_max_num_f32_e32 v31, v31, v31
	v_max_num_f32_e32 v14, v14, v31
	ds_bpermute_b32 v31, v28, v14
	s_wait_dscnt 0x0
	v_max_num_f32_e32 v31, v31, v31
	s_delay_alu instid0(VALU_DEP_1)
	v_dual_max_num_f32 v14, v14, v31 :: v_dual_mov_b32 v31, 0
	ds_bpermute_b32 v34, v15, v14
	s_cbranch_vccnz .LBB52_32
; %bb.31:                               ;   in Loop: Header=BB52_24 Depth=1
	v_add_nc_u32_e32 v31, v8, v81
	global_load_u16 v31, v31, s[36:37] scale_offset
	s_wait_loadcnt 0x0
	v_cvt_f32_f16_e32 v31, v31
	s_delay_alu instid0(VALU_DEP_1)
	v_mul_f32_e32 v31, v42, v31
.LBB52_32:                              ;   in Loop: Header=BB52_24 Depth=1
	s_delay_alu instid0(VALU_DEP_1) | instskip(SKIP_1) | instid1(VALU_DEP_1)
	v_dual_add_f32 v31, v35, v31 :: v_dual_max_num_f32 v96, v89, v89
	s_and_not1_b32 vcc_lo, exec_lo, s52
	v_add_f32_e32 v35, 0x40051340, v31
	s_delay_alu instid0(VALU_DEP_1) | instskip(SKIP_3) | instid1(VALU_DEP_1)
	v_max_num_f32_e32 v35, v96, v35
	ds_bpermute_b32 v96, v9, v35
	s_wait_dscnt 0x0
	v_max_num_f32_e32 v96, v96, v96
	v_max_num_f32_e32 v35, v35, v96
	ds_bpermute_b32 v96, v11, v35
	s_wait_dscnt 0x0
	v_max_num_f32_e32 v96, v96, v96
	s_delay_alu instid0(VALU_DEP_1) | instskip(SKIP_3) | instid1(VALU_DEP_1)
	v_max_num_f32_e32 v35, v35, v96
	ds_bpermute_b32 v96, v10, v35
	s_wait_dscnt 0x0
	v_max_num_f32_e32 v96, v96, v96
	v_max_num_f32_e32 v35, v35, v96
	ds_bpermute_b32 v96, v28, v35
	s_wait_dscnt 0x0
	v_max_num_f32_e32 v96, v96, v96
	s_delay_alu instid0(VALU_DEP_1)
	v_max_num_f32_e32 v96, v35, v96
	ds_bpermute_b32 v97, v15, v96
	s_cbranch_vccnz .LBB52_34
; %bb.33:                               ;   in Loop: Header=BB52_24 Depth=1
	v_add_nc_u32_e32 v32, v8, v82
	global_load_u16 v32, v32, s[36:37] scale_offset
	s_wait_loadcnt 0x0
	v_cvt_f32_f16_e32 v32, v32
	s_delay_alu instid0(VALU_DEP_1)
	v_mul_f32_e32 v32, v42, v32
.LBB52_34:                              ;   in Loop: Header=BB52_24 Depth=1
	s_delay_alu instid0(VALU_DEP_1) | instskip(SKIP_1) | instid1(VALU_DEP_1)
	v_dual_add_f32 v32, v33, v32 :: v_dual_max_num_f32 v35, v90, v90
	s_and_not1_b32 vcc_lo, exec_lo, s52
	v_add_f32_e32 v33, 0x40051340, v32
	s_delay_alu instid0(VALU_DEP_1) | instskip(SKIP_3) | instid1(VALU_DEP_1)
	v_max_num_f32_e32 v33, v35, v33
	ds_bpermute_b32 v35, v9, v33
	s_wait_dscnt 0x0
	v_max_num_f32_e32 v35, v35, v35
	v_max_num_f32_e32 v33, v33, v35
	ds_bpermute_b32 v35, v11, v33
	s_wait_dscnt 0x0
	v_max_num_f32_e32 v35, v35, v35
	s_delay_alu instid0(VALU_DEP_1) | instskip(SKIP_3) | instid1(VALU_DEP_1)
	v_max_num_f32_e32 v33, v33, v35
	ds_bpermute_b32 v35, v10, v33
	s_wait_dscnt 0x0
	v_max_num_f32_e32 v35, v35, v35
	v_max_num_f32_e32 v33, v33, v35
	ds_bpermute_b32 v35, v28, v33
	s_wait_dscnt 0x0
	v_max_num_f32_e32 v35, v35, v35
	s_delay_alu instid0(VALU_DEP_1)
	v_dual_max_num_f32 v98, v33, v35 :: v_dual_mov_b32 v35, 0
	v_mov_b32_e32 v33, 0
	ds_bpermute_b32 v99, v15, v98
	s_cbranch_vccnz .LBB52_36
; %bb.35:                               ;   in Loop: Header=BB52_24 Depth=1
	v_add_nc_u32_e32 v33, v8, v83
	global_load_u16 v33, v33, s[36:37] scale_offset
	s_wait_loadcnt 0x0
	v_cvt_f32_f16_e32 v33, v33
	s_delay_alu instid0(VALU_DEP_1)
	v_mul_f32_e32 v33, v42, v33
.LBB52_36:                              ;   in Loop: Header=BB52_24 Depth=1
	s_delay_alu instid0(VALU_DEP_1) | instskip(SKIP_1) | instid1(VALU_DEP_1)
	v_dual_add_f32 v33, v100, v33 :: v_dual_max_num_f32 v101, v91, v91
	s_and_not1_b32 vcc_lo, exec_lo, s52
	v_add_f32_e32 v100, 0x40051340, v33
	s_delay_alu instid0(VALU_DEP_1) | instskip(SKIP_3) | instid1(VALU_DEP_1)
	v_max_num_f32_e32 v100, v101, v100
	ds_bpermute_b32 v101, v9, v100
	s_wait_dscnt 0x0
	v_max_num_f32_e32 v101, v101, v101
	v_max_num_f32_e32 v100, v100, v101
	ds_bpermute_b32 v101, v11, v100
	s_wait_dscnt 0x0
	v_max_num_f32_e32 v101, v101, v101
	s_delay_alu instid0(VALU_DEP_1) | instskip(SKIP_3) | instid1(VALU_DEP_1)
	v_max_num_f32_e32 v100, v100, v101
	ds_bpermute_b32 v101, v10, v100
	s_wait_dscnt 0x0
	v_max_num_f32_e32 v101, v101, v101
	v_max_num_f32_e32 v100, v100, v101
	ds_bpermute_b32 v101, v28, v100
	s_wait_dscnt 0x0
	v_max_num_f32_e32 v101, v101, v101
	s_delay_alu instid0(VALU_DEP_1)
	v_max_num_f32_e32 v100, v100, v101
	ds_bpermute_b32 v101, v15, v100
	s_cbranch_vccnz .LBB52_38
; %bb.37:                               ;   in Loop: Header=BB52_24 Depth=1
	v_add_nc_u32_e32 v35, v8, v84
	global_load_u16 v35, v35, s[36:37] scale_offset
	s_wait_loadcnt 0x0
	v_cvt_f32_f16_e32 v35, v35
	s_delay_alu instid0(VALU_DEP_1)
	v_mul_f32_e32 v35, v42, v35
.LBB52_38:                              ;   in Loop: Header=BB52_24 Depth=1
	s_delay_alu instid0(VALU_DEP_1) | instskip(SKIP_1) | instid1(VALU_DEP_1)
	v_dual_add_f32 v35, v95, v35 :: v_dual_max_num_f32 v102, v92, v92
	s_and_not1_b32 vcc_lo, exec_lo, s52
	v_dual_mov_b32 v104, 0 :: v_dual_add_f32 v95, 0x40051340, v35
	s_delay_alu instid0(VALU_DEP_1) | instskip(SKIP_3) | instid1(VALU_DEP_1)
	v_max_num_f32_e32 v95, v102, v95
	ds_bpermute_b32 v102, v9, v95
	s_wait_dscnt 0x0
	v_max_num_f32_e32 v102, v102, v102
	v_max_num_f32_e32 v95, v95, v102
	ds_bpermute_b32 v102, v11, v95
	s_wait_dscnt 0x0
	v_max_num_f32_e32 v102, v102, v102
	s_delay_alu instid0(VALU_DEP_1) | instskip(SKIP_3) | instid1(VALU_DEP_1)
	v_max_num_f32_e32 v95, v95, v102
	ds_bpermute_b32 v102, v10, v95
	s_wait_dscnt 0x0
	v_max_num_f32_e32 v102, v102, v102
	v_max_num_f32_e32 v95, v95, v102
	ds_bpermute_b32 v102, v28, v95
	s_wait_dscnt 0x0
	v_max_num_f32_e32 v102, v102, v102
	s_delay_alu instid0(VALU_DEP_1)
	v_dual_max_num_f32 v102, v95, v102 :: v_dual_mov_b32 v95, 0
	ds_bpermute_b32 v103, v15, v102
	s_cbranch_vccnz .LBB52_40
; %bb.39:                               ;   in Loop: Header=BB52_24 Depth=1
	v_add_nc_u32_e32 v95, v8, v85
	global_load_u16 v95, v95, s[36:37] scale_offset
	s_wait_loadcnt 0x0
	v_cvt_f32_f16_e32 v95, v95
	s_delay_alu instid0(VALU_DEP_1)
	v_mul_f32_e32 v95, v42, v95
.LBB52_40:                              ;   in Loop: Header=BB52_24 Depth=1
	v_max_num_f32_e32 v106, v93, v93
	s_delay_alu instid0(VALU_DEP_2) | instskip(SKIP_1) | instid1(VALU_DEP_1)
	v_add_f32_e32 v95, v105, v95
	s_and_not1_b32 vcc_lo, exec_lo, s52
	v_add_f32_e32 v105, 0x40051340, v95
	s_delay_alu instid0(VALU_DEP_1) | instskip(SKIP_3) | instid1(VALU_DEP_1)
	v_max_num_f32_e32 v105, v106, v105
	ds_bpermute_b32 v106, v9, v105
	s_wait_dscnt 0x0
	v_max_num_f32_e32 v106, v106, v106
	v_max_num_f32_e32 v105, v105, v106
	ds_bpermute_b32 v106, v11, v105
	s_wait_dscnt 0x0
	v_max_num_f32_e32 v106, v106, v106
	s_delay_alu instid0(VALU_DEP_1) | instskip(SKIP_3) | instid1(VALU_DEP_1)
	v_max_num_f32_e32 v105, v105, v106
	ds_bpermute_b32 v106, v10, v105
	s_wait_dscnt 0x0
	v_max_num_f32_e32 v106, v106, v106
	v_max_num_f32_e32 v105, v105, v106
	ds_bpermute_b32 v106, v28, v105
	s_wait_dscnt 0x0
	v_max_num_f32_e32 v106, v106, v106
	s_delay_alu instid0(VALU_DEP_1)
	v_max_num_f32_e32 v105, v105, v106
	ds_bpermute_b32 v106, v15, v105
	s_cbranch_vccnz .LBB52_42
; %bb.41:                               ;   in Loop: Header=BB52_24 Depth=1
	v_add_nc_u32_e32 v8, v8, v86
	global_load_u16 v8, v8, s[36:37] scale_offset
	s_wait_loadcnt 0x0
	v_cvt_f32_f16_e32 v8, v8
	s_delay_alu instid0(VALU_DEP_1)
	v_mul_f32_e32 v104, v42, v8
.LBB52_42:                              ;   in Loop: Header=BB52_24 Depth=1
	s_delay_alu instid0(VALU_DEP_1) | instskip(SKIP_2) | instid1(VALU_DEP_3)
	v_dual_add_f32 v104, v107, v104 :: v_dual_max_num_f32 v8, v94, v94
	v_dual_max_num_f32 v101, v101, v101 :: v_dual_max_num_f32 v34, v34, v34
	v_max_num_f32_e32 v12, v12, v12
	v_add_f32_e32 v107, 0x40051340, v104
	v_dual_max_num_f32 v99, v99, v99 :: v_dual_max_num_f32 v98, v98, v98
	v_dual_max_num_f32 v97, v97, v97 :: v_dual_max_num_f32 v96, v96, v96
	s_delay_alu instid0(VALU_DEP_3)
	v_max_num_f32_e32 v8, v8, v107
	s_mul_u64 s[4:5], s[40:41], s[22:23]
	s_wait_dscnt 0x0
	s_lshl_b64 s[4:5], s[4:5], 2
	s_barrier_signal -1
	ds_bpermute_b32 v9, v9, v8
	s_add_nc_u64 s[4:5], s[42:43], s[4:5]
	s_barrier_wait -1
	s_wait_dscnt 0x0
	v_dual_max_num_f32 v102, v102, v102 :: v_dual_max_num_f32 v9, v9, v9
	s_delay_alu instid0(VALU_DEP_1) | instskip(SKIP_3) | instid1(VALU_DEP_1)
	v_max_num_f32_e32 v8, v8, v9
	ds_bpermute_b32 v9, v11, v8
	s_wait_dscnt 0x0
	v_dual_max_num_f32 v11, v106, v106 :: v_dual_max_num_f32 v9, v9, v9
	v_dual_max_num_f32 v106, v8, v9 :: v_dual_max_num_f32 v9, v103, v103
	;; [unrolled: 1-line block ×3, first 2 shown]
	ds_bpermute_b32 v103, v10, v106
	v_dual_max_num_f32 v10, v100, v100 :: v_dual_max_num_f32 v100, v13, v13
	v_dual_max_num_f32 v14, v8, v11 :: v_dual_max_num_f32 v13, v102, v9
	;; [unrolled: 1-line block ×3, first 2 shown]
	s_delay_alu instid0(VALU_DEP_3) | instskip(SKIP_1) | instid1(VALU_DEP_3)
	v_dual_max_num_f32 v8, v12, v100 :: v_dual_max_num_f32 v12, v10, v101
	v_max_num_f32_e32 v10, v96, v97
	v_dual_sub_f32 v30, v30, v9 :: v_dual_sub_f32 v32, v32, v11
	s_delay_alu instid0(VALU_DEP_3) | instskip(NEXT) | instid1(VALU_DEP_3)
	v_dual_sub_f32 v29, v29, v8 :: v_dual_sub_f32 v95, v95, v14
	v_dual_sub_f32 v31, v31, v10 :: v_dual_sub_f32 v33, v33, v12
	v_sub_f32_e32 v35, v35, v13
	s_delay_alu instid0(VALU_DEP_3) | instskip(SKIP_1) | instid1(VALU_DEP_4)
	v_mul_f32_e32 v96, 0x3fb8aa3b, v29
	v_cmp_ngt_f32_e32 vcc_lo, 0xc2ce8ed0, v29
	v_mul_f32_e32 v98, 0x3fb8aa3b, v31
	s_wait_dscnt 0x0
	v_dual_max_num_f32 v34, v103, v103 :: v_dual_mul_f32 v97, 0x3fb8aa3b, v30
	v_rndne_f32_e32 v105, v96
	v_fma_f32 v103, 0x3fb8aa3b, v29, -v96
	v_dual_mul_f32 v100, 0x3fb8aa3b, v33 :: v_dual_mul_f32 v101, 0x3fb8aa3b, v35
	s_delay_alu instid0(VALU_DEP_4)
	v_dual_max_num_f32 v34, v106, v34 :: v_dual_mul_f32 v99, 0x3fb8aa3b, v32
	v_fma_f32 v106, 0x3fb8aa3b, v30, -v97
	v_rndne_f32_e32 v107, v97
	v_sub_f32_e32 v96, v96, v105
	ds_bpermute_b32 v28, v28, v34
	v_rndne_f32_e32 v111, v99
	v_fma_f32 v110, 0x3fb8aa3b, v32, -v99
	v_dual_fmac_f32 v106, 0x32a5705f, v30 :: v_dual_sub_f32 v97, v97, v107
	v_fmac_f32_e32 v103, 0x32a5705f, v29
	s_delay_alu instid0(VALU_DEP_4)
	v_sub_f32_e32 v99, v99, v111
	v_mul_f32_e32 v102, 0x3fb8aa3b, v95
	v_rndne_f32_e32 v113, v100
	v_add_f32_e32 v97, v97, v106
	v_cvt_i32_f32_e32 v105, v105
	v_fma_f32 v112, 0x3fb8aa3b, v33, -v100
	v_rndne_f32_e32 v117, v102
	v_fma_f32 v116, 0x3fb8aa3b, v95, -v102
	v_exp_f32_e32 v97, v97
	v_rndne_f32_e32 v109, v98
	v_fma_f32 v114, 0x3fb8aa3b, v35, -v101
	v_rndne_f32_e32 v115, v101
	v_fmac_f32_e32 v116, 0x32a5705f, v95
	v_fma_f32 v108, 0x3fb8aa3b, v31, -v98
	s_wait_dscnt 0x0
	v_dual_max_num_f32 v28, v28, v28 :: v_dual_sub_f32 v102, v102, v117
	v_dual_add_f32 v96, v96, v103 :: v_dual_sub_f32 v98, v98, v109
	s_delay_alu instid0(VALU_DEP_2) | instskip(SKIP_1) | instid1(VALU_DEP_3)
	v_dual_sub_f32 v101, v101, v115 :: v_dual_max_num_f32 v28, v34, v28
	v_sub_f32_e32 v100, v100, v113
	v_exp_f32_e32 v96, v96
	v_cvt_i32_f32_e32 v34, v107
	v_cvt_i32_f32_e32 v107, v109
	ds_bpermute_b32 v15, v15, v28
	v_fmac_f32_e32 v112, 0x32a5705f, v33
	v_cvt_i32_f32_e32 v109, v111
	v_ldexp_f32 v34, v97, v34
	v_ldexp_f32 v96, v96, v105
	v_cvt_i32_f32_e32 v111, v113
	v_cvt_i32_f32_e32 v113, v115
	;; [unrolled: 1-line block ×3, first 2 shown]
	s_delay_alu instid0(VALU_DEP_4)
	v_cndmask_b32_e32 v96, 0, v96, vcc_lo
	v_cmp_ngt_f32_e32 vcc_lo, 0xc2ce8ed0, v30
	v_dual_add_f32 v102, v102, v116 :: v_dual_cndmask_b32 v34, 0, v34, vcc_lo
	v_cmp_ngt_f32_e32 vcc_lo, 0xc2ce8ed0, v31
	v_fmac_f32_e32 v114, 0x32a5705f, v35
	s_wait_dscnt 0x0
	v_dual_fmac_f32 v110, 0x32a5705f, v32 :: v_dual_max_num_f32 v15, v15, v15
	s_delay_alu instid0(VALU_DEP_2) | instskip(NEXT) | instid1(VALU_DEP_2)
	v_dual_add_f32 v100, v100, v112 :: v_dual_add_f32 v101, v101, v114
	v_dual_fmac_f32 v108, 0x32a5705f, v31 :: v_dual_add_f32 v99, v99, v110
	s_delay_alu instid0(VALU_DEP_3) | instskip(NEXT) | instid1(VALU_DEP_3)
	v_max_num_f32_e32 v15, v28, v15
	v_exp_f32_e32 v28, v100
	s_delay_alu instid0(VALU_DEP_3) | instskip(NEXT) | instid1(VALU_DEP_2)
	v_exp_f32_e32 v100, v101
	v_add_f32_e32 v98, v98, v108
	v_exp_f32_e32 v99, v99
	v_exp_f32_e32 v101, v102
	v_nop
	v_sub_f32_e32 v102, v104, v15
	v_exp_f32_e32 v98, v98
	v_ldexp_f32 v28, v28, v111
	v_ldexp_f32 v100, v100, v113
	s_delay_alu instid0(TRANS32_DEP_2) | instskip(NEXT) | instid1(TRANS32_DEP_1)
	v_ldexp_f32 v101, v101, v115
	v_ldexp_f32 v97, v98, v107
	;; [unrolled: 1-line block ×3, first 2 shown]
	v_mul_f32_e32 v99, 0x3fb8aa3b, v102
	s_delay_alu instid0(VALU_DEP_3) | instskip(SKIP_1) | instid1(VALU_DEP_3)
	v_cndmask_b32_e32 v97, 0, v97, vcc_lo
	v_cmp_ngt_f32_e32 vcc_lo, 0xc2ce8ed0, v32
	v_fma_f32 v103, 0x3fb8aa3b, v102, -v99
	v_rndne_f32_e32 v104, v99
	v_cndmask_b32_e32 v98, 0, v98, vcc_lo
	v_cmp_ngt_f32_e32 vcc_lo, 0xc2ce8ed0, v33
	s_delay_alu instid0(VALU_DEP_3) | instskip(SKIP_3) | instid1(VALU_DEP_3)
	v_sub_f32_e32 v99, v99, v104
	v_fmac_f32_e32 v103, 0x32a5705f, v102
	v_cndmask_b32_e32 v105, 0, v28, vcc_lo
	v_cmp_ngt_f32_e32 vcc_lo, 0xc2ce8ed0, v35
	v_dual_add_f32 v28, v99, v103 :: v_dual_cndmask_b32 v99, 0, v100
	v_cmp_ngt_f32_e32 vcc_lo, 0xc2ce8ed0, v95
	v_cndmask_b32_e32 v100, 0, v101, vcc_lo
	v_cmp_nlt_f32_e32 vcc_lo, 0x42b17218, v29
	s_delay_alu instid0(VALU_DEP_4)
	v_exp_f32_e32 v101, v28
	v_nop
	v_cndmask_b32_e32 v28, 0x7f800000, v96, vcc_lo
	v_cmp_nlt_f32_e32 vcc_lo, 0x42b17218, v30
	v_cvt_i32_f32_e32 v96, v104
	v_cndmask_b32_e32 v29, 0x7f800000, v34, vcc_lo
	v_cmp_nlt_f32_e32 vcc_lo, 0x42b17218, v31
	s_delay_alu instid0(VALU_DEP_3) | instskip(SKIP_4) | instid1(VALU_DEP_2)
	v_ldexp_f32 v34, v101, v96
	v_cndmask_b32_e32 v30, 0x7f800000, v97, vcc_lo
	v_cmp_nlt_f32_e32 vcc_lo, 0x42b17218, v32
	v_cndmask_b32_e32 v31, 0x7f800000, v98, vcc_lo
	v_cmp_nlt_f32_e32 vcc_lo, 0x42b17218, v33
	v_cvt_pk_f16_f32 v97, v30, v31
	v_cndmask_b32_e32 v32, 0x7f800000, v105, vcc_lo
	v_cmp_ngt_f32_e32 vcc_lo, 0xc2ce8ed0, v102
	v_cndmask_b32_e32 v96, 0, v34, vcc_lo
	v_cmp_nlt_f32_e32 vcc_lo, 0x42b17218, v35
	v_cndmask_b32_e32 v33, 0x7f800000, v99, vcc_lo
	v_cmp_nlt_f32_e32 vcc_lo, 0x42b17218, v95
	s_delay_alu instid0(VALU_DEP_2) | instskip(SKIP_4) | instid1(VALU_DEP_2)
	v_cvt_pk_f16_f32 v98, v32, v33
	v_cndmask_b32_e32 v34, 0x7f800000, v100, vcc_lo
	v_cmp_nlt_f32_e32 vcc_lo, 0x42b17218, v102
	v_cndmask_b32_e32 v35, 0x7f800000, v96, vcc_lo
	v_cvt_pk_f16_f32 v96, v28, v29
	v_cvt_pk_f16_f32 v99, v34, v35
	ds_store_b128 v40, v[96:99]
	s_and_saveexec_b32 s6, s3
	s_cbranch_execz .LBB52_44
; %bb.43:                               ;   in Loop: Header=BB52_24 Depth=1
	v_lshl_add_u64 v[96:97], v[22:23], 2, s[4:5]
	global_load_b128 v[96:99], v[96:97], off offset:128
	s_wait_loadcnt 0x0
	ds_store_b128 v76, v[96:99]
.LBB52_44:                              ;   in Loop: Header=BB52_24 Depth=1
	s_or_b32 exec_lo, exec_lo, s6
	v_lshl_add_u64 v[96:97], v[26:27], 2, s[4:5]
	v_dual_sub_f32 v87, v87, v8 :: v_dual_sub_f32 v88, v88, v9
	v_dual_sub_f32 v89, v89, v10 :: v_dual_sub_f32 v90, v90, v11
	s_delay_alu instid0(VALU_DEP_3)
	v_add_nc_u64_e32 v[96:97], v[96:97], v[16:17]
	v_dual_sub_f32 v91, v91, v12 :: v_dual_sub_f32 v92, v92, v13
	v_dual_sub_f32 v93, v93, v14 :: v_dual_sub_f32 v94, v94, v15
	v_dual_mul_f32 v95, 0x3fb8aa3b, v87 :: v_dual_mul_f32 v100, 0x3fb8aa3b, v88
	global_load_b128 v[96:99], v[96:97], off
	v_dual_mul_f32 v101, 0x3fb8aa3b, v89 :: v_dual_mul_f32 v102, 0x3fb8aa3b, v90
	v_dual_mul_f32 v103, 0x3fb8aa3b, v91 :: v_dual_mul_f32 v104, 0x3fb8aa3b, v92
	;; [unrolled: 1-line block ×3, first 2 shown]
	v_fma_f32 v107, 0x3fb8aa3b, v87, -v95
	v_fma_f32 v109, 0x3fb8aa3b, v88, -v100
	v_rndne_f32_e32 v110, v100
	v_cmp_ngt_f32_e64 s4, 0xc2ce8ed0, v88
	v_cmp_nlt_f32_e64 s12, 0x42b17218, v88
	v_rndne_f32_e32 v108, v95
	v_fma_f32 v111, 0x3fb8aa3b, v89, -v101
	v_fma_f32 v113, 0x3fb8aa3b, v90, -v102
	;; [unrolled: 1-line block ×3, first 2 shown]
	v_rndne_f32_e32 v118, v104
	v_fma_f32 v121, 0x3fb8aa3b, v94, -v106
	v_rndne_f32_e32 v122, v106
	v_fmac_f32_e32 v107, 0x32a5705f, v87
	v_dual_fmac_f32 v109, 0x32a5705f, v88 :: v_dual_sub_f32 v88, v100, v110
	v_rndne_f32_e32 v112, v101
	v_rndne_f32_e32 v114, v102
	v_cmp_ngt_f32_e32 vcc_lo, 0xc2ce8ed0, v87
	v_cmp_ngt_f32_e64 s8, 0xc2ce8ed0, v92
	v_cmp_ngt_f32_e64 s10, 0xc2ce8ed0, v94
	v_cmp_nlt_f32_e64 s11, 0x42b17218, v87
	v_cmp_nlt_f32_e64 s16, 0x42b17218, v92
	;; [unrolled: 1-line block ×3, first 2 shown]
	v_sub_f32_e32 v87, v95, v108
	v_fmac_f32_e32 v111, 0x32a5705f, v89
	v_fmac_f32_e32 v121, 0x32a5705f, v94
	v_dual_sub_f32 v94, v106, v122 :: v_dual_fmac_f32 v117, 0x32a5705f, v92
	v_sub_f32_e32 v92, v104, v118
	v_dual_fmac_f32 v113, 0x32a5705f, v90 :: v_dual_add_f32 v88, v88, v109
	v_cmp_ngt_f32_e64 s5, 0xc2ce8ed0, v89
	v_cmp_ngt_f32_e64 s6, 0xc2ce8ed0, v90
	v_cmp_nlt_f32_e64 s13, 0x42b17218, v89
	v_cmp_nlt_f32_e64 s14, 0x42b17218, v90
	v_fma_f32 v115, 0x3fb8aa3b, v91, -v103
	v_rndne_f32_e32 v116, v103
	v_fma_f32 v119, 0x3fb8aa3b, v93, -v105
	v_rndne_f32_e32 v120, v105
	v_dual_sub_f32 v90, v102, v114 :: v_dual_sub_f32 v89, v101, v112
	v_add_f32_e32 v87, v87, v107
	v_exp_f32_e32 v88, v88
	v_cmp_ngt_f32_e64 s7, 0xc2ce8ed0, v91
	v_cmp_ngt_f32_e64 s9, 0xc2ce8ed0, v93
	v_cmp_nlt_f32_e64 s15, 0x42b17218, v91
	v_cmp_nlt_f32_e64 s17, 0x42b17218, v93
	v_cvt_i32_f32_e32 v100, v110
	v_dual_fmac_f32 v115, 0x32a5705f, v91 :: v_dual_add_f32 v90, v90, v113
	v_dual_sub_f32 v91, v103, v116 :: v_dual_add_f32 v89, v89, v111
	v_fmac_f32_e32 v119, 0x32a5705f, v93
	v_sub_f32_e32 v93, v105, v120
	v_exp_f32_e32 v87, v87
	v_cvt_i32_f32_e32 v95, v108
	v_dual_add_f32 v91, v91, v115 :: v_dual_add_f32 v94, v94, v121
	v_add_f32_e32 v92, v92, v117
	v_exp_f32_e32 v89, v89
	v_ldexp_f32 v88, v88, v100
	v_add_f32_e32 v93, v93, v119
	v_cvt_i32_f32_e32 v101, v112
	v_exp_f32_e32 v90, v90
	v_exp_f32_e32 v91, v91
	;; [unrolled: 1-line block ×4, first 2 shown]
	v_ldexp_f32 v87, v87, v95
	v_cndmask_b32_e64 v95, 0, v88, s4
	v_exp_f32_e32 v93, v93
	v_cvt_i32_f32_e32 v102, v114
	v_cvt_i32_f32_e32 v103, v116
	;; [unrolled: 1-line block ×5, first 2 shown]
	v_ldexp_f32 v89, v89, v101
	v_ldexp_f32 v90, v90, v102
	;; [unrolled: 1-line block ×6, first 2 shown]
	v_dual_cndmask_b32 v87, 0, v87, vcc_lo :: v_dual_cndmask_b32 v100, 0, v89, s5
	v_dual_cndmask_b32 v101, 0, v90, s6 :: v_dual_cndmask_b32 v102, 0, v91, s7
	s_delay_alu instid0(VALU_DEP_4) | instskip(NEXT) | instid1(VALU_DEP_4)
	v_dual_cndmask_b32 v103, 0, v92, s8 :: v_dual_cndmask_b32 v104, 0, v93, s9
	v_cndmask_b32_e64 v105, 0, v94, s10
	s_delay_alu instid0(VALU_DEP_4)
	v_cndmask_b32_e64 v88, 0x7f800000, v87, s11
	v_cndmask_b32_e64 v89, 0x7f800000, v95, s12
	;; [unrolled: 1-line block ×8, first 2 shown]
	v_cvt_f16_f32_e32 v87, v88
	v_cvt_f16_f32_e32 v100, v89
	;; [unrolled: 1-line block ×7, first 2 shown]
	v_pk_fma_f32 v[2:3], v[2:3], v[90:91], v[30:31]
	v_pk_fma_f32 v[0:1], v[0:1], v[88:89], v[28:29]
	v_cvt_f16_f32_e32 v28, v95
	v_and_b32_e32 v29, 0xffff, v87
	v_and_b32_e32 v30, 0xffff, v100
	;; [unrolled: 1-line block ×3, first 2 shown]
	v_pk_fma_f32 v[6:7], v[6:7], v[94:95], v[34:35]
	v_pk_fma_f32 v[4:5], v[4:5], v[92:93], v[32:33]
	v_and_b32_e32 v32, 0xffff, v102
	v_and_b32_e32 v33, 0xffff, v103
	;; [unrolled: 1-line block ×5, first 2 shown]
	v_mul_u32_u24_e32 v29, 0x10001, v29
	v_mul_u32_u24_e32 v30, 0x10001, v30
	v_mul_u32_u24_e32 v31, 0x10001, v31
	v_mul_u32_u24_e32 v32, 0x10001, v32
	v_mul_u32_u24_e32 v33, 0x10001, v33
	v_mul_u32_u24_e32 v34, 0x10001, v34
	v_mul_u32_u24_e32 v35, 0x10001, v35
	v_mul_u32_u24_e32 v87, 0x10001, v28
	v_pk_mul_f16 v112, v74, v29
	v_pk_mul_f16 v113, v75, v29
	;; [unrolled: 1-line block ×16, first 2 shown]
	s_wait_loadcnt 0x0
	ds_store_b128 v78, v[96:99]
	s_wait_dscnt 0x0
	s_barrier_signal -1
	s_barrier_wait -1
	ds_load_b128 v[28:31], v57
	ds_load_b128 v[32:35], v57 offset:16
	ds_load_2addr_b64 v[60:63], v39 offset1:18
	ds_load_b128 v[64:67], v57 offset:32
	ds_load_b128 v[68:71], v57 offset:48
	ds_load_2addr_b64 v[72:75], v39 offset0:36 offset1:54
	ds_load_2addr_b64 v[88:91], v39 offset0:72 offset1:90
	ds_load_b128 v[92:95], v57 offset:64
	ds_load_b128 v[96:99], v57 offset:80
	ds_load_2addr_b64 v[100:103], v39 offset0:108 offset1:126
	ds_load_b128 v[104:107], v57 offset:96
	ds_load_b128 v[108:111], v57 offset:112
	s_wait_dscnt 0x8
	v_dual_lshrrev_b32 v135, 16, v64 :: v_dual_lshrrev_b32 v136, 16, v65
	v_and_b32_e32 v64, 0xffff, v64
	v_and_b32_e32 v65, 0xffff, v65
	v_dual_lshrrev_b32 v137, 16, v66 :: v_dual_lshrrev_b32 v138, 16, v67
	v_dual_lshrrev_b32 v127, 16, v28 :: v_dual_lshrrev_b32 v128, 16, v29
	v_lshrrev_b32_e32 v129, 16, v30
	v_and_b32_e32 v28, 0xffff, v28
	v_and_b32_e32 v29, 0xffff, v29
	v_lshrrev_b32_e32 v130, 16, v31
	v_and_b32_e32 v30, 0xffff, v30
	v_and_b32_e32 v31, 0xffff, v31
	v_dual_lshrrev_b32 v131, 16, v32 :: v_dual_lshrrev_b32 v132, 16, v33
	v_and_b32_e32 v32, 0xffff, v32
	v_and_b32_e32 v33, 0xffff, v33
	v_mul_u32_u24_e32 v28, 0x10001, v28
	v_mul_u32_u24_e32 v29, 0x10001, v29
	v_dual_lshrrev_b32 v133, 16, v34 :: v_dual_lshrrev_b32 v134, 16, v35
	v_and_b32_e32 v34, 0xffff, v34
	v_and_b32_e32 v35, 0xffff, v35
	v_mul_u32_u24_e32 v30, 0x10001, v30
	v_mul_u32_u24_e32 v31, 0x10001, v31
	;; [unrolled: 1-line block ×4, first 2 shown]
	v_pk_fma_f16 v112, v60, v28, v112
	v_pk_fma_f16 v116, v60, v29, v116
	v_pk_fma_f16 v28, v61, v28, v113
	v_pk_fma_f16 v29, v61, v29, v117
	v_and_b32_e32 v66, 0xffff, v66
	v_and_b32_e32 v67, 0xffff, v67
	s_wait_dscnt 0x7
	v_dual_lshrrev_b32 v139, 16, v68 :: v_dual_lshrrev_b32 v140, 16, v69
	v_and_b32_e32 v68, 0xffff, v68
	v_and_b32_e32 v69, 0xffff, v69
	v_mul_u32_u24_e32 v127, 0x10001, v127
	v_mul_u32_u24_e32 v128, 0x10001, v128
	;; [unrolled: 1-line block ×8, first 2 shown]
	v_pk_fma_f16 v120, v60, v30, v120
	v_pk_fma_f16 v124, v60, v31, v124
	;; [unrolled: 1-line block ×6, first 2 shown]
	v_dual_lshrrev_b32 v141, 16, v70 :: v_dual_lshrrev_b32 v142, 16, v71
	v_and_b32_e32 v70, 0xffff, v70
	v_and_b32_e32 v71, 0xffff, v71
	s_wait_dscnt 0x4
	v_dual_lshrrev_b32 v143, 16, v92 :: v_dual_lshrrev_b32 v144, 16, v93
	v_and_b32_e32 v92, 0xffff, v92
	v_and_b32_e32 v93, 0xffff, v93
	v_mul_u32_u24_e32 v131, 0x10001, v131
	v_mul_u32_u24_e32 v132, 0x10001, v132
	v_mul_u32_u24_e32 v134, 0x10001, v134
	v_mul_u32_u24_e32 v66, 0x10001, v66
	v_mul_u32_u24_e32 v67, 0x10001, v67
	v_mul_u32_u24_e32 v68, 0x10001, v68
	v_mul_u32_u24_e32 v69, 0x10001, v69
	v_pk_fma_f16 v114, v60, v127, v114
	v_pk_fma_f16 v118, v60, v128, v118
	;; [unrolled: 1-line block ×10, first 2 shown]
	v_dual_lshrrev_b32 v145, 16, v94 :: v_dual_lshrrev_b32 v146, 16, v95
	v_and_b32_e32 v94, 0xffff, v94
	v_and_b32_e32 v95, 0xffff, v95
	s_wait_dscnt 0x3
	v_dual_lshrrev_b32 v147, 16, v96 :: v_dual_lshrrev_b32 v148, 16, v97
	v_and_b32_e32 v96, 0xffff, v96
	v_and_b32_e32 v97, 0xffff, v97
	v_mul_u32_u24_e32 v133, 0x10001, v133
	v_mul_u32_u24_e32 v138, 0x10001, v138
	;; [unrolled: 1-line block ×6, first 2 shown]
	v_pk_fma_f16 v122, v60, v129, v122
	v_pk_fma_f16 v60, v60, v130, v126
	;; [unrolled: 1-line block ×13, first 2 shown]
	v_dual_lshrrev_b32 v149, 16, v98 :: v_dual_lshrrev_b32 v150, 16, v99
	v_and_b32_e32 v98, 0xffff, v98
	v_and_b32_e32 v99, 0xffff, v99
	s_wait_dscnt 0x1
	v_dual_lshrrev_b32 v151, 16, v104 :: v_dual_lshrrev_b32 v152, 16, v105
	v_and_b32_e32 v104, 0xffff, v104
	v_and_b32_e32 v105, 0xffff, v105
	v_mul_u32_u24_e32 v135, 0x10001, v135
	v_mul_u32_u24_e32 v136, 0x10001, v136
	;; [unrolled: 1-line block ×8, first 2 shown]
	v_pk_fma_f16 v119, v62, v133, v122
	v_pk_fma_f16 v60, v62, v134, v60
	v_pk_fma_f16 v32, v63, v131, v113
	v_pk_fma_f16 v33, v63, v132, v115
	v_pk_fma_f16 v34, v63, v133, v117
	v_pk_fma_f16 v35, v73, v138, v35
	v_pk_fma_f16 v30, v75, v70, v30
	v_pk_fma_f16 v31, v75, v71, v31
	v_pk_fma_f16 v28, v89, v92, v28
	v_pk_fma_f16 v29, v89, v93, v29
	v_dual_lshrrev_b32 v153, 16, v106 :: v_dual_lshrrev_b32 v154, 16, v107
	v_and_b32_e32 v106, 0xffff, v106
	v_and_b32_e32 v107, 0xffff, v107
	v_mul_u32_u24_e32 v139, 0x10001, v139
	v_mul_u32_u24_e32 v140, 0x10001, v140
	;; [unrolled: 1-line block ×8, first 2 shown]
	v_pk_fma_f16 v61, v72, v64, v87
	v_pk_fma_f16 v62, v72, v135, v112
	;; [unrolled: 1-line block ×16, first 2 shown]
	v_mul_u32_u24_e32 v143, 0x10001, v143
	v_mul_u32_u24_e32 v144, 0x10001, v144
	;; [unrolled: 1-line block ×6, first 2 shown]
	v_pk_fma_f16 v61, v74, v68, v61
	v_pk_fma_f16 v62, v74, v139, v62
	;; [unrolled: 1-line block ×16, first 2 shown]
	s_wait_dscnt 0x0
	v_lshrrev_b32_e32 v28, 16, v108
	v_and_b32_e32 v29, 0xffff, v108
	v_mul_u32_u24_e32 v147, 0x10001, v147
	v_mul_u32_u24_e32 v148, 0x10001, v148
	;; [unrolled: 1-line block ×4, first 2 shown]
	v_pk_fma_f16 v61, v88, v92, v61
	v_pk_fma_f16 v62, v88, v143, v62
	;; [unrolled: 1-line block ×14, first 2 shown]
	v_dual_lshrrev_b32 v30, 16, v109 :: v_dual_lshrrev_b32 v31, 16, v110
	v_mul_u32_u24_e32 v74, 0x10001, v29
	v_and_b32_e32 v29, 0xffff, v110
	v_mul_u32_u24_e32 v75, 0x10001, v28
	v_and_b32_e32 v28, 0xffff, v111
	v_mul_u32_u24_e32 v151, 0x10001, v151
	v_mul_u32_u24_e32 v152, 0x10001, v152
	;; [unrolled: 1-line block ×3, first 2 shown]
	v_pk_fma_f16 v61, v90, v96, v61
	v_pk_fma_f16 v62, v90, v147, v62
	v_pk_fma_f16 v63, v90, v97, v63
	v_pk_fma_f16 v64, v90, v148, v64
	v_pk_fma_f16 v65, v90, v98, v65
	v_pk_fma_f16 v66, v90, v149, v66
	v_pk_fma_f16 v67, v90, v99, v67
	v_pk_fma_f16 v60, v90, v150, v60
	v_pk_fma_f16 v32, v91, v147, v32
	v_pk_fma_f16 v33, v91, v148, v33
	v_pk_fma_f16 v34, v91, v149, v34
	v_pk_fma_f16 v72, v101, v154, v35
	v_lshrrev_b32_e32 v35, 16, v111
	v_and_b32_e32 v73, 0xffff, v109
	v_mul_u32_u24_e32 v87, 0x10001, v30
	v_mul_u32_u24_e32 v88, 0x10001, v29
	;; [unrolled: 1-line block ×4, first 2 shown]
	ds_load_b128 v[28:31], v57 offset:128
	v_pk_fma_f16 v61, v100, v104, v61
	v_pk_fma_f16 v62, v100, v151, v62
	;; [unrolled: 1-line block ×7, first 2 shown]
	v_mul_u32_u24_e32 v73, 0x10001, v73
	v_mul_u32_u24_e32 v91, 0x10001, v35
	v_pk_fma_f16 v92, v102, v74, v61
	v_pk_fma_f16 v93, v102, v75, v62
	;; [unrolled: 1-line block ×9, first 2 shown]
	ds_load_2addr_b64 v[32:35], v39 offset0:144 offset1:162
	ds_load_b128 v[60:63], v57 offset:144
	v_pk_fma_f16 v64, v100, v152, v64
	v_pk_fma_f16 v65, v100, v106, v65
	;; [unrolled: 1-line block ×7, first 2 shown]
	s_wait_dscnt 0x2
	v_dual_lshrrev_b32 v87, 16, v28 :: v_dual_lshrrev_b32 v88, 16, v29
	v_and_b32_e32 v28, 0xffff, v28
	v_and_b32_e32 v29, 0xffff, v29
	v_pk_fma_f16 v66, v102, v89, v66
	v_pk_fma_f16 v67, v102, v90, v67
	;; [unrolled: 1-line block ×3, first 2 shown]
	v_dual_lshrrev_b32 v89, 16, v30 :: v_dual_lshrrev_b32 v90, 16, v31
	v_mul_u32_u24_e32 v28, 0x10001, v28
	v_and_b32_e32 v30, 0xffff, v30
	v_mul_u32_u24_e32 v87, 0x10001, v87
	v_and_b32_e32 v31, 0xffff, v31
	v_mul_u32_u24_e32 v29, 0x10001, v29
	v_pk_fma_f16 v72, v103, v91, v72
	v_mul_u32_u24_e32 v88, 0x10001, v88
	v_mul_u32_u24_e32 v30, 0x10001, v30
	;; [unrolled: 1-line block ×5, first 2 shown]
	s_wait_dscnt 0x1
	v_pk_fma_f16 v91, v32, v28, v92
	v_pk_fma_f16 v92, v32, v87, v93
	;; [unrolled: 1-line block ×5, first 2 shown]
	s_wait_dscnt 0x0
	v_lshrrev_b32_e32 v28, 16, v60
	v_and_b32_e32 v29, 0xffff, v60
	v_pk_fma_f16 v65, v32, v30, v65
	v_pk_fma_f16 v67, v32, v31, v67
	;; [unrolled: 1-line block ×8, first 2 shown]
	v_dual_lshrrev_b32 v30, 16, v61 :: v_dual_lshrrev_b32 v31, 16, v62
	v_lshrrev_b32_e32 v60, 16, v63
	v_mul_u32_u24_e32 v72, 0x10001, v29
	v_and_b32_e32 v29, 0xffff, v62
	v_mul_u32_u24_e32 v62, 0x10001, v28
	v_and_b32_e32 v28, 0xffff, v63
	v_pk_fma_f16 v64, v32, v88, v64
	v_pk_fma_f16 v66, v32, v89, v66
	v_and_b32_e32 v61, 0xffff, v61
	v_mul_u32_u24_e32 v63, 0x10001, v30
	v_mul_u32_u24_e32 v87, 0x10001, v29
	v_mul_u32_u24_e32 v88, 0x10001, v31
	v_mul_u32_u24_e32 v89, 0x10001, v28
	ds_load_b128 v[28:31], v57 offset:160
	v_pk_fma_f16 v32, v32, v90, v95
	v_mul_u32_u24_e32 v61, 0x10001, v61
	v_mul_u32_u24_e32 v90, 0x10001, v60
	v_pk_fma_f16 v91, v34, v72, v91
	v_pk_fma_f16 v92, v34, v62, v92
	v_pk_fma_f16 v64, v34, v63, v64
	v_pk_fma_f16 v93, v34, v61, v93
	v_pk_fma_f16 v65, v34, v87, v65
	v_pk_fma_f16 v66, v34, v88, v66
	v_pk_fma_f16 v67, v34, v89, v67
	v_pk_fma_f16 v94, v34, v90, v32
	v_pk_fma_f16 v68, v35, v72, v68
	v_pk_fma_f16 v72, v35, v62, v74
	v_pk_fma_f16 v69, v35, v61, v69
	v_pk_fma_f16 v73, v35, v63, v73
	v_pk_fma_f16 v70, v35, v87, v70
	v_pk_fma_f16 v74, v35, v88, v75
	ds_load_2addr_b64 v[60:63], v39 offset0:180 offset1:198
	v_pk_fma_f16 v71, v35, v89, v71
	v_pk_fma_f16 v75, v35, v90, v33
	ds_load_b128 v[32:35], v57 offset:176
	s_wait_dscnt 0x2
	v_dual_lshrrev_b32 v87, 16, v28 :: v_dual_lshrrev_b32 v88, 16, v29
	v_and_b32_e32 v28, 0xffff, v28
	v_and_b32_e32 v29, 0xffff, v29
	v_dual_lshrrev_b32 v89, 16, v30 :: v_dual_lshrrev_b32 v90, 16, v31
	v_and_b32_e32 v30, 0xffff, v30
	s_delay_alu instid0(VALU_DEP_4)
	v_mul_u32_u24_e32 v28, 0x10001, v28
	v_and_b32_e32 v31, 0xffff, v31
	v_mul_u32_u24_e32 v29, 0x10001, v29
	v_mul_u32_u24_e32 v87, 0x10001, v87
	;; [unrolled: 1-line block ×7, first 2 shown]
	s_wait_dscnt 0x1
	v_pk_fma_f16 v91, v60, v28, v91
	v_pk_fma_f16 v93, v60, v29, v93
	;; [unrolled: 1-line block ×4, first 2 shown]
	s_wait_dscnt 0x0
	v_lshrrev_b32_e32 v28, 16, v32
	v_and_b32_e32 v29, 0xffff, v32
	v_pk_fma_f16 v65, v60, v30, v65
	v_pk_fma_f16 v67, v60, v31, v67
	;; [unrolled: 1-line block ×8, first 2 shown]
	v_dual_lshrrev_b32 v30, 16, v33 :: v_dual_lshrrev_b32 v31, 16, v34
	v_lshrrev_b32_e32 v32, 16, v35
	v_mul_u32_u24_e32 v75, 0x10001, v29
	v_and_b32_e32 v29, 0xffff, v34
	v_mul_u32_u24_e32 v34, 0x10001, v28
	v_and_b32_e32 v28, 0xffff, v35
	v_pk_fma_f16 v92, v60, v87, v92
	v_pk_fma_f16 v64, v60, v88, v64
	;; [unrolled: 1-line block ×3, first 2 shown]
	v_and_b32_e32 v33, 0xffff, v33
	v_mul_u32_u24_e32 v35, 0x10001, v30
	v_mul_u32_u24_e32 v87, 0x10001, v29
	;; [unrolled: 1-line block ×4, first 2 shown]
	ds_load_b128 v[28:31], v57 offset:192
	v_pk_fma_f16 v60, v60, v90, v94
	v_mul_u32_u24_e32 v33, 0x10001, v33
	v_mul_u32_u24_e32 v90, 0x10001, v32
	v_pk_fma_f16 v91, v62, v75, v91
	v_pk_fma_f16 v92, v62, v34, v92
	;; [unrolled: 1-line block ×14, first 2 shown]
	ds_load_2addr_b64 v[32:35], v39 offset0:216 offset1:234
	v_pk_fma_f16 v71, v63, v89, v71
	v_pk_fma_f16 v75, v63, v90, v61
	ds_load_b128 v[60:63], v57 offset:208
	s_wait_dscnt 0x2
	v_dual_lshrrev_b32 v87, 16, v28 :: v_dual_lshrrev_b32 v88, 16, v29
	v_and_b32_e32 v28, 0xffff, v28
	v_and_b32_e32 v29, 0xffff, v29
	v_dual_lshrrev_b32 v89, 16, v30 :: v_dual_lshrrev_b32 v90, 16, v31
	v_and_b32_e32 v30, 0xffff, v30
	s_delay_alu instid0(VALU_DEP_4)
	v_mul_u32_u24_e32 v28, 0x10001, v28
	v_and_b32_e32 v31, 0xffff, v31
	v_mul_u32_u24_e32 v29, 0x10001, v29
	v_mul_u32_u24_e32 v87, 0x10001, v87
	v_mul_u32_u24_e32 v88, 0x10001, v88
	v_mul_u32_u24_e32 v30, 0x10001, v30
	v_mul_u32_u24_e32 v89, 0x10001, v89
	v_mul_u32_u24_e32 v31, 0x10001, v31
	v_mul_u32_u24_e32 v90, 0x10001, v90
	s_wait_dscnt 0x1
	v_pk_fma_f16 v91, v32, v28, v91
	v_pk_fma_f16 v93, v32, v29, v93
	v_pk_fma_f16 v68, v33, v28, v68
	v_pk_fma_f16 v69, v33, v29, v69
	s_wait_dscnt 0x0
	v_lshrrev_b32_e32 v28, 16, v60
	v_and_b32_e32 v29, 0xffff, v60
	v_pk_fma_f16 v65, v32, v30, v65
	v_pk_fma_f16 v67, v32, v31, v67
	;; [unrolled: 1-line block ×8, first 2 shown]
	v_dual_lshrrev_b32 v30, 16, v61 :: v_dual_lshrrev_b32 v31, 16, v62
	v_lshrrev_b32_e32 v60, 16, v63
	v_mul_u32_u24_e32 v75, 0x10001, v29
	v_and_b32_e32 v29, 0xffff, v62
	v_mul_u32_u24_e32 v62, 0x10001, v28
	v_and_b32_e32 v28, 0xffff, v63
	v_pk_fma_f16 v92, v32, v87, v92
	v_pk_fma_f16 v64, v32, v88, v64
	;; [unrolled: 1-line block ×4, first 2 shown]
	v_and_b32_e32 v61, 0xffff, v61
	v_mul_u32_u24_e32 v63, 0x10001, v30
	v_mul_u32_u24_e32 v87, 0x10001, v29
	;; [unrolled: 1-line block ×5, first 2 shown]
	ds_load_b128 v[28:31], v57 offset:224
	v_mul_u32_u24_e32 v61, 0x10001, v61
	v_pk_fma_f16 v91, v34, v75, v91
	v_pk_fma_f16 v92, v34, v62, v92
	;; [unrolled: 1-line block ×3, first 2 shown]
	v_add_nc_u32_e32 v32, 0x400, v39
	v_pk_fma_f16 v93, v34, v61, v93
	v_pk_fma_f16 v64, v34, v63, v64
	;; [unrolled: 1-line block ×11, first 2 shown]
	ds_load_2addr_b64 v[60:63], v32 offset0:124 offset1:142
	v_pk_fma_f16 v71, v35, v89, v71
	v_pk_fma_f16 v75, v35, v90, v33
	ds_load_b128 v[32:35], v57 offset:240
	s_wait_dscnt 0x2
	v_dual_lshrrev_b32 v87, 16, v28 :: v_dual_lshrrev_b32 v88, 16, v29
	v_and_b32_e32 v28, 0xffff, v28
	v_and_b32_e32 v29, 0xffff, v29
	v_dual_lshrrev_b32 v89, 16, v30 :: v_dual_lshrrev_b32 v90, 16, v31
	v_and_b32_e32 v30, 0xffff, v30
	s_delay_alu instid0(VALU_DEP_4)
	v_mul_u32_u24_e32 v28, 0x10001, v28
	v_and_b32_e32 v31, 0xffff, v31
	v_mul_u32_u24_e32 v29, 0x10001, v29
	v_mul_u32_u24_e32 v87, 0x10001, v87
	;; [unrolled: 1-line block ×7, first 2 shown]
	s_wait_dscnt 0x1
	v_pk_fma_f16 v91, v60, v28, v91
	v_pk_fma_f16 v93, v60, v29, v93
	;; [unrolled: 1-line block ×4, first 2 shown]
	s_wait_dscnt 0x0
	v_lshrrev_b32_e32 v28, 16, v32
	v_and_b32_e32 v29, 0xffff, v32
	v_pk_fma_f16 v65, v60, v30, v65
	v_pk_fma_f16 v67, v60, v31, v67
	;; [unrolled: 1-line block ×8, first 2 shown]
	v_dual_lshrrev_b32 v30, 16, v33 :: v_dual_lshrrev_b32 v31, 16, v34
	v_lshrrev_b32_e32 v32, 16, v35
	v_mul_u32_u24_e32 v75, 0x10001, v29
	v_and_b32_e32 v29, 0xffff, v34
	v_mul_u32_u24_e32 v34, 0x10001, v28
	v_and_b32_e32 v28, 0xffff, v35
	v_pk_fma_f16 v92, v60, v87, v92
	v_pk_fma_f16 v64, v60, v88, v64
	;; [unrolled: 1-line block ×3, first 2 shown]
	v_and_b32_e32 v33, 0xffff, v33
	v_mul_u32_u24_e32 v35, 0x10001, v30
	v_mul_u32_u24_e32 v87, 0x10001, v29
	;; [unrolled: 1-line block ×4, first 2 shown]
	ds_load_b128 v[28:31], v57 offset:256
	v_pk_fma_f16 v60, v60, v90, v94
	v_mul_u32_u24_e32 v33, 0x10001, v33
	v_mul_u32_u24_e32 v90, 0x10001, v32
	v_pk_fma_f16 v91, v62, v75, v91
	v_pk_fma_f16 v68, v63, v75, v68
	v_add_nc_u32_e32 v75, 0x800, v39
	v_pk_fma_f16 v92, v62, v34, v92
	v_pk_fma_f16 v93, v62, v33, v93
	;; [unrolled: 1-line block ×12, first 2 shown]
	ds_load_2addr_b64 v[32:35], v75 offset0:32 offset1:50
	v_pk_fma_f16 v71, v63, v89, v71
	v_pk_fma_f16 v87, v63, v90, v61
	ds_load_b128 v[60:63], v57 offset:272
	s_wait_dscnt 0x2
	v_dual_lshrrev_b32 v88, 16, v28 :: v_dual_lshrrev_b32 v89, 16, v29
	v_and_b32_e32 v28, 0xffff, v28
	v_and_b32_e32 v29, 0xffff, v29
	v_dual_lshrrev_b32 v90, 16, v30 :: v_dual_lshrrev_b32 v95, 16, v31
	v_and_b32_e32 v30, 0xffff, v30
	s_delay_alu instid0(VALU_DEP_4)
	v_mul_u32_u24_e32 v28, 0x10001, v28
	v_and_b32_e32 v31, 0xffff, v31
	v_mul_u32_u24_e32 v29, 0x10001, v29
	v_mul_u32_u24_e32 v88, 0x10001, v88
	v_mul_u32_u24_e32 v89, 0x10001, v89
	v_mul_u32_u24_e32 v30, 0x10001, v30
	v_mul_u32_u24_e32 v90, 0x10001, v90
	v_mul_u32_u24_e32 v31, 0x10001, v31
	v_mul_u32_u24_e32 v95, 0x10001, v95
	s_wait_dscnt 0x1
	v_pk_fma_f16 v91, v32, v28, v91
	v_pk_fma_f16 v93, v32, v29, v93
	;; [unrolled: 1-line block ×4, first 2 shown]
	s_wait_dscnt 0x0
	v_lshrrev_b32_e32 v28, 16, v60
	v_and_b32_e32 v29, 0xffff, v60
	v_pk_fma_f16 v65, v32, v30, v65
	v_pk_fma_f16 v67, v32, v31, v67
	;; [unrolled: 1-line block ×8, first 2 shown]
	v_dual_lshrrev_b32 v30, 16, v61 :: v_dual_lshrrev_b32 v31, 16, v62
	v_lshrrev_b32_e32 v60, 16, v63
	v_mul_u32_u24_e32 v87, 0x10001, v29
	v_and_b32_e32 v29, 0xffff, v62
	v_mul_u32_u24_e32 v62, 0x10001, v28
	v_and_b32_e32 v28, 0xffff, v63
	v_pk_fma_f16 v92, v32, v88, v92
	v_pk_fma_f16 v64, v32, v89, v64
	;; [unrolled: 1-line block ×3, first 2 shown]
	v_and_b32_e32 v61, 0xffff, v61
	v_mul_u32_u24_e32 v63, 0x10001, v30
	v_mul_u32_u24_e32 v88, 0x10001, v29
	;; [unrolled: 1-line block ×4, first 2 shown]
	ds_load_b128 v[28:31], v57 offset:288
	v_pk_fma_f16 v32, v32, v95, v94
	v_mul_u32_u24_e32 v61, 0x10001, v61
	v_mul_u32_u24_e32 v94, 0x10001, v60
	v_pk_fma_f16 v91, v34, v87, v91
	v_pk_fma_f16 v92, v34, v62, v92
	;; [unrolled: 1-line block ×14, first 2 shown]
	ds_load_2addr_b64 v[60:63], v75 offset0:68 offset1:86
	v_pk_fma_f16 v71, v35, v90, v71
	v_pk_fma_f16 v87, v35, v94, v33
	ds_load_b128 v[32:35], v57 offset:304
	s_wait_dscnt 0x2
	v_dual_lshrrev_b32 v88, 16, v28 :: v_dual_lshrrev_b32 v89, 16, v29
	v_and_b32_e32 v28, 0xffff, v28
	v_and_b32_e32 v29, 0xffff, v29
	v_dual_lshrrev_b32 v90, 16, v30 :: v_dual_lshrrev_b32 v94, 16, v31
	v_and_b32_e32 v30, 0xffff, v30
	s_delay_alu instid0(VALU_DEP_4)
	v_mul_u32_u24_e32 v28, 0x10001, v28
	v_and_b32_e32 v31, 0xffff, v31
	v_mul_u32_u24_e32 v29, 0x10001, v29
	v_mul_u32_u24_e32 v88, 0x10001, v88
	;; [unrolled: 1-line block ×7, first 2 shown]
	s_wait_dscnt 0x1
	v_pk_fma_f16 v91, v60, v28, v91
	v_pk_fma_f16 v93, v60, v29, v93
	;; [unrolled: 1-line block ×4, first 2 shown]
	s_wait_dscnt 0x0
	v_lshrrev_b32_e32 v28, 16, v32
	v_and_b32_e32 v29, 0xffff, v32
	v_pk_fma_f16 v65, v60, v30, v65
	v_pk_fma_f16 v67, v60, v31, v67
	;; [unrolled: 1-line block ×8, first 2 shown]
	v_dual_lshrrev_b32 v30, 16, v33 :: v_dual_lshrrev_b32 v31, 16, v34
	v_lshrrev_b32_e32 v32, 16, v35
	v_mul_u32_u24_e32 v87, 0x10001, v29
	v_and_b32_e32 v29, 0xffff, v34
	v_mul_u32_u24_e32 v34, 0x10001, v28
	v_and_b32_e32 v28, 0xffff, v35
	v_pk_fma_f16 v92, v60, v88, v92
	v_pk_fma_f16 v64, v60, v89, v64
	;; [unrolled: 1-line block ×3, first 2 shown]
	v_and_b32_e32 v33, 0xffff, v33
	v_mul_u32_u24_e32 v35, 0x10001, v30
	v_mul_u32_u24_e32 v88, 0x10001, v29
	;; [unrolled: 1-line block ×4, first 2 shown]
	ds_load_b128 v[28:31], v57 offset:320
	v_pk_fma_f16 v60, v60, v94, v95
	v_mul_u32_u24_e32 v33, 0x10001, v33
	v_mul_u32_u24_e32 v94, 0x10001, v32
	v_pk_fma_f16 v91, v62, v87, v91
	v_pk_fma_f16 v92, v62, v34, v92
	;; [unrolled: 1-line block ×14, first 2 shown]
	ds_load_2addr_b64 v[32:35], v75 offset0:104 offset1:122
	v_pk_fma_f16 v71, v63, v90, v71
	v_pk_fma_f16 v87, v63, v94, v61
	ds_load_b128 v[60:63], v57 offset:336
	s_wait_dscnt 0x2
	v_dual_lshrrev_b32 v88, 16, v28 :: v_dual_lshrrev_b32 v89, 16, v29
	v_and_b32_e32 v28, 0xffff, v28
	v_and_b32_e32 v29, 0xffff, v29
	v_dual_lshrrev_b32 v90, 16, v30 :: v_dual_lshrrev_b32 v94, 16, v31
	v_and_b32_e32 v30, 0xffff, v30
	s_delay_alu instid0(VALU_DEP_4)
	v_mul_u32_u24_e32 v28, 0x10001, v28
	v_and_b32_e32 v31, 0xffff, v31
	v_mul_u32_u24_e32 v29, 0x10001, v29
	v_mul_u32_u24_e32 v88, 0x10001, v88
	;; [unrolled: 1-line block ×7, first 2 shown]
	s_wait_dscnt 0x1
	v_pk_fma_f16 v91, v32, v28, v91
	v_pk_fma_f16 v93, v32, v29, v93
	;; [unrolled: 1-line block ×4, first 2 shown]
	s_wait_dscnt 0x0
	v_lshrrev_b32_e32 v28, 16, v60
	v_and_b32_e32 v29, 0xffff, v60
	v_pk_fma_f16 v65, v32, v30, v65
	v_pk_fma_f16 v67, v32, v31, v67
	;; [unrolled: 1-line block ×8, first 2 shown]
	v_dual_lshrrev_b32 v30, 16, v61 :: v_dual_lshrrev_b32 v31, 16, v62
	v_lshrrev_b32_e32 v60, 16, v63
	v_mul_u32_u24_e32 v87, 0x10001, v29
	v_and_b32_e32 v29, 0xffff, v62
	v_mul_u32_u24_e32 v62, 0x10001, v28
	v_and_b32_e32 v28, 0xffff, v63
	v_pk_fma_f16 v92, v32, v88, v92
	v_pk_fma_f16 v64, v32, v89, v64
	;; [unrolled: 1-line block ×3, first 2 shown]
	v_and_b32_e32 v61, 0xffff, v61
	v_mul_u32_u24_e32 v63, 0x10001, v30
	v_mul_u32_u24_e32 v88, 0x10001, v29
	;; [unrolled: 1-line block ×4, first 2 shown]
	ds_load_b128 v[28:31], v57 offset:352
	v_pk_fma_f16 v32, v32, v94, v95
	v_mul_u32_u24_e32 v61, 0x10001, v61
	v_mul_u32_u24_e32 v94, 0x10001, v60
	v_pk_fma_f16 v91, v34, v87, v91
	v_pk_fma_f16 v92, v34, v62, v92
	;; [unrolled: 1-line block ×14, first 2 shown]
	ds_load_2addr_b64 v[60:63], v75 offset0:140 offset1:158
	v_pk_fma_f16 v71, v35, v90, v71
	v_pk_fma_f16 v87, v35, v94, v33
	ds_load_b128 v[32:35], v57 offset:368
	s_wait_dscnt 0x2
	v_dual_lshrrev_b32 v88, 16, v28 :: v_dual_lshrrev_b32 v89, 16, v29
	v_and_b32_e32 v28, 0xffff, v28
	v_and_b32_e32 v29, 0xffff, v29
	v_dual_lshrrev_b32 v90, 16, v30 :: v_dual_lshrrev_b32 v94, 16, v31
	v_and_b32_e32 v30, 0xffff, v30
	s_delay_alu instid0(VALU_DEP_4)
	v_mul_u32_u24_e32 v28, 0x10001, v28
	v_and_b32_e32 v31, 0xffff, v31
	v_mul_u32_u24_e32 v29, 0x10001, v29
	v_mul_u32_u24_e32 v88, 0x10001, v88
	v_mul_u32_u24_e32 v89, 0x10001, v89
	v_mul_u32_u24_e32 v30, 0x10001, v30
	v_mul_u32_u24_e32 v90, 0x10001, v90
	v_mul_u32_u24_e32 v31, 0x10001, v31
	v_mul_u32_u24_e32 v94, 0x10001, v94
	s_wait_dscnt 0x1
	v_pk_fma_f16 v91, v60, v28, v91
	v_pk_fma_f16 v93, v60, v29, v93
	;; [unrolled: 1-line block ×4, first 2 shown]
	s_wait_dscnt 0x0
	v_lshrrev_b32_e32 v28, 16, v32
	v_and_b32_e32 v29, 0xffff, v32
	v_pk_fma_f16 v65, v60, v30, v65
	v_pk_fma_f16 v67, v60, v31, v67
	;; [unrolled: 1-line block ×8, first 2 shown]
	v_dual_lshrrev_b32 v30, 16, v33 :: v_dual_lshrrev_b32 v31, 16, v34
	v_lshrrev_b32_e32 v32, 16, v35
	v_mul_u32_u24_e32 v87, 0x10001, v29
	v_and_b32_e32 v29, 0xffff, v34
	v_mul_u32_u24_e32 v34, 0x10001, v28
	v_and_b32_e32 v28, 0xffff, v35
	v_pk_fma_f16 v92, v60, v88, v92
	v_pk_fma_f16 v64, v60, v89, v64
	;; [unrolled: 1-line block ×3, first 2 shown]
	v_and_b32_e32 v33, 0xffff, v33
	v_mul_u32_u24_e32 v35, 0x10001, v30
	v_mul_u32_u24_e32 v88, 0x10001, v29
	v_mul_u32_u24_e32 v89, 0x10001, v31
	v_mul_u32_u24_e32 v90, 0x10001, v28
	ds_load_b128 v[28:31], v57 offset:384
	v_pk_fma_f16 v60, v60, v94, v95
	v_mul_u32_u24_e32 v33, 0x10001, v33
	v_mul_u32_u24_e32 v94, 0x10001, v32
	v_pk_fma_f16 v91, v62, v87, v91
	v_pk_fma_f16 v92, v62, v34, v92
	;; [unrolled: 1-line block ×14, first 2 shown]
	ds_load_2addr_b64 v[32:35], v75 offset0:176 offset1:194
	v_pk_fma_f16 v71, v63, v90, v71
	v_pk_fma_f16 v87, v63, v94, v61
	ds_load_b128 v[60:63], v57 offset:400
	s_wait_dscnt 0x2
	v_dual_lshrrev_b32 v88, 16, v28 :: v_dual_lshrrev_b32 v89, 16, v29
	v_and_b32_e32 v28, 0xffff, v28
	v_and_b32_e32 v29, 0xffff, v29
	v_dual_lshrrev_b32 v90, 16, v30 :: v_dual_lshrrev_b32 v94, 16, v31
	v_and_b32_e32 v30, 0xffff, v30
	s_delay_alu instid0(VALU_DEP_4)
	v_mul_u32_u24_e32 v28, 0x10001, v28
	v_and_b32_e32 v31, 0xffff, v31
	v_mul_u32_u24_e32 v29, 0x10001, v29
	v_mul_u32_u24_e32 v88, 0x10001, v88
	;; [unrolled: 1-line block ×7, first 2 shown]
	s_wait_dscnt 0x1
	v_pk_fma_f16 v91, v32, v28, v91
	v_pk_fma_f16 v93, v32, v29, v93
	;; [unrolled: 1-line block ×4, first 2 shown]
	s_wait_dscnt 0x0
	v_lshrrev_b32_e32 v28, 16, v60
	v_and_b32_e32 v29, 0xffff, v60
	v_pk_fma_f16 v65, v32, v30, v65
	v_pk_fma_f16 v67, v32, v31, v67
	;; [unrolled: 1-line block ×8, first 2 shown]
	v_dual_lshrrev_b32 v30, 16, v61 :: v_dual_lshrrev_b32 v31, 16, v62
	v_lshrrev_b32_e32 v60, 16, v63
	v_mul_u32_u24_e32 v87, 0x10001, v29
	v_and_b32_e32 v29, 0xffff, v62
	v_mul_u32_u24_e32 v62, 0x10001, v28
	v_and_b32_e32 v28, 0xffff, v63
	v_pk_fma_f16 v92, v32, v88, v92
	v_pk_fma_f16 v64, v32, v89, v64
	;; [unrolled: 1-line block ×3, first 2 shown]
	v_and_b32_e32 v61, 0xffff, v61
	v_mul_u32_u24_e32 v63, 0x10001, v30
	v_mul_u32_u24_e32 v88, 0x10001, v29
	v_mul_u32_u24_e32 v89, 0x10001, v31
	v_mul_u32_u24_e32 v90, 0x10001, v28
	ds_load_b128 v[28:31], v57 offset:416
	v_pk_fma_f16 v32, v32, v94, v95
	v_mul_u32_u24_e32 v61, 0x10001, v61
	v_mul_u32_u24_e32 v94, 0x10001, v60
	v_pk_fma_f16 v91, v34, v87, v91
	v_pk_fma_f16 v92, v34, v62, v92
	;; [unrolled: 1-line block ×14, first 2 shown]
	ds_load_2addr_b64 v[60:63], v75 offset0:212 offset1:230
	v_pk_fma_f16 v71, v35, v90, v71
	v_pk_fma_f16 v75, v35, v94, v33
	ds_load_b128 v[32:35], v57 offset:432
	s_wait_dscnt 0x2
	v_dual_lshrrev_b32 v87, 16, v28 :: v_dual_lshrrev_b32 v88, 16, v29
	v_and_b32_e32 v28, 0xffff, v28
	v_and_b32_e32 v29, 0xffff, v29
	v_dual_lshrrev_b32 v89, 16, v30 :: v_dual_lshrrev_b32 v90, 16, v31
	v_and_b32_e32 v30, 0xffff, v30
	s_delay_alu instid0(VALU_DEP_4)
	v_mul_u32_u24_e32 v28, 0x10001, v28
	v_and_b32_e32 v31, 0xffff, v31
	v_mul_u32_u24_e32 v29, 0x10001, v29
	v_mul_u32_u24_e32 v87, 0x10001, v87
	;; [unrolled: 1-line block ×7, first 2 shown]
	s_wait_dscnt 0x1
	v_pk_fma_f16 v91, v60, v28, v91
	v_pk_fma_f16 v93, v60, v29, v93
	;; [unrolled: 1-line block ×4, first 2 shown]
	s_wait_dscnt 0x0
	v_lshrrev_b32_e32 v28, 16, v32
	v_and_b32_e32 v29, 0xffff, v32
	v_pk_fma_f16 v65, v60, v30, v65
	v_pk_fma_f16 v67, v60, v31, v67
	;; [unrolled: 1-line block ×8, first 2 shown]
	v_dual_lshrrev_b32 v30, 16, v33 :: v_dual_lshrrev_b32 v31, 16, v34
	v_lshrrev_b32_e32 v32, 16, v35
	v_mul_u32_u24_e32 v75, 0x10001, v29
	v_and_b32_e32 v29, 0xffff, v34
	v_mul_u32_u24_e32 v34, 0x10001, v28
	v_and_b32_e32 v28, 0xffff, v35
	v_pk_fma_f16 v92, v60, v87, v92
	v_pk_fma_f16 v64, v60, v88, v64
	;; [unrolled: 1-line block ×3, first 2 shown]
	v_and_b32_e32 v33, 0xffff, v33
	v_mul_u32_u24_e32 v35, 0x10001, v30
	v_mul_u32_u24_e32 v87, 0x10001, v29
	;; [unrolled: 1-line block ×4, first 2 shown]
	ds_load_b128 v[28:31], v57 offset:448
	v_pk_fma_f16 v60, v60, v90, v95
	v_mul_u32_u24_e32 v33, 0x10001, v33
	v_mul_u32_u24_e32 v90, 0x10001, v32
	v_add_nc_u32_e32 v32, 0xc00, v39
	v_pk_fma_f16 v91, v62, v75, v91
	v_pk_fma_f16 v92, v62, v34, v92
	;; [unrolled: 1-line block ×14, first 2 shown]
	ds_load_2addr_b64 v[32:35], v32 offset0:120 offset1:138
	v_pk_fma_f16 v71, v63, v89, v71
	v_pk_fma_f16 v75, v63, v90, v61
	ds_load_b128 v[60:63], v57 offset:464
	s_wait_dscnt 0x2
	v_dual_lshrrev_b32 v87, 16, v28 :: v_dual_lshrrev_b32 v88, 16, v29
	v_and_b32_e32 v28, 0xffff, v28
	v_and_b32_e32 v29, 0xffff, v29
	v_dual_lshrrev_b32 v89, 16, v30 :: v_dual_lshrrev_b32 v90, 16, v31
	v_and_b32_e32 v30, 0xffff, v30
	s_delay_alu instid0(VALU_DEP_4)
	v_mul_u32_u24_e32 v28, 0x10001, v28
	v_and_b32_e32 v31, 0xffff, v31
	v_mul_u32_u24_e32 v29, 0x10001, v29
	v_mul_u32_u24_e32 v87, 0x10001, v87
	;; [unrolled: 1-line block ×7, first 2 shown]
	s_wait_dscnt 0x1
	v_pk_fma_f16 v91, v32, v28, v91
	v_pk_fma_f16 v93, v32, v29, v93
	;; [unrolled: 1-line block ×4, first 2 shown]
	s_wait_dscnt 0x0
	v_lshrrev_b32_e32 v28, 16, v60
	v_and_b32_e32 v29, 0xffff, v60
	v_pk_fma_f16 v65, v32, v30, v65
	v_pk_fma_f16 v67, v32, v31, v67
	v_pk_fma_f16 v72, v33, v87, v72
	v_pk_fma_f16 v73, v33, v88, v73
	v_pk_fma_f16 v70, v33, v30, v70
	v_pk_fma_f16 v74, v33, v89, v74
	v_pk_fma_f16 v71, v33, v31, v71
	v_pk_fma_f16 v33, v33, v90, v75
	v_dual_lshrrev_b32 v30, 16, v61 :: v_dual_lshrrev_b32 v31, 16, v62
	v_lshrrev_b32_e32 v60, 16, v63
	v_mul_u32_u24_e32 v75, 0x10001, v29
	v_and_b32_e32 v29, 0xffff, v62
	v_mul_u32_u24_e32 v62, 0x10001, v28
	v_and_b32_e32 v28, 0xffff, v63
	v_pk_fma_f16 v92, v32, v87, v92
	v_pk_fma_f16 v64, v32, v88, v64
	;; [unrolled: 1-line block ×4, first 2 shown]
	v_and_b32_e32 v61, 0xffff, v61
	v_mul_u32_u24_e32 v63, 0x10001, v30
	v_mul_u32_u24_e32 v87, 0x10001, v29
	;; [unrolled: 1-line block ×5, first 2 shown]
	ds_load_b128 v[28:31], v57 offset:480
	v_mul_u32_u24_e32 v61, 0x10001, v61
	v_pk_fma_f16 v95, v34, v75, v91
	v_pk_fma_f16 v92, v34, v62, v92
	;; [unrolled: 1-line block ×3, first 2 shown]
	v_add_nc_u32_e32 v32, 0x1000, v39
	v_pk_fma_f16 v93, v34, v61, v93
	v_pk_fma_f16 v64, v34, v63, v64
	;; [unrolled: 1-line block ×11, first 2 shown]
	ds_load_2addr_b64 v[88:91], v32 offset0:28 offset1:46
	v_pk_fma_f16 v71, v35, v94, v71
	v_pk_fma_f16 v60, v35, v60, v33
	ds_load_b128 v[32:35], v57 offset:496
	s_wait_dscnt 0x0
	s_barrier_signal -1
	s_barrier_wait -1
	s_load_b32 s4, s[50:51], 0x4
	v_dual_lshrrev_b32 v72, 16, v28 :: v_dual_lshrrev_b32 v73, 16, v29
	v_and_b32_e32 v28, 0xffff, v28
	v_dual_lshrrev_b32 v74, 16, v30 :: v_dual_lshrrev_b32 v75, 16, v31
	v_and_b32_e32 v29, 0xffff, v29
	v_and_b32_e32 v30, 0xffff, v30
	;; [unrolled: 1-line block ×3, first 2 shown]
	v_mul_u32_u24_e32 v28, 0x10001, v28
	v_mul_u32_u24_e32 v72, 0x10001, v72
	;; [unrolled: 1-line block ×8, first 2 shown]
	v_pk_fma_f16 v87, v88, v28, v95
	v_pk_fma_f16 v93, v88, v29, v93
	;; [unrolled: 1-line block ×13, first 2 shown]
	v_dual_lshrrev_b32 v60, 16, v32 :: v_dual_lshrrev_b32 v62, 16, v33
	v_and_b32_e32 v32, 0xffff, v32
	v_and_b32_e32 v33, 0xffff, v33
	v_dual_lshrrev_b32 v66, 16, v34 :: v_dual_lshrrev_b32 v68, 16, v35
	v_and_b32_e32 v34, 0xffff, v34
	v_and_b32_e32 v35, 0xffff, v35
	v_pk_fma_f16 v92, v88, v72, v92
	v_pk_fma_f16 v64, v88, v73, v64
	;; [unrolled: 1-line block ×3, first 2 shown]
	v_mul_u32_u24_e32 v32, 0x10001, v32
	v_mul_u32_u24_e32 v69, 0x10001, v60
	;; [unrolled: 1-line block ×8, first 2 shown]
	s_wait_kmcnt 0x0
	s_lshl_b32 s4, s4, 5
	v_pk_fma_f16 v74, v90, v32, v87
	v_pk_fma_f16 v72, v90, v69, v92
	;; [unrolled: 1-line block ×16, first 2 shown]
	s_add_co_i32 s40, s4, s40
	s_delay_alu instid0(SALU_CYCLE_1)
	s_cmp_lt_i32 s40, s35
	s_cbranch_scc0 .LBB52_47
; %bb.45:                               ;   in Loop: Header=BB52_24 Depth=1
	v_dual_mov_b32 v87, v8 :: v_dual_mov_b32 v88, v9
	v_dual_mov_b32 v89, v10 :: v_dual_mov_b32 v90, v11
	;; [unrolled: 1-line block ×4, first 2 shown]
	s_branch .LBB52_24
.LBB52_46:
	v_dual_mov_b32 v8, 0xfeffffff :: v_dual_mov_b32 v7, 0
	v_dual_mov_b32 v72, 0 :: v_dual_mov_b32 v73, 0
	;; [unrolled: 1-line block ×3, first 2 shown]
	s_delay_alu instid0(VALU_DEP_3)
	v_dual_mov_b32 v9, v8 :: v_dual_mov_b32 v10, v8
	v_dual_mov_b32 v11, v8 :: v_dual_mov_b32 v12, v8
	;; [unrolled: 1-line block ×13, first 2 shown]
.LBB52_47:
	s_cmp_gt_i32 s44, s40
	s_cbranch_scc1 .LBB52_50
; %bb.48:
	v_mbcnt_lo_u32_b32 v16, -1, 0
	v_mov_b64_e32 v[30:31], v[6:7]
	v_mov_b64_e32 v[28:29], v[4:5]
	;; [unrolled: 1-line block ×4, first 2 shown]
	v_dual_mov_b32 v32, 32 :: v_dual_bitop2_b32 v79, 16, v16 bitop3:0x14
	v_xor_b32_e32 v78, 8, v16
	v_xor_b32_e32 v77, 4, v16
	;; [unrolled: 1-line block ×4, first 2 shown]
	s_cbranch_execz .LBB52_51
; %bb.49:
	v_mov_b32_e32 v56, v16
	s_branch .LBB52_95
.LBB52_50:
                                        ; implicit-def: $vgpr16
                                        ; implicit-def: $vgpr32
                                        ; implicit-def: $vgpr79
                                        ; implicit-def: $vgpr78
                                        ; implicit-def: $vgpr77
                                        ; implicit-def: $vgpr76
                                        ; implicit-def: $vgpr47
                                        ; implicit-def: $vgpr24_vgpr25_vgpr26_vgpr27_vgpr28_vgpr29_vgpr30_vgpr31
.LBB52_51:
	s_ashr_i32 s41, s40, 31
	s_ashr_i32 s47, s46, 31
	s_sub_co_i32 s8, s44, s40
	s_mul_u64 s[6:7], s[40:41], s[46:47]
	v_cmp_gt_u32_e64 s5, 32, v59
	v_cmp_gt_i32_e64 s4, s8, v59
	s_lshl_b64 s[6:7], s[6:7], 2
	s_delay_alu instid0(SALU_CYCLE_1)
	s_add_nc_u64 s[6:7], s[48:49], s[6:7]
	s_and_saveexec_b32 s3, s5
	s_cbranch_execz .LBB52_53
; %bb.52:
	v_mul_lo_u32 v16, s46, v59
	v_mbcnt_lo_u32_b32 v21, -1, 0
	s_delay_alu instid0(VALU_DEP_1) | instskip(NEXT) | instid1(VALU_DEP_3)
	v_dual_mov_b32 v20, 0 :: v_dual_lshlrev_b32 v21, 20, v21
	v_ashrrev_i32_e32 v17, 31, v16
	s_delay_alu instid0(VALU_DEP_2) | instskip(SKIP_1) | instid1(VALU_DEP_3)
	v_add_nc_u64_e32 v[24:25], src_flat_scratch_base_lo, v[20:21]
	v_mov_b32_e32 v20, 0
	v_lshl_add_u64 v[16:17], v[16:17], 2, s[6:7]
	s_delay_alu instid0(VALU_DEP_2) | instskip(SKIP_4) | instid1(VALU_DEP_1)
	v_dual_mov_b32 v21, v20 :: v_dual_mov_b32 v22, v20
	s_clause 0x1
	scratch_store_b32 off, v20, off
	scratch_store_b96 off, v[20:22], off offset:4
	v_add_nc_u64_e32 v[16:17], 0x80, v[16:17]
	v_dual_cndmask_b32 v17, v25, v17, s4 :: v_dual_cndmask_b32 v16, v24, v16, s4
	flat_load_b128 v[20:23], v[16:17]
	s_wait_xcnt 0x0
	v_mul_u32_u24_e32 v16, 0xa0, v59
	s_wait_loadcnt_dscnt 0x0
	ds_store_b128 v16, v[20:23] offset:9344
.LBB52_53:
	s_or_b32 exec_lo, exec_lo, s3
	v_lshl_add_u32 v80, v37, 2, v38
	v_dual_mov_b32 v22, 0 :: v_dual_lshlrev_b32 v23, 20, v56
	s_cmp_lg_u64 s[36:37], 0
	v_add_nc_u32_e32 v81, s40, v53
	s_delay_alu instid0(VALU_DEP_3) | instskip(SKIP_3) | instid1(VALU_DEP_4)
	v_mul_lo_u32 v20, s46, v80
	v_mov_b32_e32 v16, 0
	v_add_nc_u64_e32 v[22:23], src_flat_scratch_base_lo, v[22:23]
	v_cmp_gt_i32_e64 s3, s8, v80
	v_dual_ashrrev_i32 v21, 31, v20 :: v_dual_lshlrev_b32 v40, 2, v18
	s_delay_alu instid0(VALU_DEP_4) | instskip(SKIP_1) | instid1(VALU_DEP_3)
	v_dual_mov_b32 v41, v16 :: v_dual_mov_b32 v17, v16
	v_mov_b32_e32 v18, v16
	v_lshl_add_u64 v[20:21], v[20:21], 2, s[6:7]
	s_clause 0x1
	scratch_store_b32 off, v16, off
	scratch_store_b96 off, v[16:18], off offset:4
	v_add_nc_u64_e32 v[20:21], v[20:21], v[40:41]
	s_wait_xcnt 0x0
	v_mad_u32_u24 v17, 0xa0, v80, v40
	v_dual_mov_b32 v30, v16 :: v_dual_mov_b32 v29, v16
	v_dual_mov_b32 v28, v16 :: v_dual_mov_b32 v27, v16
	s_delay_alu instid0(VALU_DEP_4)
	v_dual_mov_b32 v26, v16 :: v_dual_cndmask_b32 v21, v23, v21, s3
	v_dual_cndmask_b32 v20, v22, v20, s3 :: v_dual_mov_b32 v24, v16
	v_mov_b32_e32 v25, v16
	s_cselect_b32 s7, -1, 0
	v_cmp_gt_i32_e64 s6, s8, v53
	flat_load_b128 v[20:23], v[20:21]
	s_wait_loadcnt_dscnt 0x0
	ds_store_b128 v17, v[20:23] offset:9216
	s_wait_storecnt_dscnt 0x0
	s_barrier_signal -1
	s_barrier_wait -1
	ds_load_b128 v[32:35], v36 offset:9216
	ds_load_b128 v[76:79], v19
	ds_load_b128 v[82:85], v19 offset:144
	ds_load_b128 v[86:89], v19 offset:288
	;; [unrolled: 1-line block ×7, first 2 shown]
	v_dual_mov_b32 v23, v16 :: v_dual_mov_b32 v17, v8
	s_wait_dscnt 0x7
	;;#ASMSTART
	v_dot2_f32_f16 v30, v32, v76, v30
	;;#ASMEND
	;;#ASMSTART
	v_dot2_f32_f16 v30, v33, v77, v30
	;;#ASMEND
	;;#ASMSTART
	v_dot2_f32_f16 v30, v34, v78, v30
	;;#ASMEND
	;;#ASMSTART
	v_dot2_f32_f16 v30, v35, v79, v30
	;;#ASMEND
	s_wait_dscnt 0x6
	;;#ASMSTART
	v_dot2_f32_f16 v29, v32, v82, v29
	;;#ASMEND
	;;#ASMSTART
	v_dot2_f32_f16 v29, v33, v83, v29
	;;#ASMEND
	;;#ASMSTART
	v_dot2_f32_f16 v29, v34, v84, v29
	;;#ASMEND
	;;#ASMSTART
	v_dot2_f32_f16 v29, v35, v85, v29
	;;#ASMEND
	;; [unrolled: 13-line block ×8, first 2 shown]
	ds_load_b128 v[32:35], v36 offset:9232
	ds_load_b128 v[76:79], v19 offset:16
	;; [unrolled: 1-line block ×9, first 2 shown]
	s_wait_dscnt 0x7
	;;#ASMSTART
	v_dot2_f32_f16 v30, v32, v76, v30
	;;#ASMEND
	;;#ASMSTART
	v_dot2_f32_f16 v30, v33, v77, v30
	;;#ASMEND
	;;#ASMSTART
	v_dot2_f32_f16 v30, v34, v78, v30
	;;#ASMEND
	;;#ASMSTART
	v_dot2_f32_f16 v30, v35, v79, v30
	;;#ASMEND
	s_wait_dscnt 0x6
	;;#ASMSTART
	v_dot2_f32_f16 v29, v32, v82, v29
	;;#ASMEND
	;;#ASMSTART
	v_dot2_f32_f16 v29, v33, v83, v29
	;;#ASMEND
	;;#ASMSTART
	v_dot2_f32_f16 v29, v34, v84, v29
	;;#ASMEND
	;;#ASMSTART
	v_dot2_f32_f16 v29, v35, v85, v29
	;;#ASMEND
	;; [unrolled: 13-line block ×8, first 2 shown]
	ds_load_b128 v[32:35], v36 offset:9248
	ds_load_b128 v[76:79], v19 offset:32
	;; [unrolled: 1-line block ×9, first 2 shown]
	s_wait_dscnt 0x7
	;;#ASMSTART
	v_dot2_f32_f16 v30, v32, v76, v30
	;;#ASMEND
	;;#ASMSTART
	v_dot2_f32_f16 v30, v33, v77, v30
	;;#ASMEND
	;;#ASMSTART
	v_dot2_f32_f16 v30, v34, v78, v30
	;;#ASMEND
	;;#ASMSTART
	v_dot2_f32_f16 v30, v35, v79, v30
	;;#ASMEND
	s_wait_dscnt 0x6
	;;#ASMSTART
	v_dot2_f32_f16 v29, v32, v82, v29
	;;#ASMEND
	;;#ASMSTART
	v_dot2_f32_f16 v29, v33, v83, v29
	;;#ASMEND
	;;#ASMSTART
	v_dot2_f32_f16 v29, v34, v84, v29
	;;#ASMEND
	;;#ASMSTART
	v_dot2_f32_f16 v29, v35, v85, v29
	;;#ASMEND
	;; [unrolled: 13-line block ×8, first 2 shown]
	ds_load_b128 v[32:35], v36 offset:9264
	ds_load_b128 v[76:79], v19 offset:48
	;; [unrolled: 1-line block ×9, first 2 shown]
	s_wait_dscnt 0x7
	;;#ASMSTART
	v_dot2_f32_f16 v30, v32, v76, v30
	;;#ASMEND
	;;#ASMSTART
	v_dot2_f32_f16 v30, v33, v77, v30
	;;#ASMEND
	;;#ASMSTART
	v_dot2_f32_f16 v30, v34, v78, v30
	;;#ASMEND
	;;#ASMSTART
	v_dot2_f32_f16 v30, v35, v79, v30
	;;#ASMEND
	s_wait_dscnt 0x6
	;;#ASMSTART
	v_dot2_f32_f16 v29, v32, v82, v29
	;;#ASMEND
	;;#ASMSTART
	v_dot2_f32_f16 v29, v33, v83, v29
	;;#ASMEND
	;;#ASMSTART
	v_dot2_f32_f16 v29, v34, v84, v29
	;;#ASMEND
	;;#ASMSTART
	v_dot2_f32_f16 v29, v35, v85, v29
	;;#ASMEND
	;; [unrolled: 13-line block ×8, first 2 shown]
	ds_load_b128 v[32:35], v36 offset:9280
	ds_load_b128 v[76:79], v19 offset:64
	;; [unrolled: 1-line block ×9, first 2 shown]
	s_wait_dscnt 0x7
	;;#ASMSTART
	v_dot2_f32_f16 v30, v32, v76, v30
	;;#ASMEND
	;;#ASMSTART
	v_dot2_f32_f16 v30, v33, v77, v30
	;;#ASMEND
	;;#ASMSTART
	v_dot2_f32_f16 v30, v34, v78, v30
	;;#ASMEND
	;;#ASMSTART
	v_dot2_f32_f16 v30, v35, v79, v30
	;;#ASMEND
	s_wait_dscnt 0x6
	;;#ASMSTART
	v_dot2_f32_f16 v29, v32, v82, v29
	;;#ASMEND
	;;#ASMSTART
	v_dot2_f32_f16 v29, v33, v83, v29
	;;#ASMEND
	;;#ASMSTART
	v_dot2_f32_f16 v29, v34, v84, v29
	;;#ASMEND
	;;#ASMSTART
	v_dot2_f32_f16 v29, v35, v85, v29
	;;#ASMEND
	;; [unrolled: 13-line block ×8, first 2 shown]
	ds_load_b128 v[32:35], v36 offset:9296
	ds_load_b128 v[76:79], v19 offset:80
	;; [unrolled: 1-line block ×9, first 2 shown]
	s_wait_dscnt 0x7
	;;#ASMSTART
	v_dot2_f32_f16 v30, v32, v76, v30
	;;#ASMEND
	;;#ASMSTART
	v_dot2_f32_f16 v30, v33, v77, v30
	;;#ASMEND
	;;#ASMSTART
	v_dot2_f32_f16 v30, v34, v78, v30
	;;#ASMEND
	;;#ASMSTART
	v_dot2_f32_f16 v30, v35, v79, v30
	;;#ASMEND
	s_wait_dscnt 0x6
	;;#ASMSTART
	v_dot2_f32_f16 v29, v32, v82, v29
	;;#ASMEND
	;;#ASMSTART
	v_dot2_f32_f16 v29, v33, v83, v29
	;;#ASMEND
	;;#ASMSTART
	v_dot2_f32_f16 v29, v34, v84, v29
	;;#ASMEND
	;;#ASMSTART
	v_dot2_f32_f16 v29, v35, v85, v29
	;;#ASMEND
	;; [unrolled: 13-line block ×8, first 2 shown]
	ds_load_b128 v[32:35], v36 offset:9312
	ds_load_b128 v[76:79], v19 offset:96
	;; [unrolled: 1-line block ×9, first 2 shown]
	s_wait_dscnt 0x7
	;;#ASMSTART
	v_dot2_f32_f16 v30, v32, v76, v30
	;;#ASMEND
	;;#ASMSTART
	v_dot2_f32_f16 v30, v33, v77, v30
	;;#ASMEND
	;;#ASMSTART
	v_dot2_f32_f16 v30, v34, v78, v30
	;;#ASMEND
	;;#ASMSTART
	v_dot2_f32_f16 v30, v35, v79, v30
	;;#ASMEND
	s_wait_dscnt 0x6
	;;#ASMSTART
	v_dot2_f32_f16 v29, v32, v82, v29
	;;#ASMEND
	;;#ASMSTART
	v_dot2_f32_f16 v29, v33, v83, v29
	;;#ASMEND
	;;#ASMSTART
	v_dot2_f32_f16 v29, v34, v84, v29
	;;#ASMEND
	;;#ASMSTART
	v_dot2_f32_f16 v29, v35, v85, v29
	;;#ASMEND
	;; [unrolled: 13-line block ×8, first 2 shown]
	ds_load_b128 v[32:35], v36 offset:9328
	ds_load_b128 v[76:79], v19 offset:112
	;; [unrolled: 1-line block ×9, first 2 shown]
	s_wait_dscnt 0x7
	;;#ASMSTART
	v_dot2_f32_f16 v30, v32, v76, v30
	;;#ASMEND
	;;#ASMSTART
	v_dot2_f32_f16 v30, v33, v77, v30
	;;#ASMEND
	;;#ASMSTART
	v_dot2_f32_f16 v30, v34, v78, v30
	;;#ASMEND
	;;#ASMSTART
	v_dot2_f32_f16 v30, v35, v79, v30
	;;#ASMEND
	s_wait_dscnt 0x6
	;;#ASMSTART
	v_dot2_f32_f16 v29, v32, v82, v29
	;;#ASMEND
	;;#ASMSTART
	v_dot2_f32_f16 v29, v33, v83, v29
	;;#ASMEND
	;;#ASMSTART
	v_dot2_f32_f16 v29, v34, v84, v29
	;;#ASMEND
	;;#ASMSTART
	v_dot2_f32_f16 v29, v35, v85, v29
	;;#ASMEND
	s_wait_dscnt 0x5
	;;#ASMSTART
	v_dot2_f32_f16 v28, v32, v86, v28
	;;#ASMEND
	;;#ASMSTART
	v_dot2_f32_f16 v28, v33, v87, v28
	;;#ASMEND
	;;#ASMSTART
	v_dot2_f32_f16 v28, v34, v88, v28
	;;#ASMEND
	;;#ASMSTART
	v_dot2_f32_f16 v28, v35, v89, v28
	;;#ASMEND
	s_wait_dscnt 0x4
	;;#ASMSTART
	v_dot2_f32_f16 v27, v32, v90, v27
	;;#ASMEND
	;;#ASMSTART
	v_dot2_f32_f16 v27, v33, v91, v27
	;;#ASMEND
	;;#ASMSTART
	v_dot2_f32_f16 v27, v34, v92, v27
	;;#ASMEND
	;;#ASMSTART
	v_dot2_f32_f16 v27, v35, v93, v27
	;;#ASMEND
	s_wait_dscnt 0x3
	;;#ASMSTART
	v_dot2_f32_f16 v26, v32, v94, v26
	;;#ASMEND
	;;#ASMSTART
	v_dot2_f32_f16 v26, v33, v95, v26
	;;#ASMEND
	;;#ASMSTART
	v_dot2_f32_f16 v26, v34, v96, v26
	;;#ASMEND
	;;#ASMSTART
	v_dot2_f32_f16 v26, v35, v97, v26
	;;#ASMEND
	s_wait_dscnt 0x2
	;;#ASMSTART
	v_dot2_f32_f16 v23, v32, v98, v23
	;;#ASMEND
	;;#ASMSTART
	v_dot2_f32_f16 v23, v33, v99, v23
	;;#ASMEND
	;;#ASMSTART
	v_dot2_f32_f16 v23, v34, v100, v23
	;;#ASMEND
	;;#ASMSTART
	v_dot2_f32_f16 v23, v35, v101, v23
	;;#ASMEND
	s_wait_dscnt 0x1
	;;#ASMSTART
	v_dot2_f32_f16 v24, v32, v102, v24
	;;#ASMEND
	;;#ASMSTART
	v_dot2_f32_f16 v24, v33, v103, v24
	;;#ASMEND
	;;#ASMSTART
	v_dot2_f32_f16 v24, v34, v104, v24
	;;#ASMEND
	;;#ASMSTART
	v_dot2_f32_f16 v24, v35, v105, v24
	;;#ASMEND
	s_wait_dscnt 0x0
	;;#ASMSTART
	v_dot2_f32_f16 v25, v32, v106, v25
	;;#ASMEND
	;;#ASMSTART
	v_dot2_f32_f16 v25, v33, v107, v25
	;;#ASMEND
	;;#ASMSTART
	v_dot2_f32_f16 v25, v34, v108, v25
	;;#ASMEND
	;;#ASMSTART
	v_dot2_f32_f16 v25, v35, v109, v25
	;;#ASMEND
	ds_load_b128 v[76:79], v36 offset:9344
	ds_load_b128 v[84:87], v19 offset:128
	;; [unrolled: 1-line block ×8, first 2 shown]
	s_wait_xcnt 0x0
	ds_load_b128 v[18:21], v19 offset:1136
	s_wait_dscnt 0x7
	;;#ASMSTART
	v_dot2_f32_f16 v30, v76, v84, v30
	;;#ASMEND
	;;#ASMSTART
	v_dot2_f32_f16 v30, v77, v85, v30
	;;#ASMEND
	;;#ASMSTART
	v_dot2_f32_f16 v30, v78, v86, v30
	;;#ASMEND
	;;#ASMSTART
	v_dot2_f32_f16 v30, v79, v87, v30
	;;#ASMEND
	s_wait_dscnt 0x6
	;;#ASMSTART
	v_dot2_f32_f16 v29, v76, v88, v29
	;;#ASMEND
	;;#ASMSTART
	v_dot2_f32_f16 v29, v77, v89, v29
	;;#ASMEND
	;;#ASMSTART
	v_dot2_f32_f16 v29, v78, v90, v29
	;;#ASMEND
	;;#ASMSTART
	v_dot2_f32_f16 v29, v79, v91, v29
	;;#ASMEND
	;; [unrolled: 13-line block ×5, first 2 shown]
	s_wait_dscnt 0x2
	;;#ASMSTART
	v_dot2_f32_f16 v23, v76, v104, v23
	;;#ASMEND
	v_mov_b64_e32 v[38:39], v[14:15]
	;;#ASMSTART
	v_dot2_f32_f16 v23, v77, v105, v23
	;;#ASMEND
	v_mov_b64_e32 v[36:37], v[12:13]
	v_mov_b64_e32 v[34:35], v[10:11]
	;; [unrolled: 1-line block ×3, first 2 shown]
	;;#ASMSTART
	v_dot2_f32_f16 v23, v78, v106, v23
	;;#ASMEND
	;;#ASMSTART
	v_dot2_f32_f16 v23, v79, v107, v23
	;;#ASMEND
	s_wait_dscnt 0x1
	;;#ASMSTART
	v_dot2_f32_f16 v24, v76, v108, v24
	;;#ASMEND
	v_cndmask_b32_e64 v82, 0, 1, s7
	;;#ASMSTART
	v_dot2_f32_f16 v24, v77, v109, v24
	;;#ASMEND
	;;#ASMSTART
	v_dot2_f32_f16 v24, v78, v110, v24
	;;#ASMEND
	;; [unrolled: 3-line block ×3, first 2 shown]
	s_wait_dscnt 0x0
	;;#ASMSTART
	v_dot2_f32_f16 v25, v76, v18, v25
	;;#ASMEND
	;;#ASMSTART
	v_dot2_f32_f16 v25, v77, v19, v25
	;;#ASMEND
	;; [unrolled: 3-line block ×4, first 2 shown]
	s_and_saveexec_b32 s9, s6
	s_cbranch_execz .LBB52_57
; %bb.54:
	s_and_not1_b32 vcc_lo, exec_lo, s7
	s_cbranch_vccnz .LBB52_56
; %bb.55:
	v_mov_b32_e32 v47, 0
	s_delay_alu instid0(VALU_DEP_1) | instskip(NEXT) | instid1(VALU_DEP_1)
	v_mul_u64_e32 v[16:17], s[38:39], v[46:47]
	v_add_nc_u32_e32 v16, v46, v17
	s_delay_alu instid0(VALU_DEP_1) | instskip(NEXT) | instid1(VALU_DEP_1)
	v_lshrrev_b32_e32 v16, s29, v16
	v_mul_lo_u32 v16, v16, s30
	s_delay_alu instid0(VALU_DEP_1) | instskip(NEXT) | instid1(VALU_DEP_1)
	v_sub_nc_u32_e32 v16, v46, v16
	v_mad_u32 v16, v16, s45, v81
	global_load_u16 v16, v16, s[36:37] scale_offset
	s_wait_loadcnt 0x0
	v_cvt_f32_f16_e32 v16, v16
	s_delay_alu instid0(VALU_DEP_1)
	v_mul_f32_e32 v16, v42, v16
.LBB52_56:
	s_delay_alu instid0(VALU_DEP_1)
	v_add_f32_e32 v30, v30, v16
	v_max_num_f32_e32 v16, v8, v8
	v_mov_b64_e32 v[38:39], v[14:15]
	v_mov_b64_e32 v[36:37], v[12:13]
	;; [unrolled: 1-line block ×3, first 2 shown]
	v_add_f32_e32 v17, 0x40051340, v30
	v_mov_b64_e32 v[32:33], v[8:9]
	s_delay_alu instid0(VALU_DEP_2)
	v_max_num_f32_e32 v17, v16, v17
.LBB52_57:
	s_or_b32 exec_lo, exec_lo, s9
	v_xor_b32_e32 v78, 8, v56
	v_xor_b32_e32 v79, 16, v56
	;; [unrolled: 1-line block ×3, first 2 shown]
	v_dual_mov_b32 v32, 32 :: v_dual_bitop2_b32 v47, 1, v56 bitop3:0x14
	s_delay_alu instid0(VALU_DEP_3) | instskip(SKIP_2) | instid1(VALU_DEP_2)
	v_cmp_gt_i32_e32 vcc_lo, 32, v79
	v_cndmask_b32_e32 v16, v56, v79, vcc_lo
	v_cmp_gt_i32_e32 vcc_lo, 32, v78
	v_dual_cndmask_b32 v18, v56, v78 :: v_dual_lshlrev_b32 v83, 2, v16
	v_cmp_gt_i32_e32 vcc_lo, 32, v77
	ds_bpermute_b32 v16, v83, v17
	v_dual_max_num_f32 v17, v17, v17 :: v_dual_lshlrev_b32 v84, 2, v18
	v_cndmask_b32_e32 v18, v56, v77, vcc_lo
	s_wait_dscnt 0x0
	v_max_num_f32_e32 v16, v16, v16
	s_delay_alu instid0(VALU_DEP_1) | instskip(SKIP_3) | instid1(VALU_DEP_1)
	v_max_num_f32_e32 v16, v17, v16
	ds_bpermute_b32 v17, v84, v16
	s_wait_dscnt 0x0
	v_dual_max_num_f32 v17, v17, v17 :: v_dual_lshlrev_b32 v85, 2, v18
	v_max_num_f32_e32 v16, v16, v17
	ds_bpermute_b32 v17, v85, v16
	s_wait_dscnt 0x0
	v_dual_max_num_f32 v17, v17, v17 :: v_dual_bitop2_b32 v76, 2, v56 bitop3:0x14
	s_delay_alu instid0(VALU_DEP_1) | instskip(NEXT) | instid1(VALU_DEP_2)
	v_cmp_gt_i32_e32 vcc_lo, 32, v76
	v_max_num_f32_e32 v16, v16, v17
	v_cndmask_b32_e32 v18, v56, v76, vcc_lo
	v_cmp_gt_i32_e32 vcc_lo, 32, v47
	s_delay_alu instid0(VALU_DEP_2) | instskip(SKIP_3) | instid1(VALU_DEP_1)
	v_dual_cndmask_b32 v18, v56, v47 :: v_dual_lshlrev_b32 v41, 2, v18
	ds_bpermute_b32 v17, v41, v16
	s_wait_dscnt 0x0
	v_dual_lshlrev_b32 v31, 2, v18 :: v_dual_max_num_f32 v17, v17, v17
	v_max_num_f32_e32 v16, v16, v17
	ds_bpermute_b32 v17, v31, v16
	s_wait_dscnt 0x0
	v_max_num_f32_e32 v17, v17, v17
	s_delay_alu instid0(VALU_DEP_1)
	v_max_num_f32_e32 v16, v16, v17
	s_and_saveexec_b32 s7, s6
	s_cbranch_execz .LBB52_62
; %bb.58:
	v_cmp_ne_u32_e32 vcc_lo, 1, v82
	s_cbranch_vccnz .LBB52_60
; %bb.59:
	v_dual_mov_b32 v19, 0 :: v_dual_bitop2_b32 v18, 1, v46 bitop3:0x54
	s_delay_alu instid0(VALU_DEP_1) | instskip(NEXT) | instid1(VALU_DEP_1)
	v_mul_u64_e32 v[20:21], s[38:39], v[18:19]
	v_add_nc_u32_e32 v17, v18, v21
	s_delay_alu instid0(VALU_DEP_1) | instskip(NEXT) | instid1(VALU_DEP_1)
	v_lshrrev_b32_e32 v17, s29, v17
	v_mul_lo_u32 v17, v17, s30
	s_delay_alu instid0(VALU_DEP_1) | instskip(NEXT) | instid1(VALU_DEP_1)
	v_sub_nc_u32_e32 v17, v18, v17
	v_mad_u32 v17, v17, s45, v81
	global_load_u16 v17, v17, s[36:37] scale_offset
	s_wait_loadcnt 0x0
	v_cvt_f32_f16_e32 v17, v17
	s_delay_alu instid0(VALU_DEP_1)
	v_mul_f32_e32 v17, v42, v17
	s_branch .LBB52_61
.LBB52_60:
	v_mov_b32_e32 v17, 0
.LBB52_61:
	v_max_num_f32_e32 v18, v33, v33
	s_delay_alu instid0(VALU_DEP_2) | instskip(NEXT) | instid1(VALU_DEP_1)
	v_add_f32_e32 v29, v29, v17
	v_add_f32_e32 v17, 0x40051340, v29
	s_delay_alu instid0(VALU_DEP_1)
	v_max_num_f32_e32 v33, v18, v17
.LBB52_62:
	s_or_b32 exec_lo, exec_lo, s7
	ds_bpermute_b32 v17, v83, v33
	v_max_num_f32_e32 v18, v33, v33
	s_wait_dscnt 0x0
	v_max_num_f32_e32 v17, v17, v17
	s_delay_alu instid0(VALU_DEP_1) | instskip(SKIP_3) | instid1(VALU_DEP_1)
	v_max_num_f32_e32 v17, v18, v17
	ds_bpermute_b32 v18, v84, v17
	s_wait_dscnt 0x0
	v_max_num_f32_e32 v18, v18, v18
	v_max_num_f32_e32 v17, v17, v18
	ds_bpermute_b32 v18, v85, v17
	s_wait_dscnt 0x0
	v_max_num_f32_e32 v18, v18, v18
	s_delay_alu instid0(VALU_DEP_1) | instskip(SKIP_3) | instid1(VALU_DEP_1)
	v_max_num_f32_e32 v17, v17, v18
	ds_bpermute_b32 v18, v41, v17
	s_wait_dscnt 0x0
	v_max_num_f32_e32 v18, v18, v18
	v_max_num_f32_e32 v17, v17, v18
	ds_bpermute_b32 v18, v31, v17
	s_wait_dscnt 0x0
	v_max_num_f32_e32 v18, v18, v18
	s_delay_alu instid0(VALU_DEP_1)
	v_max_num_f32_e32 v17, v17, v18
	s_and_saveexec_b32 s7, s6
	s_cbranch_execz .LBB52_67
; %bb.63:
	v_cmp_ne_u32_e32 vcc_lo, 1, v82
	s_cbranch_vccnz .LBB52_65
; %bb.64:
	v_dual_mov_b32 v19, 0 :: v_dual_bitop2_b32 v18, 2, v46 bitop3:0x54
	s_delay_alu instid0(VALU_DEP_1) | instskip(NEXT) | instid1(VALU_DEP_1)
	v_mul_u64_e32 v[20:21], s[38:39], v[18:19]
	v_add_nc_u32_e32 v19, v18, v21
	s_delay_alu instid0(VALU_DEP_1) | instskip(NEXT) | instid1(VALU_DEP_1)
	v_lshrrev_b32_e32 v19, s29, v19
	v_mul_lo_u32 v19, v19, s30
	s_delay_alu instid0(VALU_DEP_1) | instskip(NEXT) | instid1(VALU_DEP_1)
	v_sub_nc_u32_e32 v18, v18, v19
	v_mad_u32 v18, v18, s45, v81
	global_load_u16 v18, v18, s[36:37] scale_offset
	s_wait_loadcnt 0x0
	v_cvt_f32_f16_e32 v18, v18
	s_delay_alu instid0(VALU_DEP_1)
	v_mul_f32_e32 v18, v42, v18
	s_branch .LBB52_66
.LBB52_65:
	v_mov_b32_e32 v18, 0
.LBB52_66:
	v_max_num_f32_e32 v19, v34, v34
	s_delay_alu instid0(VALU_DEP_2) | instskip(NEXT) | instid1(VALU_DEP_1)
	v_add_f32_e32 v28, v28, v18
	v_add_f32_e32 v18, 0x40051340, v28
	s_delay_alu instid0(VALU_DEP_1)
	v_max_num_f32_e32 v34, v19, v18
.LBB52_67:
	s_or_b32 exec_lo, exec_lo, s7
	ds_bpermute_b32 v18, v83, v34
	v_max_num_f32_e32 v19, v34, v34
	s_wait_dscnt 0x0
	v_max_num_f32_e32 v18, v18, v18
	s_delay_alu instid0(VALU_DEP_1) | instskip(SKIP_3) | instid1(VALU_DEP_1)
	v_max_num_f32_e32 v18, v19, v18
	ds_bpermute_b32 v19, v84, v18
	s_wait_dscnt 0x0
	v_max_num_f32_e32 v19, v19, v19
	v_max_num_f32_e32 v18, v18, v19
	ds_bpermute_b32 v19, v85, v18
	s_wait_dscnt 0x0
	v_max_num_f32_e32 v19, v19, v19
	s_delay_alu instid0(VALU_DEP_1) | instskip(SKIP_3) | instid1(VALU_DEP_1)
	v_max_num_f32_e32 v18, v18, v19
	ds_bpermute_b32 v19, v41, v18
	s_wait_dscnt 0x0
	v_max_num_f32_e32 v19, v19, v19
	;; [unrolled: 57-line block ×6, first 2 shown]
	v_max_num_f32_e32 v22, v22, v33
	ds_bpermute_b32 v33, v31, v22
	s_wait_dscnt 0x0
	v_max_num_f32_e32 v33, v33, v33
	s_delay_alu instid0(VALU_DEP_1)
	v_max_num_f32_e32 v22, v22, v33
	s_and_saveexec_b32 s7, s6
	s_cbranch_execz .LBB52_92
; %bb.88:
	v_cmp_ne_u32_e32 vcc_lo, 1, v82
	s_cbranch_vccnz .LBB52_90
; %bb.89:
	v_dual_mov_b32 v35, 0 :: v_dual_bitop2_b32 v34, 7, v46 bitop3:0x54
	s_delay_alu instid0(VALU_DEP_1) | instskip(NEXT) | instid1(VALU_DEP_1)
	v_mul_u64_e32 v[36:37], s[38:39], v[34:35]
	v_add_nc_u32_e32 v33, v34, v37
	s_delay_alu instid0(VALU_DEP_1) | instskip(NEXT) | instid1(VALU_DEP_1)
	v_lshrrev_b32_e32 v33, s29, v33
	v_mul_lo_u32 v33, v33, s30
	s_delay_alu instid0(VALU_DEP_1) | instskip(NEXT) | instid1(VALU_DEP_1)
	v_sub_nc_u32_e32 v33, v34, v33
	v_mad_u32 v33, v33, s45, v81
	global_load_u16 v33, v33, s[36:37] scale_offset
	s_wait_loadcnt 0x0
	v_cvt_f32_f16_e32 v33, v33
	s_delay_alu instid0(VALU_DEP_1)
	v_mul_f32_e32 v33, v42, v33
	s_branch .LBB52_91
.LBB52_90:
	v_mov_b32_e32 v33, 0
.LBB52_91:
	s_delay_alu instid0(VALU_DEP_1) | instskip(NEXT) | instid1(VALU_DEP_1)
	v_dual_add_f32 v25, v25, v33 :: v_dual_max_num_f32 v34, v39, v39
	v_add_f32_e32 v33, 0x40051340, v25
	s_delay_alu instid0(VALU_DEP_1)
	v_max_num_f32_e32 v39, v34, v33
.LBB52_92:
	s_or_b32 exec_lo, exec_lo, s7
	ds_bpermute_b32 v33, v83, v39
	v_dual_max_num_f32 v34, v39, v39 :: v_dual_sub_f32 v29, v29, v17
	v_dual_sub_f32 v28, v28, v18 :: v_dual_sub_f32 v35, v23, v21
	v_dual_sub_f32 v24, v24, v22 :: v_dual_sub_f32 v27, v27, v19
	v_sub_f32_e32 v26, v26, v20
	s_delay_alu instid0(VALU_DEP_4) | instskip(NEXT) | instid1(VALU_DEP_4)
	v_cmp_nlt_f32_e64 s6, 0x42b17218, v29
	v_mul_f32_e32 v42, 0x3fb8aa3b, v35
	s_ashr_i32 s23, s22, 31
	v_lshl_add_u32 v38, v53, 4, v57
	v_mul_f32_e32 v39, 0x3fb8aa3b, v26
	s_wait_dscnt 0x0
	v_fma_f32 v92, 0x3fb8aa3b, v35, -v42
	v_rndne_f32_e32 v93, v42
	s_barrier_signal -1
	v_fma_f32 v90, 0x3fb8aa3b, v26, -v39
	v_rndne_f32_e32 v91, v39
	s_barrier_wait -1
	v_max_num_f32_e32 v33, v33, v33
	v_sub_f32_e32 v42, v42, v93
	s_delay_alu instid0(VALU_DEP_3) | instskip(NEXT) | instid1(VALU_DEP_3)
	v_dual_sub_f32 v39, v39, v91 :: v_dual_sub_f32 v30, v30, v16
	v_max_num_f32_e32 v33, v34, v33
	v_dual_mul_f32 v36, 0x3fb8aa3b, v29 :: v_dual_mul_f32 v37, 0x3fb8aa3b, v28
	v_fmac_f32_e32 v90, 0x32a5705f, v26
	s_delay_alu instid0(VALU_DEP_4) | instskip(SKIP_4) | instid1(VALU_DEP_3)
	v_cmp_ngt_f32_e32 vcc_lo, 0xc2ce8ed0, v30
	ds_bpermute_b32 v34, v84, v33
	v_fma_f32 v84, 0x3fb8aa3b, v29, -v36
	v_fma_f32 v86, 0x3fb8aa3b, v28, -v37
	v_rndne_f32_e32 v87, v37
	v_dual_add_f32 v39, v39, v90 :: v_dual_fmac_f32 v84, 0x32a5705f, v29
	s_delay_alu instid0(VALU_DEP_2) | instskip(SKIP_2) | instid1(VALU_DEP_4)
	v_dual_fmac_f32 v86, 0x32a5705f, v28 :: v_dual_sub_f32 v37, v37, v87
	v_fmac_f32_e32 v92, 0x32a5705f, v35
	v_cvt_i32_f32_e32 v87, v87
	v_exp_f32_e32 v39, v39
	s_delay_alu instid0(VALU_DEP_3) | instskip(NEXT) | instid1(VALU_DEP_1)
	v_add_f32_e32 v37, v37, v86
	v_exp_f32_e32 v37, v37
	s_wait_dscnt 0x0
	v_max_num_f32_e32 v34, v34, v34
	s_delay_alu instid0(VALU_DEP_1) | instskip(SKIP_2) | instid1(VALU_DEP_1)
	v_max_num_f32_e32 v33, v33, v34
	ds_bpermute_b32 v34, v85, v33
	v_rndne_f32_e32 v85, v36
	v_sub_f32_e32 v36, v36, v85
	v_cvt_i32_f32_e32 v85, v85
	s_delay_alu instid0(VALU_DEP_2) | instskip(NEXT) | instid1(VALU_DEP_1)
	v_add_f32_e32 v36, v36, v84
	v_exp_f32_e32 v36, v36
	s_wait_dscnt 0x0
	v_max_num_f32_e32 v23, v34, v34
	v_mul_f32_e32 v34, 0x3fb8aa3b, v30
	s_delay_alu instid0(VALU_DEP_1) | instskip(NEXT) | instid1(VALU_DEP_3)
	v_fma_f32 v82, 0x3fb8aa3b, v30, -v34
	v_max_num_f32_e32 v23, v33, v23
	v_mul_f32_e32 v33, 0x3fb8aa3b, v27
	v_rndne_f32_e32 v83, v34
	v_mul_f32_e32 v81, 0x3fb8aa3b, v24
	v_fmac_f32_e32 v82, 0x32a5705f, v30
	ds_bpermute_b32 v41, v41, v23
	v_fma_f32 v88, 0x3fb8aa3b, v27, -v33
	v_sub_f32_e32 v34, v34, v83
	v_rndne_f32_e32 v89, v33
	v_cvt_i32_f32_e32 v83, v83
	v_fma_f32 v94, 0x3fb8aa3b, v24, -v81
	v_fmac_f32_e32 v88, 0x32a5705f, v27
	s_delay_alu instid0(VALU_DEP_4) | instskip(SKIP_1) | instid1(VALU_DEP_4)
	v_dual_add_f32 v34, v34, v82 :: v_dual_sub_f32 v33, v33, v89
	v_rndne_f32_e32 v95, v81
	v_fmac_f32_e32 v94, 0x32a5705f, v24
	s_delay_alu instid0(VALU_DEP_3) | instskip(NEXT) | instid1(VALU_DEP_3)
	v_exp_f32_e32 v34, v34
	v_add_f32_e32 v33, v33, v88
	s_delay_alu instid0(VALU_DEP_3) | instskip(NEXT) | instid1(VALU_DEP_2)
	v_dual_sub_f32 v81, v81, v95 :: v_dual_add_f32 v42, v42, v92
	v_exp_f32_e32 v33, v33
	s_delay_alu instid0(TRANS32_DEP_2) | instskip(SKIP_4) | instid1(VALU_DEP_2)
	v_ldexp_f32 v34, v34, v83
	s_wait_dscnt 0x0
	v_max_num_f32_e32 v41, v41, v41
	v_add_f32_e32 v81, v81, v94
	v_exp_f32_e32 v42, v42
	v_dual_cndmask_b32 v34, 0, v34 :: v_dual_max_num_f32 v23, v23, v41
	v_cmp_ngt_f32_e32 vcc_lo, 0xc2ce8ed0, v29
	v_cvt_i32_f32_e32 v41, v89
	v_cvt_i32_f32_e32 v89, v91
	;; [unrolled: 1-line block ×3, first 2 shown]
	ds_bpermute_b32 v31, v31, v23
	v_exp_f32_e32 v81, v81
	v_ldexp_f32 v33, v33, v41
	v_cvt_i32_f32_e32 v93, v95
	s_delay_alu instid0(TRANS32_DEP_1) | instid1(VALU_DEP_1)
	v_ldexp_f32 v41, v81, v93
	s_wait_dscnt 0x0
	v_max_num_f32_e32 v31, v31, v31
	s_delay_alu instid0(VALU_DEP_1) | instskip(SKIP_3) | instid1(VALU_DEP_3)
	v_max_num_f32_e32 v23, v23, v31
	v_ldexp_f32 v31, v36, v85
	v_ldexp_f32 v36, v37, v87
	;; [unrolled: 1-line block ×3, first 2 shown]
	v_cndmask_b32_e32 v31, 0, v31, vcc_lo
	v_cmp_ngt_f32_e32 vcc_lo, 0xc2ce8ed0, v28
	v_sub_f32_e32 v39, v25, v23
	v_ldexp_f32 v25, v42, v91
	s_delay_alu instid0(VALU_DEP_4)
	v_cndmask_b32_e64 v29, 0x7f800000, v31, s6
	v_cndmask_b32_e32 v36, 0, v36, vcc_lo
	v_cmp_ngt_f32_e32 vcc_lo, 0xc2ce8ed0, v27
	v_mul_f32_e32 v42, 0x3fb8aa3b, v39
	v_cmp_nlt_f32_e64 s6, 0x42b17218, v28
	v_cndmask_b32_e32 v33, 0, v33, vcc_lo
	v_cmp_ngt_f32_e32 vcc_lo, 0xc2ce8ed0, v26
	s_delay_alu instid0(VALU_DEP_4) | instskip(SKIP_3) | instid1(VALU_DEP_4)
	v_rndne_f32_e32 v82, v42
	v_fma_f32 v81, 0x3fb8aa3b, v39, -v42
	v_cndmask_b32_e64 v28, 0x7f800000, v36, s6
	v_cmp_nlt_f32_e64 s6, 0x42b17218, v27
	v_dual_cndmask_b32 v37, 0, v37 :: v_dual_sub_f32 v42, v42, v82
	v_cmp_ngt_f32_e32 vcc_lo, 0xc2ce8ed0, v35
	s_delay_alu instid0(VALU_DEP_3) | instskip(SKIP_3) | instid1(VALU_DEP_3)
	v_cndmask_b32_e64 v27, 0x7f800000, v33, s6
	v_cmp_nlt_f32_e64 s6, 0x42b17218, v26
	v_cndmask_b32_e32 v25, 0, v25, vcc_lo
	v_cmp_ngt_f32_e32 vcc_lo, 0xc2ce8ed0, v24
	v_cndmask_b32_e64 v33, 0x7f800000, v37, s6
	v_cmp_nlt_f32_e64 s6, 0x42b17218, v35
	v_cndmask_b32_e32 v41, 0, v41, vcc_lo
	v_cmp_nlt_f32_e32 vcc_lo, 0x42b17218, v30
	v_cndmask_b32_e32 v30, 0x7f800000, v34, vcc_lo
	v_cmp_gt_u32_e32 vcc_lo, s8, v53
	v_fmac_f32_e32 v81, 0x32a5705f, v39
	v_cvt_i32_f32_e32 v34, v82
	s_delay_alu instid0(VALU_DEP_2) | instskip(NEXT) | instid1(VALU_DEP_1)
	v_dual_cndmask_b32 v27, 0, v27 :: v_dual_add_f32 v42, v42, v81
	v_exp_f32_e32 v31, v42
	v_nop
	s_delay_alu instid0(TRANS32_DEP_1) | instskip(SKIP_3) | instid1(VALU_DEP_3)
	v_ldexp_f32 v26, v31, v34
	v_cndmask_b32_e64 v31, 0x7f800000, v25, s6
	v_cmp_nlt_f32_e64 s6, 0x42b17218, v24
	v_dual_cndmask_b32 v24, 0, v30 :: v_dual_cndmask_b32 v25, 0, v29
	v_cndmask_b32_e32 v29, 0, v31, vcc_lo
	s_delay_alu instid0(VALU_DEP_3) | instskip(SKIP_1) | instid1(VALU_DEP_2)
	v_cndmask_b32_e64 v34, 0x7f800000, v41, s6
	v_cmp_ngt_f32_e64 s6, 0xc2ce8ed0, v39
	v_cndmask_b32_e32 v30, 0, v34, vcc_lo
	s_delay_alu instid0(VALU_DEP_2) | instskip(SKIP_3) | instid1(VALU_DEP_3)
	v_cndmask_b32_e64 v35, 0, v26, s6
	v_cmp_nlt_f32_e64 s6, 0x42b17218, v39
	v_dual_cndmask_b32 v26, 0, v28, vcc_lo :: v_dual_cndmask_b32 v28, 0, v33, vcc_lo
	v_cvt_pk_f16_f32 v34, v24, v25
	v_cndmask_b32_e64 v35, 0x7f800000, v35, s6
	s_mul_u64 s[6:7], s[40:41], s[22:23]
	s_delay_alu instid0(VALU_DEP_3) | instskip(SKIP_1) | instid1(VALU_DEP_2)
	v_cvt_pk_f16_f32 v36, v28, v29
	s_lshl_b64 s[6:7], s[6:7], 2
	v_cndmask_b32_e32 v31, 0, v35, vcc_lo
	v_cvt_pk_f16_f32 v35, v26, v27
	s_add_nc_u64 s[6:7], s[42:43], s[6:7]
	s_delay_alu instid0(VALU_DEP_2)
	v_cvt_pk_f16_f32 v37, v30, v31
	ds_store_b128 v38, v[34:37]
	s_and_saveexec_b32 s8, s5
	s_cbranch_execz .LBB52_94
; %bb.93:
	v_mul_lo_u32 v34, s22, v59
	v_mbcnt_lo_u32_b32 v33, -1, 0
	s_delay_alu instid0(VALU_DEP_1) | instskip(SKIP_1) | instid1(VALU_DEP_4)
	v_dual_mov_b32 v36, 0 :: v_dual_lshlrev_b32 v37, 20, v33
	v_mul_u32_u24_e32 v33, 0x90, v59
	v_ashrrev_i32_e32 v35, 31, v34
	s_delay_alu instid0(VALU_DEP_1) | instskip(NEXT) | instid1(VALU_DEP_1)
	v_lshl_add_u64 v[34:35], v[34:35], 2, s[6:7]
	v_add_nc_u64_e32 v[82:83], 0x80, v[34:35]
	v_mov_b32_e32 v34, 0
	v_add_nc_u64_e32 v[38:39], src_flat_scratch_base_lo, v[36:37]
	s_delay_alu instid0(VALU_DEP_2)
	v_dual_mov_b32 v35, v34 :: v_dual_mov_b32 v36, v34
	s_clause 0x1
	scratch_store_b32 off, v34, off
	scratch_store_b96 off, v[34:36], off offset:4
	v_dual_cndmask_b32 v39, v39, v83, s4 :: v_dual_cndmask_b32 v38, v38, v82, s4
	flat_load_b128 v[34:37], v[38:39]
	s_wait_loadcnt_dscnt 0x0
	ds_store_b128 v33, v[34:37] offset:9344
.LBB52_94:
	s_wait_xcnt 0x0
	s_or_b32 exec_lo, exec_lo, s8
	v_mul_lo_u32 v34, s22, v80
	v_mbcnt_lo_u32_b32 v33, -1, 0
	v_dual_mov_b32 v36, 0 :: v_dual_sub_f32 v8, v8, v16
	v_dual_sub_f32 v9, v9, v17 :: v_dual_sub_f32 v10, v10, v18
	s_delay_alu instid0(VALU_DEP_3) | instskip(SKIP_3) | instid1(VALU_DEP_4)
	v_dual_sub_f32 v11, v11, v19 :: v_dual_lshlrev_b32 v37, 20, v33
	v_mad_u32_u24 v33, 0x90, v80, v40
	v_dual_sub_f32 v12, v12, v20 :: v_dual_sub_f32 v13, v13, v21
	v_dual_ashrrev_i32 v35, 31, v34 :: v_dual_mov_b32 v41, 0
	v_add_nc_u64_e32 v[36:37], src_flat_scratch_base_lo, v[36:37]
	v_dual_mul_f32 v38, 0x3fb8aa3b, v8 :: v_dual_mul_f32 v39, 0x3fb8aa3b, v9
	s_delay_alu instid0(VALU_DEP_3) | instskip(NEXT) | instid1(VALU_DEP_4)
	v_lshl_add_u64 v[34:35], v[34:35], 2, s[6:7]
	v_dual_mov_b32 v42, v41 :: v_dual_mul_f32 v59, 0x3fb8aa3b, v12
	v_mul_f32_e32 v80, 0x3fb8aa3b, v13
	s_delay_alu instid0(VALU_DEP_4) | instskip(NEXT) | instid1(VALU_DEP_4)
	v_fma_f32 v83, 0x3fb8aa3b, v8, -v38
	v_add_nc_u64_e32 v[34:35], v[34:35], v[40:41]
	v_mov_b32_e32 v40, v41
	v_rndne_f32_e32 v84, v38
	v_fma_f32 v85, 0x3fb8aa3b, v9, -v39
	v_rndne_f32_e32 v86, v39
	s_clause 0x1
	scratch_store_b32 off, v41, off
	scratch_store_b96 off, v[40:42], off offset:4
	v_dual_cndmask_b32 v35, v37, v35, s3 :: v_dual_cndmask_b32 v34, v36, v34, s3
	s_wait_xcnt 0x0
	v_dual_mul_f32 v40, 0x3fb8aa3b, v10 :: v_dual_mul_f32 v41, 0x3fb8aa3b, v11
	v_rndne_f32_e32 v94, v80
	v_fmac_f32_e32 v83, 0x32a5705f, v8
	flat_load_b128 v[34:37], v[34:35]
	v_fma_f32 v87, 0x3fb8aa3b, v10, -v40
	v_dual_sub_f32 v38, v38, v84 :: v_dual_fmac_f32 v85, 0x32a5705f, v9
	v_rndne_f32_e32 v88, v40
	v_rndne_f32_e32 v90, v41
	v_fma_f32 v93, 0x3fb8aa3b, v13, -v80
	v_sub_f32_e32 v39, v39, v86
	v_sub_f32_e32 v80, v80, v94
	v_dual_fmac_f32 v87, 0x32a5705f, v10 :: v_dual_add_f32 v38, v38, v83
	v_dual_sub_f32 v14, v14, v22 :: v_dual_sub_f32 v15, v15, v23
	v_fma_f32 v89, 0x3fb8aa3b, v11, -v41
	v_dual_sub_f32 v40, v40, v88 :: v_dual_sub_f32 v41, v41, v90
	v_add_f32_e32 v39, v39, v85
	v_exp_f32_e32 v38, v38
	v_dual_mul_f32 v81, 0x3fb8aa3b, v14 :: v_dual_mul_f32 v82, 0x3fb8aa3b, v15
	v_fma_f32 v91, 0x3fb8aa3b, v12, -v59
	v_cvt_i32_f32_e32 v84, v84
	v_exp_f32_e32 v39, v39
	v_rndne_f32_e32 v92, v59
	v_rndne_f32_e32 v98, v82
	v_cvt_i32_f32_e32 v86, v86
	v_fmac_f32_e32 v89, 0x32a5705f, v11
	v_dual_fmac_f32 v91, 0x32a5705f, v12 :: v_dual_add_f32 v40, v40, v87
	v_ldexp_f32 v38, v38, v84
	v_cmp_ngt_f32_e32 vcc_lo, 0xc2ce8ed0, v8
	v_dual_sub_f32 v59, v59, v92 :: v_dual_add_nc_u32 v42, 0x2000, v58
	v_rndne_f32_e32 v96, v81
	v_fma_f32 v97, 0x3fb8aa3b, v15, -v82
	v_dual_fmac_f32 v93, 0x32a5705f, v13 :: v_dual_cndmask_b32 v38, 0, v38
	v_sub_f32_e32 v82, v82, v98
	v_exp_f32_e32 v40, v40
	v_ldexp_f32 v39, v39, v86
	v_cmp_ngt_f32_e32 vcc_lo, 0xc2ce8ed0, v9
	v_add_f32_e32 v41, v41, v89
	v_cvt_i32_f32_e32 v88, v88
	v_fma_f32 v95, 0x3fb8aa3b, v14, -v81
	v_dual_sub_f32 v81, v81, v96 :: v_dual_add_f32 v59, v59, v91
	v_cndmask_b32_e32 v39, 0, v39, vcc_lo
	v_exp_f32_e32 v41, v41
	v_cvt_i32_f32_e32 v90, v90
	v_ldexp_f32 v40, v40, v88
	v_cmp_ngt_f32_e32 vcc_lo, 0xc2ce8ed0, v10
	v_dual_fmac_f32 v95, 0x32a5705f, v14 :: v_dual_add_f32 v80, v80, v93
	v_exp_f32_e32 v59, v59
	v_cvt_i32_f32_e32 v92, v92
	v_dual_fmac_f32 v97, 0x32a5705f, v15 :: v_dual_cndmask_b32 v40, 0, v40
	v_ldexp_f32 v41, v41, v90
	v_cmp_ngt_f32_e32 vcc_lo, 0xc2ce8ed0, v11
	s_delay_alu instid0(VALU_DEP_3)
	v_dual_add_f32 v81, v81, v95 :: v_dual_add_f32 v82, v82, v97
	v_exp_f32_e32 v80, v80
	v_cvt_i32_f32_e32 v94, v94
	v_ldexp_f32 v59, v59, v92
	v_cndmask_b32_e32 v41, 0, v41, vcc_lo
	v_cmp_ngt_f32_e32 vcc_lo, 0xc2ce8ed0, v12
	v_exp_f32_e32 v81, v81
	v_cvt_i32_f32_e32 v96, v96
	v_ldexp_f32 v80, v80, v94
	v_exp_f32_e32 v82, v82
	v_cndmask_b32_e32 v59, 0, v59, vcc_lo
	v_cmp_ngt_f32_e32 vcc_lo, 0xc2ce8ed0, v13
	v_cvt_i32_f32_e32 v98, v98
	v_ldexp_f32 v81, v81, v96
	v_cndmask_b32_e32 v80, 0, v80, vcc_lo
	v_cmp_ngt_f32_e32 vcc_lo, 0xc2ce8ed0, v14
	s_delay_alu instid0(VALU_DEP_4) | instskip(NEXT) | instid1(VALU_DEP_4)
	v_ldexp_f32 v82, v82, v98
	v_cndmask_b32_e32 v81, 0, v81, vcc_lo
	v_cmp_ngt_f32_e32 vcc_lo, 0xc2ce8ed0, v15
	s_delay_alu instid0(VALU_DEP_3)
	v_cndmask_b32_e32 v82, 0, v82, vcc_lo
	v_cmp_nlt_f32_e32 vcc_lo, 0x42b17218, v8
	v_cndmask_b32_e32 v8, 0x7f800000, v38, vcc_lo
	v_cmp_nlt_f32_e32 vcc_lo, 0x42b17218, v9
	;; [unrolled: 2-line block ×8, first 2 shown]
	s_delay_alu instid0(VALU_DEP_2)
	v_dual_fmac_f32 v30, v6, v14 :: v_dual_fmac_f32 v29, v5, v13
	v_dual_fmac_f32 v28, v4, v12 :: v_dual_fmac_f32 v27, v3, v11
	;; [unrolled: 1-line block ×3, first 2 shown]
	v_fmac_f32_e32 v24, v0, v8
	v_cvt_f16_f32_e32 v0, v8
	v_cvt_f16_f32_e32 v1, v9
	;; [unrolled: 1-line block ×5, first 2 shown]
	v_and_b32_e32 v0, 0xffff, v0
	v_and_b32_e32 v1, 0xffff, v1
	;; [unrolled: 1-line block ×4, first 2 shown]
	v_cvt_f16_f32_e32 v5, v13
	v_mul_u32_u24_e32 v0, 0x10001, v0
	v_mul_u32_u24_e32 v1, 0x10001, v1
	;; [unrolled: 1-line block ×4, first 2 shown]
	v_and_b32_e32 v4, 0xffff, v4
	v_pk_mul_f16 v59, v74, v0
	v_pk_mul_f16 v88, v75, v0
	;; [unrolled: 1-line block ×8, first 2 shown]
	v_and_b32_e32 v5, 0xffff, v5
	v_mul_u32_u24_e32 v4, 0x10001, v4
	s_delay_alu instid0(VALU_DEP_2) | instskip(NEXT) | instid1(VALU_DEP_2)
	v_mul_u32_u24_e32 v5, 0x10001, v5
	v_pk_mul_f16 v95, v67, v4
	s_delay_alu instid0(VALU_DEP_2)
	v_pk_mul_f16 v96, v64, v5
	v_pk_mul_f16 v97, v65, v5
	s_wait_loadcnt_dscnt 0x0
	ds_store_b128 v33, v[34:37] offset:9216
	s_wait_storecnt_dscnt 0x0
	s_barrier_signal -1
	s_barrier_wait -1
	ds_load_b128 v[0:3], v57
	v_cndmask_b32_e32 v15, 0x7f800000, v82, vcc_lo
	v_pk_mul_f16 v33, v66, v4
	s_delay_alu instid0(VALU_DEP_2) | instskip(SKIP_2) | instid1(VALU_DEP_2)
	v_fmac_f32_e32 v31, v7, v15
	v_cvt_f16_f32_e32 v6, v14
	v_cvt_f16_f32_e32 v7, v15
	v_and_b32_e32 v6, 0xffff, v6
	s_delay_alu instid0(VALU_DEP_2) | instskip(NEXT) | instid1(VALU_DEP_2)
	v_and_b32_e32 v7, 0xffff, v7
	v_mul_u32_u24_e32 v6, 0x10001, v6
	s_delay_alu instid0(VALU_DEP_2) | instskip(NEXT) | instid1(VALU_DEP_2)
	v_mul_u32_u24_e32 v8, 0x10001, v7
	v_pk_mul_f16 v98, v62, v6
	v_pk_mul_f16 v99, v63, v6
	ds_load_b128 v[4:7], v57 offset:16
	v_pk_mul_f16 v100, v60, v8
	v_pk_mul_f16 v101, v61, v8
	ds_load_2addr_b64 v[8:11], v42 offset0:128 offset1:146
	ds_load_b128 v[12:15], v57 offset:32
	s_wait_xcnt 0x0
	ds_load_b128 v[34:37], v57 offset:48
	ds_load_2addr_b64 v[38:41], v42 offset0:164 offset1:182
	ds_load_2addr_b64 v[60:63], v42 offset0:200 offset1:218
	ds_load_b128 v[64:67], v57 offset:64
	ds_load_b128 v[68:71], v57 offset:80
	ds_load_2addr_b64 v[72:75], v42 offset0:236 offset1:254
	ds_load_b128 v[80:83], v57 offset:96
	ds_load_b128 v[84:87], v57 offset:112
	s_wait_dscnt 0xb
	v_dual_lshrrev_b32 v42, 16, v0 :: v_dual_lshrrev_b32 v102, 16, v1
	v_lshrrev_b32_e32 v103, 16, v2
	v_and_b32_e32 v0, 0xffff, v0
	v_and_b32_e32 v1, 0xffff, v1
	v_lshrrev_b32_e32 v104, 16, v3
	v_and_b32_e32 v2, 0xffff, v2
	v_and_b32_e32 v3, 0xffff, v3
	v_mul_u32_u24_e32 v0, 0x10001, v0
	v_mul_u32_u24_e32 v1, 0x10001, v1
	v_mul_u32_u24_e32 v42, 0x10001, v42
	s_wait_dscnt 0x8
	v_dual_lshrrev_b32 v109, 16, v12 :: v_dual_lshrrev_b32 v110, 16, v13
	v_lshrrev_b32_e32 v111, 16, v14
	v_and_b32_e32 v12, 0xffff, v12
	v_and_b32_e32 v13, 0xffff, v13
	v_dual_lshrrev_b32 v105, 16, v4 :: v_dual_lshrrev_b32 v106, 16, v5
	v_lshrrev_b32_e32 v107, 16, v6
	v_and_b32_e32 v4, 0xffff, v4
	v_and_b32_e32 v5, 0xffff, v5
	v_lshrrev_b32_e32 v108, 16, v7
	v_and_b32_e32 v6, 0xffff, v6
	v_and_b32_e32 v7, 0xffff, v7
	v_mul_u32_u24_e32 v2, 0x10001, v2
	v_mul_u32_u24_e32 v3, 0x10001, v3
	;; [unrolled: 1-line block ×4, first 2 shown]
	v_pk_fma_f16 v59, v8, v0, v59
	v_pk_fma_f16 v91, v8, v1, v91
	;; [unrolled: 1-line block ×4, first 2 shown]
	s_wait_dscnt 0x7
	v_dual_lshrrev_b32 v112, 16, v15 :: v_dual_lshrrev_b32 v113, 16, v34
	v_and_b32_e32 v14, 0xffff, v14
	v_and_b32_e32 v15, 0xffff, v15
	v_dual_lshrrev_b32 v114, 16, v35 :: v_dual_lshrrev_b32 v115, 16, v36
	v_and_b32_e32 v34, 0xffff, v34
	v_and_b32_e32 v35, 0xffff, v35
	v_mul_u32_u24_e32 v102, 0x10001, v102
	v_mul_u32_u24_e32 v103, 0x10001, v103
	;; [unrolled: 1-line block ×7, first 2 shown]
	v_pk_fma_f16 v33, v8, v2, v33
	v_pk_fma_f16 v98, v8, v3, v98
	;; [unrolled: 1-line block ×6, first 2 shown]
	s_wait_dscnt 0x4
	v_dual_lshrrev_b32 v116, 16, v37 :: v_dual_lshrrev_b32 v117, 16, v64
	v_and_b32_e32 v36, 0xffff, v36
	v_and_b32_e32 v37, 0xffff, v37
	v_dual_lshrrev_b32 v118, 16, v65 :: v_dual_lshrrev_b32 v119, 16, v66
	v_and_b32_e32 v64, 0xffff, v64
	v_and_b32_e32 v65, 0xffff, v65
	v_mul_u32_u24_e32 v105, 0x10001, v105
	v_mul_u32_u24_e32 v108, 0x10001, v108
	;; [unrolled: 1-line block ×6, first 2 shown]
	v_pk_fma_f16 v89, v8, v42, v89
	v_pk_fma_f16 v42, v9, v42, v90
	;; [unrolled: 1-line block ×9, first 2 shown]
	s_wait_dscnt 0x3
	v_dual_lshrrev_b32 v120, 16, v67 :: v_dual_lshrrev_b32 v121, 16, v68
	v_and_b32_e32 v66, 0xffff, v66
	v_and_b32_e32 v67, 0xffff, v67
	v_dual_lshrrev_b32 v122, 16, v69 :: v_dual_lshrrev_b32 v123, 16, v70
	v_and_b32_e32 v68, 0xffff, v68
	v_and_b32_e32 v69, 0xffff, v69
	v_mul_u32_u24_e32 v106, 0x10001, v106
	v_mul_u32_u24_e32 v107, 0x10001, v107
	;; [unrolled: 1-line block ×8, first 2 shown]
	v_pk_fma_f16 v93, v8, v102, v93
	v_pk_fma_f16 v96, v8, v103, v96
	;; [unrolled: 1-line block ×12, first 2 shown]
	s_wait_dscnt 0x1
	v_dual_lshrrev_b32 v124, 16, v71 :: v_dual_lshrrev_b32 v125, 16, v80
	v_and_b32_e32 v70, 0xffff, v70
	v_and_b32_e32 v71, 0xffff, v71
	v_dual_lshrrev_b32 v126, 16, v81 :: v_dual_lshrrev_b32 v127, 16, v82
	v_and_b32_e32 v80, 0xffff, v80
	v_and_b32_e32 v81, 0xffff, v81
	v_mul_u32_u24_e32 v110, 0x10001, v110
	v_mul_u32_u24_e32 v111, 0x10001, v111
	;; [unrolled: 1-line block ×8, first 2 shown]
	v_pk_fma_f16 v91, v10, v5, v91
	v_pk_fma_f16 v92, v10, v106, v93
	;; [unrolled: 1-line block ×15, first 2 shown]
	v_lshrrev_b32_e32 v128, 16, v83
	v_and_b32_e32 v82, 0xffff, v82
	v_and_b32_e32 v83, 0xffff, v83
	v_mul_u32_u24_e32 v114, 0x10001, v114
	v_mul_u32_u24_e32 v115, 0x10001, v115
	;; [unrolled: 1-line block ×8, first 2 shown]
	v_pk_fma_f16 v11, v38, v13, v91
	v_pk_fma_f16 v42, v38, v110, v92
	;; [unrolled: 1-line block ×14, first 2 shown]
	v_mul_u32_u24_e32 v118, 0x10001, v118
	v_mul_u32_u24_e32 v119, 0x10001, v119
	;; [unrolled: 1-line block ×6, first 2 shown]
	v_pk_fma_f16 v59, v38, v111, v93
	v_pk_fma_f16 v88, v38, v15, v94
	v_pk_fma_f16 v11, v40, v35, v11
	v_pk_fma_f16 v12, v40, v114, v42
	v_pk_fma_f16 v13, v40, v36, v33
	v_pk_fma_f16 v8, v40, v116, v8
	v_pk_fma_f16 v5, v41, v114, v5
	v_pk_fma_f16 v6, v41, v115, v6
	v_pk_fma_f16 v9, v60, v64, v9
	v_pk_fma_f16 v10, v60, v117, v10
	v_pk_fma_f16 v4, v61, v117, v4
	v_pk_fma_f16 v7, v61, v120, v7
	v_pk_fma_f16 v2, v63, v70, v2
	v_pk_fma_f16 v3, v63, v71, v3
	v_pk_fma_f16 v33, v73, v80, v0
	v_pk_fma_f16 v34, v73, v81, v1
	s_wait_dscnt 0x0
	v_lshrrev_b32_e32 v0, 16, v84
	v_and_b32_e32 v1, 0xffff, v84
	v_mul_u32_u24_e32 v122, 0x10001, v122
	v_mul_u32_u24_e32 v123, 0x10001, v123
	;; [unrolled: 1-line block ×4, first 2 shown]
	v_pk_fma_f16 v14, v40, v115, v59
	v_pk_fma_f16 v15, v40, v37, v88
	v_pk_fma_f16 v11, v60, v65, v11
	v_pk_fma_f16 v12, v60, v118, v12
	v_pk_fma_f16 v8, v60, v120, v8
	v_pk_fma_f16 v5, v61, v118, v5
	v_pk_fma_f16 v6, v61, v119, v6
	v_pk_fma_f16 v9, v62, v68, v9
	v_pk_fma_f16 v10, v62, v121, v10
	v_pk_fma_f16 v4, v63, v121, v4
	v_pk_fma_f16 v7, v63, v124, v7
	v_pk_fma_f16 v35, v73, v82, v2
	v_pk_fma_f16 v36, v73, v83, v3
	v_dual_lshrrev_b32 v2, 16, v85 :: v_dual_lshrrev_b32 v3, 16, v86
	v_mul_u32_u24_e32 v39, 0x10001, v1
	v_and_b32_e32 v1, 0xffff, v86
	v_mul_u32_u24_e32 v40, 0x10001, v0
	v_and_b32_e32 v0, 0xffff, v87
	v_mul_u32_u24_e32 v126, 0x10001, v126
	v_mul_u32_u24_e32 v127, 0x10001, v127
	v_pk_fma_f16 v13, v60, v66, v13
	v_pk_fma_f16 v14, v60, v119, v14
	;; [unrolled: 1-line block ×12, first 2 shown]
	v_and_b32_e32 v38, 0xffff, v85
	v_mul_u32_u24_e32 v41, 0x10001, v2
	v_mul_u32_u24_e32 v42, 0x10001, v1
	;; [unrolled: 1-line block ×4, first 2 shown]
	ds_load_b128 v[0:3], v57 offset:128
	v_lshrrev_b32_e32 v7, 16, v87
	v_pk_fma_f16 v13, v62, v70, v13
	v_pk_fma_f16 v14, v62, v123, v14
	v_pk_fma_f16 v15, v62, v71, v15
	v_pk_fma_f16 v11, v72, v81, v11
	v_pk_fma_f16 v12, v72, v126, v12
	v_pk_fma_f16 v8, v72, v128, v8
	v_pk_fma_f16 v5, v73, v126, v5
	v_pk_fma_f16 v6, v73, v127, v6
	v_mul_u32_u24_e32 v38, 0x10001, v38
	v_mul_u32_u24_e32 v61, 0x10001, v7
	v_pk_fma_f16 v62, v74, v39, v9
	v_pk_fma_f16 v63, v74, v40, v10
	;; [unrolled: 1-line block ×4, first 2 shown]
	v_add_nc_u32_e32 v40, 0x2800, v58
	v_pk_fma_f16 v64, v74, v38, v11
	v_pk_fma_f16 v12, v74, v41, v12
	;; [unrolled: 1-line block ×6, first 2 shown]
	ds_load_2addr_b64 v[4:7], v40 offset0:16 offset1:34
	ds_load_b128 v[8:11], v57 offset:144
	v_pk_fma_f16 v13, v72, v82, v13
	v_pk_fma_f16 v14, v72, v127, v14
	v_pk_fma_f16 v15, v72, v83, v15
	v_pk_fma_f16 v35, v75, v42, v35
	v_pk_fma_f16 v36, v75, v60, v36
	v_pk_fma_f16 v13, v74, v42, v13
	v_pk_fma_f16 v14, v74, v59, v14
	s_wait_dscnt 0x2
	v_lshrrev_b32_e32 v42, 16, v0
	v_and_b32_e32 v0, 0xffff, v0
	v_lshrrev_b32_e32 v59, 16, v1
	v_and_b32_e32 v1, 0xffff, v1
	v_pk_fma_f16 v15, v74, v60, v15
	v_pk_fma_f16 v37, v75, v61, v37
	v_dual_lshrrev_b32 v60, 16, v2 :: v_dual_lshrrev_b32 v61, 16, v3
	v_mul_u32_u24_e32 v0, 0x10001, v0
	v_and_b32_e32 v2, 0xffff, v2
	v_and_b32_e32 v3, 0xffff, v3
	v_mul_u32_u24_e32 v1, 0x10001, v1
	v_mul_u32_u24_e32 v42, 0x10001, v42
	;; [unrolled: 1-line block ×6, first 2 shown]
	s_wait_dscnt 0x1
	v_pk_fma_f16 v62, v4, v0, v62
	v_pk_fma_f16 v64, v4, v1, v64
	;; [unrolled: 1-line block ×4, first 2 shown]
	s_wait_dscnt 0x0
	v_lshrrev_b32_e32 v0, 16, v8
	v_mul_u32_u24_e32 v61, 0x10001, v61
	v_and_b32_e32 v1, 0xffff, v8
	v_pk_fma_f16 v13, v4, v2, v13
	v_pk_fma_f16 v15, v4, v3, v15
	;; [unrolled: 1-line block ×8, first 2 shown]
	v_dual_lshrrev_b32 v2, 16, v9 :: v_dual_lshrrev_b32 v3, 16, v10
	v_mul_u32_u24_e32 v37, 0x10001, v1
	v_and_b32_e32 v1, 0xffff, v10
	v_mul_u32_u24_e32 v10, 0x10001, v0
	v_and_b32_e32 v0, 0xffff, v11
	v_pk_fma_f16 v63, v4, v42, v63
	v_pk_fma_f16 v12, v4, v59, v12
	;; [unrolled: 1-line block ×3, first 2 shown]
	v_lshrrev_b32_e32 v8, 16, v11
	v_and_b32_e32 v9, 0xffff, v9
	v_mul_u32_u24_e32 v11, 0x10001, v2
	v_mul_u32_u24_e32 v42, 0x10001, v1
	v_mul_u32_u24_e32 v59, 0x10001, v3
	v_mul_u32_u24_e32 v60, 0x10001, v0
	ds_load_b128 v[0:3], v57 offset:160
	v_pk_fma_f16 v4, v4, v61, v65
	v_mul_u32_u24_e32 v9, 0x10001, v9
	v_mul_u32_u24_e32 v61, 0x10001, v8
	v_pk_fma_f16 v62, v6, v37, v62
	v_pk_fma_f16 v63, v6, v10, v63
	;; [unrolled: 1-line block ×14, first 2 shown]
	ds_load_2addr_b64 v[8:11], v40 offset0:52 offset1:70
	v_pk_fma_f16 v36, v7, v60, v36
	v_pk_fma_f16 v41, v7, v61, v5
	ds_load_b128 v[4:7], v57 offset:176
	s_wait_dscnt 0x2
	v_lshrrev_b32_e32 v42, 16, v0
	v_and_b32_e32 v0, 0xffff, v0
	v_dual_lshrrev_b32 v59, 16, v1 :: v_dual_lshrrev_b32 v60, 16, v2
	v_and_b32_e32 v1, 0xffff, v1
	v_lshrrev_b32_e32 v61, 16, v3
	s_delay_alu instid0(VALU_DEP_4)
	v_mul_u32_u24_e32 v0, 0x10001, v0
	v_and_b32_e32 v2, 0xffff, v2
	v_and_b32_e32 v3, 0xffff, v3
	v_mul_u32_u24_e32 v1, 0x10001, v1
	v_mul_u32_u24_e32 v42, 0x10001, v42
	v_mul_u32_u24_e32 v59, 0x10001, v59
	v_mul_u32_u24_e32 v2, 0x10001, v2
	v_mul_u32_u24_e32 v60, 0x10001, v60
	v_mul_u32_u24_e32 v3, 0x10001, v3
	s_wait_dscnt 0x1
	v_pk_fma_f16 v62, v8, v0, v62
	v_pk_fma_f16 v64, v8, v1, v64
	;; [unrolled: 1-line block ×4, first 2 shown]
	s_wait_dscnt 0x0
	v_lshrrev_b32_e32 v0, 16, v4
	v_mul_u32_u24_e32 v61, 0x10001, v61
	v_and_b32_e32 v1, 0xffff, v4
	v_pk_fma_f16 v13, v8, v2, v13
	v_pk_fma_f16 v15, v8, v3, v15
	;; [unrolled: 1-line block ×8, first 2 shown]
	v_dual_lshrrev_b32 v2, 16, v5 :: v_dual_lshrrev_b32 v3, 16, v6
	v_mul_u32_u24_e32 v41, 0x10001, v1
	v_and_b32_e32 v1, 0xffff, v6
	v_mul_u32_u24_e32 v6, 0x10001, v0
	v_and_b32_e32 v0, 0xffff, v7
	v_pk_fma_f16 v63, v8, v42, v63
	v_pk_fma_f16 v12, v8, v59, v12
	;; [unrolled: 1-line block ×3, first 2 shown]
	v_lshrrev_b32_e32 v4, 16, v7
	v_and_b32_e32 v5, 0xffff, v5
	v_mul_u32_u24_e32 v7, 0x10001, v2
	v_mul_u32_u24_e32 v42, 0x10001, v1
	;; [unrolled: 1-line block ×4, first 2 shown]
	ds_load_b128 v[0:3], v57 offset:192
	v_pk_fma_f16 v8, v8, v61, v65
	v_mul_u32_u24_e32 v5, 0x10001, v5
	v_mul_u32_u24_e32 v61, 0x10001, v4
	v_pk_fma_f16 v62, v10, v41, v62
	v_pk_fma_f16 v63, v10, v6, v63
	;; [unrolled: 1-line block ×14, first 2 shown]
	ds_load_2addr_b64 v[4:7], v40 offset0:88 offset1:106
	v_pk_fma_f16 v36, v11, v60, v36
	v_pk_fma_f16 v41, v11, v61, v9
	ds_load_b128 v[8:11], v57 offset:208
	s_wait_dscnt 0x2
	v_lshrrev_b32_e32 v42, 16, v0
	v_and_b32_e32 v0, 0xffff, v0
	v_dual_lshrrev_b32 v59, 16, v1 :: v_dual_lshrrev_b32 v60, 16, v2
	v_and_b32_e32 v1, 0xffff, v1
	v_lshrrev_b32_e32 v61, 16, v3
	s_delay_alu instid0(VALU_DEP_4)
	v_mul_u32_u24_e32 v0, 0x10001, v0
	v_and_b32_e32 v2, 0xffff, v2
	v_and_b32_e32 v3, 0xffff, v3
	v_mul_u32_u24_e32 v1, 0x10001, v1
	v_mul_u32_u24_e32 v42, 0x10001, v42
	v_mul_u32_u24_e32 v59, 0x10001, v59
	v_mul_u32_u24_e32 v2, 0x10001, v2
	v_mul_u32_u24_e32 v60, 0x10001, v60
	v_mul_u32_u24_e32 v3, 0x10001, v3
	s_wait_dscnt 0x1
	v_pk_fma_f16 v62, v4, v0, v62
	v_pk_fma_f16 v64, v4, v1, v64
	;; [unrolled: 1-line block ×4, first 2 shown]
	s_wait_dscnt 0x0
	v_lshrrev_b32_e32 v0, 16, v8
	v_mul_u32_u24_e32 v61, 0x10001, v61
	v_and_b32_e32 v1, 0xffff, v8
	v_pk_fma_f16 v13, v4, v2, v13
	v_pk_fma_f16 v15, v4, v3, v15
	;; [unrolled: 1-line block ×8, first 2 shown]
	v_dual_lshrrev_b32 v2, 16, v9 :: v_dual_lshrrev_b32 v3, 16, v10
	v_mul_u32_u24_e32 v41, 0x10001, v1
	v_and_b32_e32 v1, 0xffff, v10
	v_mul_u32_u24_e32 v10, 0x10001, v0
	v_and_b32_e32 v0, 0xffff, v11
	v_pk_fma_f16 v63, v4, v42, v63
	v_pk_fma_f16 v12, v4, v59, v12
	;; [unrolled: 1-line block ×3, first 2 shown]
	v_lshrrev_b32_e32 v8, 16, v11
	v_and_b32_e32 v9, 0xffff, v9
	v_mul_u32_u24_e32 v11, 0x10001, v2
	v_mul_u32_u24_e32 v42, 0x10001, v1
	;; [unrolled: 1-line block ×4, first 2 shown]
	ds_load_b128 v[0:3], v57 offset:224
	v_pk_fma_f16 v4, v4, v61, v65
	v_mul_u32_u24_e32 v9, 0x10001, v9
	v_mul_u32_u24_e32 v61, 0x10001, v8
	v_pk_fma_f16 v62, v6, v41, v62
	v_pk_fma_f16 v63, v6, v10, v63
	;; [unrolled: 1-line block ×14, first 2 shown]
	ds_load_2addr_b64 v[8:11], v40 offset0:124 offset1:142
	v_pk_fma_f16 v36, v7, v60, v36
	v_pk_fma_f16 v41, v7, v61, v5
	ds_load_b128 v[4:7], v57 offset:240
	s_wait_dscnt 0x2
	v_lshrrev_b32_e32 v42, 16, v0
	v_and_b32_e32 v0, 0xffff, v0
	v_dual_lshrrev_b32 v59, 16, v1 :: v_dual_lshrrev_b32 v60, 16, v2
	v_and_b32_e32 v1, 0xffff, v1
	v_lshrrev_b32_e32 v61, 16, v3
	s_delay_alu instid0(VALU_DEP_4)
	v_mul_u32_u24_e32 v0, 0x10001, v0
	v_and_b32_e32 v2, 0xffff, v2
	v_and_b32_e32 v3, 0xffff, v3
	v_mul_u32_u24_e32 v1, 0x10001, v1
	v_mul_u32_u24_e32 v42, 0x10001, v42
	;; [unrolled: 1-line block ×6, first 2 shown]
	s_wait_dscnt 0x1
	v_pk_fma_f16 v62, v8, v0, v62
	v_pk_fma_f16 v64, v8, v1, v64
	;; [unrolled: 1-line block ×4, first 2 shown]
	s_wait_dscnt 0x0
	v_lshrrev_b32_e32 v0, 16, v4
	v_mul_u32_u24_e32 v61, 0x10001, v61
	v_and_b32_e32 v1, 0xffff, v4
	v_pk_fma_f16 v13, v8, v2, v13
	v_pk_fma_f16 v15, v8, v3, v15
	;; [unrolled: 1-line block ×8, first 2 shown]
	v_dual_lshrrev_b32 v2, 16, v5 :: v_dual_lshrrev_b32 v3, 16, v6
	v_mul_u32_u24_e32 v41, 0x10001, v1
	v_and_b32_e32 v1, 0xffff, v6
	v_mul_u32_u24_e32 v6, 0x10001, v0
	v_and_b32_e32 v0, 0xffff, v7
	v_pk_fma_f16 v63, v8, v42, v63
	v_pk_fma_f16 v12, v8, v59, v12
	;; [unrolled: 1-line block ×3, first 2 shown]
	v_lshrrev_b32_e32 v4, 16, v7
	v_and_b32_e32 v5, 0xffff, v5
	v_mul_u32_u24_e32 v7, 0x10001, v2
	v_mul_u32_u24_e32 v42, 0x10001, v1
	;; [unrolled: 1-line block ×4, first 2 shown]
	ds_load_b128 v[0:3], v57 offset:256
	v_pk_fma_f16 v8, v8, v61, v65
	v_mul_u32_u24_e32 v5, 0x10001, v5
	v_mul_u32_u24_e32 v61, 0x10001, v4
	v_pk_fma_f16 v62, v10, v41, v62
	v_pk_fma_f16 v63, v10, v6, v63
	;; [unrolled: 1-line block ×14, first 2 shown]
	ds_load_2addr_b64 v[4:7], v40 offset0:160 offset1:178
	v_pk_fma_f16 v36, v11, v60, v36
	v_pk_fma_f16 v41, v11, v61, v9
	ds_load_b128 v[8:11], v57 offset:272
	s_wait_dscnt 0x2
	v_lshrrev_b32_e32 v42, 16, v0
	v_and_b32_e32 v0, 0xffff, v0
	v_dual_lshrrev_b32 v59, 16, v1 :: v_dual_lshrrev_b32 v60, 16, v2
	v_and_b32_e32 v1, 0xffff, v1
	v_lshrrev_b32_e32 v61, 16, v3
	s_delay_alu instid0(VALU_DEP_4)
	v_mul_u32_u24_e32 v0, 0x10001, v0
	v_and_b32_e32 v2, 0xffff, v2
	v_and_b32_e32 v3, 0xffff, v3
	v_mul_u32_u24_e32 v1, 0x10001, v1
	v_mul_u32_u24_e32 v42, 0x10001, v42
	;; [unrolled: 1-line block ×6, first 2 shown]
	s_wait_dscnt 0x1
	v_pk_fma_f16 v62, v4, v0, v62
	v_pk_fma_f16 v64, v4, v1, v64
	;; [unrolled: 1-line block ×4, first 2 shown]
	s_wait_dscnt 0x0
	v_lshrrev_b32_e32 v0, 16, v8
	v_mul_u32_u24_e32 v61, 0x10001, v61
	v_and_b32_e32 v1, 0xffff, v8
	v_pk_fma_f16 v13, v4, v2, v13
	v_pk_fma_f16 v15, v4, v3, v15
	v_pk_fma_f16 v37, v5, v42, v37
	v_pk_fma_f16 v38, v5, v59, v38
	v_pk_fma_f16 v35, v5, v2, v35
	v_pk_fma_f16 v39, v5, v60, v39
	v_pk_fma_f16 v36, v5, v3, v36
	v_pk_fma_f16 v5, v5, v61, v41
	v_dual_lshrrev_b32 v2, 16, v9 :: v_dual_lshrrev_b32 v3, 16, v10
	v_mul_u32_u24_e32 v41, 0x10001, v1
	v_and_b32_e32 v1, 0xffff, v10
	v_mul_u32_u24_e32 v10, 0x10001, v0
	v_and_b32_e32 v0, 0xffff, v11
	v_pk_fma_f16 v63, v4, v42, v63
	v_pk_fma_f16 v12, v4, v59, v12
	;; [unrolled: 1-line block ×3, first 2 shown]
	v_lshrrev_b32_e32 v8, 16, v11
	v_and_b32_e32 v9, 0xffff, v9
	v_mul_u32_u24_e32 v11, 0x10001, v2
	v_mul_u32_u24_e32 v42, 0x10001, v1
	;; [unrolled: 1-line block ×4, first 2 shown]
	ds_load_b128 v[0:3], v57 offset:288
	v_pk_fma_f16 v4, v4, v61, v65
	v_mul_u32_u24_e32 v9, 0x10001, v9
	v_mul_u32_u24_e32 v61, 0x10001, v8
	v_pk_fma_f16 v62, v6, v41, v62
	v_pk_fma_f16 v63, v6, v10, v63
	;; [unrolled: 1-line block ×14, first 2 shown]
	ds_load_2addr_b64 v[8:11], v40 offset0:196 offset1:214
	v_pk_fma_f16 v36, v7, v60, v36
	v_pk_fma_f16 v41, v7, v61, v5
	ds_load_b128 v[4:7], v57 offset:304
	s_wait_dscnt 0x2
	v_lshrrev_b32_e32 v42, 16, v0
	v_and_b32_e32 v0, 0xffff, v0
	v_dual_lshrrev_b32 v59, 16, v1 :: v_dual_lshrrev_b32 v60, 16, v2
	v_and_b32_e32 v1, 0xffff, v1
	v_lshrrev_b32_e32 v61, 16, v3
	s_delay_alu instid0(VALU_DEP_4)
	v_mul_u32_u24_e32 v0, 0x10001, v0
	v_and_b32_e32 v2, 0xffff, v2
	v_and_b32_e32 v3, 0xffff, v3
	v_mul_u32_u24_e32 v1, 0x10001, v1
	v_mul_u32_u24_e32 v42, 0x10001, v42
	;; [unrolled: 1-line block ×6, first 2 shown]
	s_wait_dscnt 0x1
	v_pk_fma_f16 v62, v8, v0, v62
	v_pk_fma_f16 v64, v8, v1, v64
	;; [unrolled: 1-line block ×4, first 2 shown]
	s_wait_dscnt 0x0
	v_lshrrev_b32_e32 v0, 16, v4
	v_mul_u32_u24_e32 v61, 0x10001, v61
	v_and_b32_e32 v1, 0xffff, v4
	v_pk_fma_f16 v13, v8, v2, v13
	v_pk_fma_f16 v15, v8, v3, v15
	;; [unrolled: 1-line block ×8, first 2 shown]
	v_dual_lshrrev_b32 v2, 16, v5 :: v_dual_lshrrev_b32 v3, 16, v6
	v_mul_u32_u24_e32 v41, 0x10001, v1
	v_and_b32_e32 v1, 0xffff, v6
	v_mul_u32_u24_e32 v6, 0x10001, v0
	v_and_b32_e32 v0, 0xffff, v7
	v_pk_fma_f16 v63, v8, v42, v63
	v_pk_fma_f16 v12, v8, v59, v12
	v_pk_fma_f16 v14, v8, v60, v14
	v_lshrrev_b32_e32 v4, 16, v7
	v_and_b32_e32 v5, 0xffff, v5
	v_mul_u32_u24_e32 v7, 0x10001, v2
	v_mul_u32_u24_e32 v42, 0x10001, v1
	;; [unrolled: 1-line block ×4, first 2 shown]
	ds_load_b128 v[0:3], v57 offset:320
	v_pk_fma_f16 v8, v8, v61, v65
	v_mul_u32_u24_e32 v5, 0x10001, v5
	v_mul_u32_u24_e32 v61, 0x10001, v4
	v_pk_fma_f16 v62, v10, v41, v62
	v_pk_fma_f16 v63, v10, v6, v63
	;; [unrolled: 1-line block ×14, first 2 shown]
	ds_load_2addr_b64 v[4:7], v40 offset0:232 offset1:250
	v_pk_fma_f16 v36, v11, v60, v36
	v_pk_fma_f16 v40, v11, v61, v9
	ds_load_b128 v[8:11], v57 offset:336
	s_wait_dscnt 0x2
	v_lshrrev_b32_e32 v41, 16, v0
	v_and_b32_e32 v0, 0xffff, v0
	v_dual_lshrrev_b32 v42, 16, v1 :: v_dual_lshrrev_b32 v59, 16, v2
	v_and_b32_e32 v1, 0xffff, v1
	v_lshrrev_b32_e32 v60, 16, v3
	s_delay_alu instid0(VALU_DEP_4)
	v_mul_u32_u24_e32 v0, 0x10001, v0
	v_and_b32_e32 v2, 0xffff, v2
	v_mul_u32_u24_e32 v41, 0x10001, v41
	v_and_b32_e32 v3, 0xffff, v3
	v_mul_u32_u24_e32 v1, 0x10001, v1
	v_mul_u32_u24_e32 v42, 0x10001, v42
	;; [unrolled: 1-line block ×5, first 2 shown]
	s_wait_dscnt 0x1
	v_pk_fma_f16 v61, v4, v0, v62
	v_pk_fma_f16 v62, v4, v41, v63
	;; [unrolled: 1-line block ×5, first 2 shown]
	s_wait_dscnt 0x0
	v_lshrrev_b32_e32 v0, 16, v8
	v_mul_u32_u24_e32 v60, 0x10001, v60
	v_and_b32_e32 v1, 0xffff, v8
	v_pk_fma_f16 v13, v4, v2, v13
	v_pk_fma_f16 v15, v4, v3, v15
	;; [unrolled: 1-line block ×8, first 2 shown]
	v_dual_lshrrev_b32 v2, 16, v9 :: v_dual_lshrrev_b32 v3, 16, v10
	v_mul_u32_u24_e32 v40, 0x10001, v1
	v_and_b32_e32 v1, 0xffff, v10
	v_mul_u32_u24_e32 v10, 0x10001, v0
	v_and_b32_e32 v0, 0xffff, v11
	v_pk_fma_f16 v12, v4, v42, v12
	v_pk_fma_f16 v14, v4, v59, v14
	v_lshrrev_b32_e32 v8, 16, v11
	v_and_b32_e32 v9, 0xffff, v9
	v_mul_u32_u24_e32 v11, 0x10001, v2
	v_mul_u32_u24_e32 v41, 0x10001, v1
	;; [unrolled: 1-line block ×4, first 2 shown]
	ds_load_b128 v[0:3], v57 offset:352
	v_pk_fma_f16 v4, v4, v60, v65
	v_mul_u32_u24_e32 v9, 0x10001, v9
	v_mul_u32_u24_e32 v60, 0x10001, v8
	v_pk_fma_f16 v61, v6, v40, v61
	v_pk_fma_f16 v33, v7, v40, v33
	v_add_nc_u32_e32 v40, 0x3000, v58
	v_pk_fma_f16 v62, v6, v10, v62
	v_pk_fma_f16 v63, v6, v9, v63
	;; [unrolled: 1-line block ×12, first 2 shown]
	ds_load_2addr_b64 v[8:11], v40 offset0:12 offset1:30
	v_pk_fma_f16 v36, v7, v59, v36
	v_pk_fma_f16 v41, v7, v60, v5
	ds_load_b128 v[4:7], v57 offset:368
	s_wait_dscnt 0x2
	v_lshrrev_b32_e32 v42, 16, v0
	v_and_b32_e32 v0, 0xffff, v0
	v_dual_lshrrev_b32 v58, 16, v1 :: v_dual_lshrrev_b32 v59, 16, v2
	v_and_b32_e32 v1, 0xffff, v1
	v_lshrrev_b32_e32 v60, 16, v3
	s_delay_alu instid0(VALU_DEP_4)
	v_mul_u32_u24_e32 v0, 0x10001, v0
	v_and_b32_e32 v2, 0xffff, v2
	v_and_b32_e32 v3, 0xffff, v3
	v_mul_u32_u24_e32 v1, 0x10001, v1
	v_mul_u32_u24_e32 v42, 0x10001, v42
	;; [unrolled: 1-line block ×6, first 2 shown]
	s_wait_dscnt 0x1
	v_pk_fma_f16 v61, v8, v0, v61
	v_pk_fma_f16 v63, v8, v1, v63
	;; [unrolled: 1-line block ×4, first 2 shown]
	s_wait_dscnt 0x0
	v_lshrrev_b32_e32 v0, 16, v4
	v_mul_u32_u24_e32 v60, 0x10001, v60
	v_and_b32_e32 v1, 0xffff, v4
	v_pk_fma_f16 v13, v8, v2, v13
	v_pk_fma_f16 v15, v8, v3, v15
	;; [unrolled: 1-line block ×8, first 2 shown]
	v_dual_lshrrev_b32 v2, 16, v5 :: v_dual_lshrrev_b32 v3, 16, v6
	v_mul_u32_u24_e32 v41, 0x10001, v1
	v_and_b32_e32 v1, 0xffff, v6
	v_mul_u32_u24_e32 v6, 0x10001, v0
	v_and_b32_e32 v0, 0xffff, v7
	v_pk_fma_f16 v62, v8, v42, v62
	v_pk_fma_f16 v12, v8, v58, v12
	v_pk_fma_f16 v14, v8, v59, v14
	v_lshrrev_b32_e32 v4, 16, v7
	v_and_b32_e32 v5, 0xffff, v5
	v_mul_u32_u24_e32 v7, 0x10001, v2
	v_mul_u32_u24_e32 v42, 0x10001, v1
	;; [unrolled: 1-line block ×4, first 2 shown]
	ds_load_b128 v[0:3], v57 offset:384
	v_pk_fma_f16 v8, v8, v60, v64
	v_mul_u32_u24_e32 v5, 0x10001, v5
	v_mul_u32_u24_e32 v60, 0x10001, v4
	v_pk_fma_f16 v61, v10, v41, v61
	v_pk_fma_f16 v62, v10, v6, v62
	;; [unrolled: 1-line block ×14, first 2 shown]
	ds_load_2addr_b64 v[4:7], v40 offset0:48 offset1:66
	v_pk_fma_f16 v36, v11, v59, v36
	v_pk_fma_f16 v41, v11, v60, v9
	ds_load_b128 v[8:11], v57 offset:400
	s_wait_dscnt 0x2
	v_lshrrev_b32_e32 v42, 16, v0
	v_and_b32_e32 v0, 0xffff, v0
	v_dual_lshrrev_b32 v58, 16, v1 :: v_dual_lshrrev_b32 v59, 16, v2
	v_and_b32_e32 v1, 0xffff, v1
	v_lshrrev_b32_e32 v60, 16, v3
	s_delay_alu instid0(VALU_DEP_4)
	v_mul_u32_u24_e32 v0, 0x10001, v0
	v_and_b32_e32 v2, 0xffff, v2
	v_and_b32_e32 v3, 0xffff, v3
	v_mul_u32_u24_e32 v1, 0x10001, v1
	v_mul_u32_u24_e32 v42, 0x10001, v42
	v_mul_u32_u24_e32 v58, 0x10001, v58
	v_mul_u32_u24_e32 v2, 0x10001, v2
	v_mul_u32_u24_e32 v59, 0x10001, v59
	v_mul_u32_u24_e32 v3, 0x10001, v3
	s_wait_dscnt 0x1
	v_pk_fma_f16 v61, v4, v0, v61
	v_pk_fma_f16 v63, v4, v1, v63
	;; [unrolled: 1-line block ×4, first 2 shown]
	s_wait_dscnt 0x0
	v_lshrrev_b32_e32 v0, 16, v8
	v_mul_u32_u24_e32 v60, 0x10001, v60
	v_and_b32_e32 v1, 0xffff, v8
	v_pk_fma_f16 v13, v4, v2, v13
	v_pk_fma_f16 v15, v4, v3, v15
	;; [unrolled: 1-line block ×8, first 2 shown]
	v_dual_lshrrev_b32 v2, 16, v9 :: v_dual_lshrrev_b32 v3, 16, v10
	v_mul_u32_u24_e32 v41, 0x10001, v1
	v_and_b32_e32 v1, 0xffff, v10
	v_mul_u32_u24_e32 v10, 0x10001, v0
	v_and_b32_e32 v0, 0xffff, v11
	v_pk_fma_f16 v62, v4, v42, v62
	v_pk_fma_f16 v12, v4, v58, v12
	;; [unrolled: 1-line block ×3, first 2 shown]
	v_lshrrev_b32_e32 v8, 16, v11
	v_and_b32_e32 v9, 0xffff, v9
	v_mul_u32_u24_e32 v11, 0x10001, v2
	v_mul_u32_u24_e32 v42, 0x10001, v1
	;; [unrolled: 1-line block ×4, first 2 shown]
	ds_load_b128 v[0:3], v57 offset:416
	v_pk_fma_f16 v4, v4, v60, v64
	v_mul_u32_u24_e32 v9, 0x10001, v9
	v_mul_u32_u24_e32 v60, 0x10001, v8
	v_pk_fma_f16 v61, v6, v41, v61
	v_pk_fma_f16 v62, v6, v10, v62
	;; [unrolled: 1-line block ×14, first 2 shown]
	ds_load_2addr_b64 v[8:11], v40 offset0:84 offset1:102
	v_pk_fma_f16 v36, v7, v59, v36
	v_pk_fma_f16 v41, v7, v60, v5
	ds_load_b128 v[4:7], v57 offset:432
	s_wait_dscnt 0x2
	v_lshrrev_b32_e32 v42, 16, v0
	v_and_b32_e32 v0, 0xffff, v0
	v_dual_lshrrev_b32 v58, 16, v1 :: v_dual_lshrrev_b32 v59, 16, v2
	v_and_b32_e32 v1, 0xffff, v1
	v_lshrrev_b32_e32 v60, 16, v3
	s_delay_alu instid0(VALU_DEP_4)
	v_mul_u32_u24_e32 v0, 0x10001, v0
	v_and_b32_e32 v2, 0xffff, v2
	v_and_b32_e32 v3, 0xffff, v3
	v_mul_u32_u24_e32 v1, 0x10001, v1
	v_mul_u32_u24_e32 v42, 0x10001, v42
	;; [unrolled: 1-line block ×6, first 2 shown]
	s_wait_dscnt 0x1
	v_pk_fma_f16 v61, v8, v0, v61
	v_pk_fma_f16 v63, v8, v1, v63
	;; [unrolled: 1-line block ×4, first 2 shown]
	s_wait_dscnt 0x0
	v_lshrrev_b32_e32 v0, 16, v4
	v_mul_u32_u24_e32 v60, 0x10001, v60
	v_and_b32_e32 v1, 0xffff, v4
	v_pk_fma_f16 v13, v8, v2, v13
	v_pk_fma_f16 v15, v8, v3, v15
	;; [unrolled: 1-line block ×8, first 2 shown]
	v_dual_lshrrev_b32 v2, 16, v5 :: v_dual_lshrrev_b32 v3, 16, v6
	v_mul_u32_u24_e32 v41, 0x10001, v1
	v_and_b32_e32 v1, 0xffff, v6
	v_mul_u32_u24_e32 v6, 0x10001, v0
	v_and_b32_e32 v0, 0xffff, v7
	v_pk_fma_f16 v62, v8, v42, v62
	v_pk_fma_f16 v12, v8, v58, v12
	;; [unrolled: 1-line block ×3, first 2 shown]
	v_lshrrev_b32_e32 v4, 16, v7
	v_and_b32_e32 v5, 0xffff, v5
	v_mul_u32_u24_e32 v7, 0x10001, v2
	v_mul_u32_u24_e32 v42, 0x10001, v1
	;; [unrolled: 1-line block ×4, first 2 shown]
	ds_load_b128 v[0:3], v57 offset:448
	v_pk_fma_f16 v8, v8, v60, v64
	v_mul_u32_u24_e32 v5, 0x10001, v5
	v_mul_u32_u24_e32 v60, 0x10001, v4
	v_pk_fma_f16 v61, v10, v41, v61
	v_pk_fma_f16 v62, v10, v6, v62
	;; [unrolled: 1-line block ×14, first 2 shown]
	ds_load_2addr_b64 v[4:7], v40 offset0:120 offset1:138
	v_pk_fma_f16 v36, v11, v59, v36
	v_pk_fma_f16 v41, v11, v60, v9
	ds_load_b128 v[8:11], v57 offset:464
	s_wait_dscnt 0x2
	v_lshrrev_b32_e32 v42, 16, v0
	v_and_b32_e32 v0, 0xffff, v0
	v_dual_lshrrev_b32 v58, 16, v1 :: v_dual_lshrrev_b32 v59, 16, v2
	v_and_b32_e32 v1, 0xffff, v1
	v_lshrrev_b32_e32 v60, 16, v3
	s_delay_alu instid0(VALU_DEP_4)
	v_mul_u32_u24_e32 v0, 0x10001, v0
	v_and_b32_e32 v2, 0xffff, v2
	v_and_b32_e32 v3, 0xffff, v3
	v_mul_u32_u24_e32 v1, 0x10001, v1
	v_mul_u32_u24_e32 v42, 0x10001, v42
	;; [unrolled: 1-line block ×6, first 2 shown]
	s_wait_dscnt 0x1
	v_pk_fma_f16 v61, v4, v0, v61
	v_pk_fma_f16 v63, v4, v1, v63
	;; [unrolled: 1-line block ×4, first 2 shown]
	s_wait_dscnt 0x0
	v_lshrrev_b32_e32 v0, 16, v8
	v_mul_u32_u24_e32 v60, 0x10001, v60
	v_and_b32_e32 v1, 0xffff, v8
	v_pk_fma_f16 v13, v4, v2, v13
	v_pk_fma_f16 v15, v4, v3, v15
	;; [unrolled: 1-line block ×8, first 2 shown]
	v_dual_lshrrev_b32 v2, 16, v9 :: v_dual_lshrrev_b32 v3, 16, v10
	v_mul_u32_u24_e32 v41, 0x10001, v1
	v_and_b32_e32 v1, 0xffff, v10
	v_mul_u32_u24_e32 v10, 0x10001, v0
	v_and_b32_e32 v0, 0xffff, v11
	v_pk_fma_f16 v62, v4, v42, v62
	v_pk_fma_f16 v12, v4, v58, v12
	;; [unrolled: 1-line block ×3, first 2 shown]
	v_lshrrev_b32_e32 v8, 16, v11
	v_and_b32_e32 v9, 0xffff, v9
	v_mul_u32_u24_e32 v11, 0x10001, v2
	v_mul_u32_u24_e32 v42, 0x10001, v1
	;; [unrolled: 1-line block ×4, first 2 shown]
	ds_load_b128 v[0:3], v57 offset:480
	v_pk_fma_f16 v4, v4, v60, v64
	v_mul_u32_u24_e32 v9, 0x10001, v9
	v_mul_u32_u24_e32 v60, 0x10001, v8
	v_pk_fma_f16 v61, v6, v41, v61
	v_pk_fma_f16 v62, v6, v10, v62
	;; [unrolled: 1-line block ×14, first 2 shown]
	ds_load_2addr_b64 v[8:11], v40 offset0:156 offset1:174
	v_pk_fma_f16 v36, v7, v59, v36
	v_pk_fma_f16 v40, v7, v60, v5
	ds_load_b128 v[4:7], v57 offset:496
	s_wait_dscnt 0x2
	v_lshrrev_b32_e32 v41, 16, v0
	v_and_b32_e32 v0, 0xffff, v0
	v_dual_lshrrev_b32 v42, 16, v1 :: v_dual_lshrrev_b32 v57, 16, v2
	v_lshrrev_b32_e32 v58, 16, v3
	v_and_b32_e32 v1, 0xffff, v1
	v_and_b32_e32 v2, 0xffff, v2
	;; [unrolled: 1-line block ×3, first 2 shown]
	v_mul_u32_u24_e32 v0, 0x10001, v0
	v_mul_u32_u24_e32 v41, 0x10001, v41
	;; [unrolled: 1-line block ×7, first 2 shown]
	s_wait_dscnt 0x0
	v_pk_fma_f16 v59, v8, v0, v61
	v_pk_fma_f16 v61, v8, v1, v63
	;; [unrolled: 1-line block ×11, first 2 shown]
	v_lshrrev_b32_e32 v36, 16, v4
	v_mul_u32_u24_e32 v58, 0x10001, v58
	v_and_b32_e32 v4, 0xffff, v4
	v_dual_lshrrev_b32 v37, 16, v5 :: v_dual_lshrrev_b32 v38, 16, v6
	v_lshrrev_b32_e32 v39, 16, v7
	v_and_b32_e32 v5, 0xffff, v5
	v_and_b32_e32 v6, 0xffff, v6
	;; [unrolled: 1-line block ×3, first 2 shown]
	v_pk_fma_f16 v60, v8, v41, v62
	v_pk_fma_f16 v12, v8, v42, v12
	v_pk_fma_f16 v14, v8, v57, v14
	v_pk_fma_f16 v8, v8, v58, v64
	v_pk_fma_f16 v9, v9, v58, v40
	v_mul_u32_u24_e32 v4, 0x10001, v4
	v_mul_u32_u24_e32 v36, 0x10001, v36
	;; [unrolled: 1-line block ×8, first 2 shown]
	v_pk_fma_f16 v74, v10, v4, v59
	v_pk_fma_f16 v72, v10, v36, v60
	;; [unrolled: 1-line block ×16, first 2 shown]
	v_mov_b64_e32 v[8:9], v[16:17]
	v_mov_b64_e32 v[10:11], v[18:19]
	;; [unrolled: 1-line block ×4, first 2 shown]
	s_barrier_signal -1
	s_barrier_wait -1
.LBB52_95:
	v_cmp_lt_i32_e32 vcc_lo, v79, v32
	s_cmp_eq_u64 s[20:21], 0
	s_cselect_b32 s3, -1, 0
	s_cmp_lg_u32 s28, 0
	v_cndmask_b32_e32 v0, v56, v79, vcc_lo
	v_cmp_lt_i32_e32 vcc_lo, v78, v32
	s_cselect_b32 s4, -1, 0
	s_delay_alu instid0(SALU_CYCLE_1) | instskip(SKIP_3) | instid1(VALU_DEP_3)
	s_or_b32 s3, s4, s3
	v_cndmask_b32_e32 v16, v56, v78, vcc_lo
	v_cmp_lt_i32_e32 vcc_lo, v77, v32
	v_lshlrev_b32_e32 v7, 2, v0
	v_lshlrev_b32_e32 v23, 2, v16
	ds_bpermute_b32 v0, v7, v24
	ds_bpermute_b32 v1, v7, v25
	s_wait_dscnt 0x0
	v_pk_add_f32 v[0:1], v[24:25], v[0:1]
	v_cndmask_b32_e32 v24, v56, v77, vcc_lo
	ds_bpermute_b32 v2, v7, v26
	ds_bpermute_b32 v3, v7, v27
	;; [unrolled: 1-line block ×8, first 2 shown]
	v_lshlrev_b32_e32 v24, 2, v24
	v_cmp_lt_i32_e32 vcc_lo, v76, v32
	s_wait_dscnt 0x6
	v_pk_add_f32 v[2:3], v[26:27], v[2:3]
	s_wait_dscnt 0x4
	v_pk_add_f32 v[4:5], v[28:29], v[4:5]
	;; [unrolled: 2-line block ×3, first 2 shown]
	ds_bpermute_b32 v18, v23, v2
	ds_bpermute_b32 v19, v23, v3
	;; [unrolled: 1-line block ×6, first 2 shown]
	s_wait_dscnt 0x6
	v_pk_add_f32 v[0:1], v[0:1], v[16:17]
	ds_bpermute_b32 v16, v24, v0
	ds_bpermute_b32 v17, v24, v1
	s_wait_dscnt 0x6
	v_pk_add_f32 v[2:3], v[2:3], v[18:19]
	s_wait_dscnt 0x4
	v_pk_add_f32 v[4:5], v[4:5], v[20:21]
	;; [unrolled: 2-line block ×3, first 2 shown]
	ds_bpermute_b32 v18, v24, v2
	ds_bpermute_b32 v19, v24, v3
	;; [unrolled: 1-line block ×6, first 2 shown]
	v_cndmask_b32_e32 v24, v56, v76, vcc_lo
	s_wait_dscnt 0x6
	v_pk_add_f32 v[0:1], v[0:1], v[16:17]
	v_cmp_lt_i32_e32 vcc_lo, v47, v32
	s_delay_alu instid0(VALU_DEP_3)
	v_lshlrev_b32_e32 v24, 2, v24
	ds_bpermute_b32 v16, v24, v0
	ds_bpermute_b32 v17, v24, v1
	s_wait_dscnt 0x6
	v_pk_add_f32 v[2:3], v[2:3], v[18:19]
	s_wait_dscnt 0x4
	v_pk_add_f32 v[4:5], v[4:5], v[20:21]
	s_wait_dscnt 0x2
	v_pk_add_f32 v[6:7], v[6:7], v[22:23]
	ds_bpermute_b32 v18, v24, v2
	ds_bpermute_b32 v19, v24, v3
	;; [unrolled: 1-line block ×6, first 2 shown]
	v_cndmask_b32_e32 v24, v56, v47, vcc_lo
	s_and_b32 vcc_lo, exec_lo, s3
	s_delay_alu instid0(VALU_DEP_1)
	v_lshlrev_b32_e32 v25, 2, v24
	s_wait_dscnt 0x6
	v_pk_add_f32 v[0:1], v[0:1], v[16:17]
	s_wait_dscnt 0x4
	v_pk_add_f32 v[2:3], v[2:3], v[18:19]
	;; [unrolled: 2-line block ×3, first 2 shown]
	ds_bpermute_b32 v4, v25, v0
	s_wait_dscnt 0x1
	v_pk_add_f32 v[18:19], v[6:7], v[22:23]
	ds_bpermute_b32 v5, v25, v1
	ds_bpermute_b32 v20, v25, v2
	;; [unrolled: 1-line block ×7, first 2 shown]
	s_wait_dscnt 0x6
	v_pk_add_f32 v[6:7], v[0:1], v[4:5]
	s_wait_dscnt 0x4
	v_pk_add_f32 v[4:5], v[2:3], v[20:21]
	;; [unrolled: 2-line block ×4, first 2 shown]
	s_cbranch_vccnz .LBB52_97
; %bb.96:
	v_dual_mov_b32 v16, s19 :: v_dual_max_num_f32 v17, v9, v9
	v_dual_max_num_f32 v20, v12, v12 :: v_dual_max_num_f32 v21, v13, v13
	v_dual_max_num_f32 v22, v14, v14 :: v_dual_max_num_f32 v25, v15, v15
	global_load_b32 v24, v16, s[20:21] scale_offset
	s_wait_xcnt 0x0
	v_dual_max_num_f32 v16, v8, v8 :: v_dual_max_num_f32 v18, v10, v10
	s_wait_loadcnt 0x0
	v_dual_max_num_f32 v19, v11, v11 :: v_dual_max_num_f32 v23, v24, v24
	s_delay_alu instid0(VALU_DEP_1) | instskip(NEXT) | instid1(VALU_DEP_2)
	v_dual_max_num_f32 v16, v16, v23 :: v_dual_max_num_f32 v17, v17, v23
	v_dual_max_num_f32 v18, v18, v23 :: v_dual_max_num_f32 v19, v19, v23
	;; [unrolled: 1-line block ×3, first 2 shown]
	s_delay_alu instid0(VALU_DEP_3) | instskip(SKIP_4) | instid1(VALU_DEP_3)
	v_dual_sub_f32 v8, v8, v16 :: v_dual_sub_f32 v9, v9, v17
	v_dual_max_num_f32 v22, v22, v23 :: v_dual_max_num_f32 v23, v25, v23
	v_dual_sub_f32 v25, v24, v16 :: v_dual_sub_f32 v26, v24, v17
	v_dual_sub_f32 v27, v10, v18 :: v_dual_sub_f32 v28, v24, v18
	;; [unrolled: 1-line block ×3, first 2 shown]
	v_dual_mul_f32 v10, 0x3fb8aa3b, v8 :: v_dual_mul_f32 v11, 0x3fb8aa3b, v25
	v_dual_sub_f32 v31, v12, v20 :: v_dual_sub_f32 v33, v13, v21
	v_dual_sub_f32 v32, v24, v20 :: v_dual_sub_f32 v34, v24, v21
	;; [unrolled: 1-line block ×4, first 2 shown]
	v_dual_mul_f32 v12, 0x3fb8aa3b, v9 :: v_dual_mul_f32 v13, 0x3fb8aa3b, v26
	v_dual_mul_f32 v24, 0x3fb8aa3b, v29 :: v_dual_mul_f32 v39, 0x3fb8aa3b, v30
	v_fma_f32 v76, 0x3fb8aa3b, v8, -v10
	v_rndne_f32_e32 v77, v10
	v_dual_mul_f32 v14, 0x3fb8aa3b, v27 :: v_dual_mul_f32 v15, 0x3fb8aa3b, v28
	v_fma_f32 v78, 0x3fb8aa3b, v25, -v11
	v_rndne_f32_e32 v79, v11
	v_rndne_f32_e32 v83, v13
	;; [unrolled: 1-line block ×3, first 2 shown]
	v_fmac_f32_e32 v76, 0x32a5705f, v8
	v_sub_f32_e32 v10, v10, v77
	v_fma_f32 v82, 0x3fb8aa3b, v26, -v13
	v_fma_f32 v84, 0x3fb8aa3b, v27, -v14
	v_rndne_f32_e32 v87, v15
	v_fma_f32 v88, 0x3fb8aa3b, v29, -v24
	v_dual_fmac_f32 v78, 0x32a5705f, v25 :: v_dual_sub_f32 v11, v11, v79
	v_dual_sub_f32 v13, v13, v83 :: v_dual_sub_f32 v24, v24, v89
	v_add_f32_e32 v10, v10, v76
	v_dual_mul_f32 v40, 0x3fb8aa3b, v31 :: v_dual_mul_f32 v41, 0x3fb8aa3b, v32
	v_dual_mul_f32 v56, 0x3fb8aa3b, v35 :: v_dual_mul_f32 v57, 0x3fb8aa3b, v36
	;; [unrolled: 1-line block ×3, first 2 shown]
	v_fma_f32 v86, 0x3fb8aa3b, v28, -v15
	v_sub_f32_e32 v15, v15, v87
	v_dual_fmac_f32 v84, 0x32a5705f, v27 :: v_dual_add_f32 v11, v11, v78
	v_exp_f32_e32 v10, v10
	v_rndne_f32_e32 v85, v14
	v_fma_f32 v92, 0x3fb8aa3b, v31, -v40
	v_rndne_f32_e32 v93, v40
	v_rndne_f32_e32 v103, v57
	;; [unrolled: 1-line block ×3, first 2 shown]
	v_cvt_i32_f32_e32 v77, v77
	v_exp_f32_e32 v11, v11
	v_dual_mul_f32 v42, 0x3fb8aa3b, v33 :: v_dual_mul_f32 v47, 0x3fb8aa3b, v34
	v_fma_f32 v80, 0x3fb8aa3b, v9, -v12
	v_rndne_f32_e32 v81, v12
	v_fma_f32 v102, 0x3fb8aa3b, v36, -v57
	v_fma_f32 v106, 0x3fb8aa3b, v38, -v59
	v_cvt_i32_f32_e32 v79, v79
	v_dual_sub_f32 v14, v14, v85 :: v_dual_sub_f32 v57, v57, v103
	v_dual_fmac_f32 v86, 0x32a5705f, v28 :: v_dual_sub_f32 v59, v59, v107
	v_fmac_f32_e32 v92, 0x32a5705f, v31
	s_delay_alu instid0(VALU_DEP_3)
	v_dual_sub_f32 v40, v40, v93 :: v_dual_add_f32 v14, v14, v84
	v_ldexp_f32 v10, v10, v77
	v_cmp_ngt_f32_e32 vcc_lo, 0xc2ce8ed0, v8
	v_fma_f32 v90, 0x3fb8aa3b, v30, -v39
	v_rndne_f32_e32 v91, v39
	v_fma_f32 v94, 0x3fb8aa3b, v32, -v41
	v_rndne_f32_e32 v95, v41
	v_rndne_f32_e32 v97, v42
	s_delay_alu instid0(VALU_DEP_4) | instskip(NEXT) | instid1(VALU_DEP_3)
	v_dual_fmac_f32 v80, 0x32a5705f, v9 :: v_dual_sub_f32 v39, v39, v91
	v_dual_sub_f32 v12, v12, v81 :: v_dual_sub_f32 v41, v41, v95
	v_dual_add_f32 v15, v15, v86 :: v_dual_add_f32 v40, v40, v92
	v_cndmask_b32_e32 v10, 0, v10, vcc_lo
	v_ldexp_f32 v11, v11, v79
	v_cmp_ngt_f32_e32 vcc_lo, 0xc2ce8ed0, v25
	v_fma_f32 v96, 0x3fb8aa3b, v33, -v42
	v_rndne_f32_e32 v99, v47
	v_fmac_f32_e32 v82, 0x32a5705f, v26
	v_dual_fmac_f32 v90, 0x32a5705f, v30 :: v_dual_cndmask_b32 v11, 0, v11
	v_fmac_f32_e32 v94, 0x32a5705f, v32
	v_dual_sub_f32 v42, v42, v97 :: v_dual_add_f32 v12, v12, v80
	v_fma_f32 v98, 0x3fb8aa3b, v34, -v47
	v_dual_sub_f32 v47, v47, v99 :: v_dual_fmac_f32 v88, 0x32a5705f, v29
	v_add_f32_e32 v13, v13, v82
	v_dual_add_f32 v39, v39, v90 :: v_dual_fmac_f32 v96, 0x32a5705f, v33
	v_add_f32_e32 v41, v41, v94
	v_exp_f32_e32 v12, v12
	v_cvt_i32_f32_e32 v81, v81
	v_exp_f32_e32 v13, v13
	v_cvt_i32_f32_e32 v83, v83
	;; [unrolled: 2-line block ×3, first 2 shown]
	v_cmp_ngt_f32_e32 vcc_lo, 0xc2ce8ed0, v9
	v_ldexp_f32 v12, v12, v81
	v_rndne_f32_e32 v105, v58
	v_exp_f32_e32 v14, v14
	v_fma_f32 v100, 0x3fb8aa3b, v35, -v56
	v_rndne_f32_e32 v101, v56
	v_cvt_i32_f32_e32 v85, v85
	v_ldexp_f32 v13, v13, v83
	v_ldexp_f32 v41, v41, v95
	v_cndmask_b32_e32 v12, 0, v12, vcc_lo
	v_cmp_ngt_f32_e32 vcc_lo, 0xc2ce8ed0, v26
	v_fma_f32 v104, 0x3fb8aa3b, v37, -v58
	v_dual_sub_f32 v58, v58, v105 :: v_dual_add_f32 v24, v24, v88
	v_exp_f32_e32 v15, v15
	v_cvt_i32_f32_e32 v87, v87
	v_dual_fmac_f32 v98, 0x32a5705f, v34 :: v_dual_cndmask_b32 v13, 0, v13
	v_fmac_f32_e32 v100, 0x32a5705f, v35
	v_dual_sub_f32 v56, v56, v101 :: v_dual_add_f32 v42, v42, v96
	v_ldexp_f32 v14, v14, v85
	v_cmp_ngt_f32_e32 vcc_lo, 0xc2ce8ed0, v27
	v_exp_f32_e32 v24, v24
	v_cvt_i32_f32_e32 v89, v89
	v_dual_add_f32 v47, v47, v98 :: v_dual_add_f32 v56, v56, v100
	v_cndmask_b32_e32 v14, 0, v14, vcc_lo
	v_ldexp_f32 v15, v15, v87
	v_cmp_ngt_f32_e32 vcc_lo, 0xc2ce8ed0, v28
	v_exp_f32_e32 v39, v39
	v_exp_f32_e32 v42, v42
	v_cvt_i32_f32_e32 v91, v91
	v_cvt_i32_f32_e32 v97, v97
	v_dual_fmac_f32 v106, 0x32a5705f, v38 :: v_dual_cndmask_b32 v15, 0, v15
	v_ldexp_f32 v24, v24, v89
	v_cmp_ngt_f32_e32 vcc_lo, 0xc2ce8ed0, v29
	v_exp_f32_e32 v40, v40
	v_cvt_i32_f32_e32 v93, v93
	v_dual_fmac_f32 v102, 0x32a5705f, v36 :: v_dual_add_f32 v59, v59, v106
	v_fmac_f32_e32 v104, 0x32a5705f, v37
	v_ldexp_f32 v39, v39, v91
	v_ldexp_f32 v42, v42, v97
	v_cndmask_b32_e32 v24, 0, v24, vcc_lo
	v_cmp_ngt_f32_e32 vcc_lo, 0xc2ce8ed0, v30
	v_exp_f32_e32 v47, v47
	v_cvt_i32_f32_e32 v99, v99
	v_dual_add_f32 v57, v57, v102 :: v_dual_add_f32 v58, v58, v104
	v_cndmask_b32_e32 v39, 0, v39, vcc_lo
	v_ldexp_f32 v40, v40, v93
	v_cmp_ngt_f32_e32 vcc_lo, 0xc2ce8ed0, v31
	s_delay_alu instid0(TRANS32_DEP_1)
	v_ldexp_f32 v47, v47, v99
	v_exp_f32_e32 v56, v56
	v_cvt_i32_f32_e32 v101, v101
	v_exp_f32_e32 v57, v57
	v_cndmask_b32_e32 v40, 0, v40, vcc_lo
	v_cmp_ngt_f32_e32 vcc_lo, 0xc2ce8ed0, v32
	v_cvt_i32_f32_e32 v103, v103
	v_exp_f32_e32 v58, v58
	v_ldexp_f32 v56, v56, v101
	v_cvt_i32_f32_e32 v105, v105
	v_cndmask_b32_e32 v41, 0, v41, vcc_lo
	v_cmp_ngt_f32_e32 vcc_lo, 0xc2ce8ed0, v33
	v_ldexp_f32 v57, v57, v103
	v_exp_f32_e32 v59, v59
	v_cvt_i32_f32_e32 v107, v107
	v_ldexp_f32 v58, v58, v105
	v_cndmask_b32_e32 v42, 0, v42, vcc_lo
	v_cmp_ngt_f32_e32 vcc_lo, 0xc2ce8ed0, v34
	s_delay_alu instid0(TRANS32_DEP_1) | instid1(VALU_DEP_4)
	v_ldexp_f32 v59, v59, v107
	v_cndmask_b32_e32 v47, 0, v47, vcc_lo
	v_cmp_ngt_f32_e32 vcc_lo, 0xc2ce8ed0, v35
	v_cndmask_b32_e32 v56, 0, v56, vcc_lo
	v_cmp_ngt_f32_e32 vcc_lo, 0xc2ce8ed0, v36
	v_cndmask_b32_e32 v57, 0, v57, vcc_lo
	v_cmp_ngt_f32_e32 vcc_lo, 0xc2ce8ed0, v37
	v_cndmask_b32_e32 v58, 0, v58, vcc_lo
	v_cmp_ngt_f32_e32 vcc_lo, 0xc2ce8ed0, v38
	v_cndmask_b32_e32 v59, 0, v59, vcc_lo
	v_cmp_nlt_f32_e32 vcc_lo, 0x42b17218, v8
	v_cndmask_b32_e32 v8, 0x7f800000, v10, vcc_lo
	v_cmp_nlt_f32_e32 vcc_lo, 0x42b17218, v25
	;; [unrolled: 2-line block ×5, first 2 shown]
	s_delay_alu instid0(VALU_DEP_2)
	v_pk_fma_f32 v[6:7], v[6:7], v[8:9], v[10:11]
	v_cndmask_b32_e32 v12, 0x7f800000, v14, vcc_lo
	v_cmp_nlt_f32_e32 vcc_lo, 0x42b17218, v28
	v_cndmask_b32_e32 v14, 0x7f800000, v15, vcc_lo
	v_cmp_nlt_f32_e32 vcc_lo, 0x42b17218, v29
	;; [unrolled: 2-line block ×4, first 2 shown]
	s_delay_alu instid0(VALU_DEP_2)
	v_pk_fma_f32 v[4:5], v[4:5], v[12:13], v[14:15]
	v_cndmask_b32_e32 v24, 0x7f800000, v40, vcc_lo
	v_cmp_nlt_f32_e32 vcc_lo, 0x42b17218, v32
	v_cvt_f16_f32_e32 v32, v8
	v_cndmask_b32_e32 v26, 0x7f800000, v41, vcc_lo
	v_cmp_nlt_f32_e32 vcc_lo, 0x42b17218, v33
	v_cvt_f16_f32_e32 v33, v9
	s_delay_alu instid0(VALU_DEP_4)
	v_and_b32_e32 v8, 0xffff, v32
	v_cndmask_b32_e32 v25, 0x7f800000, v42, vcc_lo
	v_cmp_nlt_f32_e32 vcc_lo, 0x42b17218, v34
	v_cvt_f16_f32_e32 v34, v12
	v_and_b32_e32 v9, 0xffff, v33
	v_mul_u32_u24_e32 v8, 0x10001, v8
	v_cndmask_b32_e32 v27, 0x7f800000, v47, vcc_lo
	v_cmp_nlt_f32_e32 vcc_lo, 0x42b17218, v35
	v_cvt_f16_f32_e32 v35, v13
	v_and_b32_e32 v10, 0xffff, v34
	v_mul_u32_u24_e32 v9, 0x10001, v9
	v_pk_mul_f16 v74, v74, v8
	v_cndmask_b32_e32 v28, 0x7f800000, v56, vcc_lo
	v_cmp_nlt_f32_e32 vcc_lo, 0x42b17218, v36
	v_cvt_f16_f32_e32 v36, v24
	v_and_b32_e32 v11, 0xffff, v35
	v_mul_u32_u24_e32 v10, 0x10001, v10
	v_pk_mul_f16 v75, v75, v8
	;; [unrolled: 6-line block ×3, first 2 shown]
	v_cndmask_b32_e32 v29, 0x7f800000, v58, vcc_lo
	v_cmp_nlt_f32_e32 vcc_lo, 0x42b17218, v38
	v_cvt_f16_f32_e32 v38, v28
	v_and_b32_e32 v13, 0xffff, v37
	v_mul_u32_u24_e32 v12, 0x10001, v12
	v_cvt_f16_f32_e32 v39, v29
	v_cndmask_b32_e32 v31, 0x7f800000, v59, vcc_lo
	v_and_b32_e32 v14, 0xffff, v38
	v_mul_u32_u24_e32 v13, 0x10001, v13
	v_pk_mul_f16 v73, v73, v9
	v_and_b32_e32 v15, 0xffff, v39
	v_pk_mul_f16 v70, v70, v10
	v_mul_u32_u24_e32 v14, 0x10001, v14
	v_pk_mul_f16 v71, v71, v10
	v_pk_mul_f16 v68, v68, v11
	v_mul_u32_u24_e32 v15, 0x10001, v15
	v_pk_mul_f16 v69, v69, v11
	v_pk_mul_f16 v66, v66, v12
	;; [unrolled: 1-line block ×9, first 2 shown]
	v_mov_b64_e32 v[8:9], v[16:17]
	v_mov_b64_e32 v[10:11], v[18:19]
	;; [unrolled: 1-line block ×4, first 2 shown]
	v_pk_fma_f32 v[2:3], v[2:3], v[24:25], v[26:27]
	v_pk_fma_f32 v[0:1], v[0:1], v[28:29], v[30:31]
.LBB52_97:
	s_mov_b32 s3, exec_lo
	v_cmpx_gt_i32_e64 s30, v46
	s_cbranch_execz .LBB52_153
; %bb.98:
	s_load_b32 s0, s[0:1], 0xd4
	v_mov_b32_e32 v16, 1.0
	s_wait_kmcnt 0x0
	s_cmp_lg_u32 s0, 1
	s_cselect_b32 s3, -1, 0
	s_cmp_eq_u32 s0, 1
	s_cselect_b32 s4, -1, 0
	s_and_b32 vcc_lo, exec_lo, s3
	s_cbranch_vccnz .LBB52_100
; %bb.99:
	v_div_scale_f32 v16, null, v6, v6, 1.0
	s_delay_alu instid0(VALU_DEP_1) | instskip(SKIP_1) | instid1(TRANS32_DEP_1)
	v_rcp_f32_e32 v17, v16
	v_nop
	v_fma_f32 v18, -v16, v17, 1.0
	s_delay_alu instid0(VALU_DEP_1) | instskip(SKIP_1) | instid1(VALU_DEP_1)
	v_fmac_f32_e32 v17, v18, v17
	v_div_scale_f32 v18, vcc_lo, 1.0, v6, 1.0
	v_mul_f32_e32 v19, v18, v17
	s_delay_alu instid0(VALU_DEP_1) | instskip(NEXT) | instid1(VALU_DEP_1)
	v_fma_f32 v20, -v16, v19, v18
	v_fmac_f32_e32 v19, v20, v17
	s_delay_alu instid0(VALU_DEP_1) | instskip(NEXT) | instid1(VALU_DEP_1)
	v_fma_f32 v16, -v16, v19, v18
	v_div_fmas_f32 v16, v16, v17, v19
	s_delay_alu instid0(VALU_DEP_1)
	v_div_fixup_f32 v16, v16, v6, 1.0
.LBB52_100:
	s_mul_i32 s1, s34, s30
	s_delay_alu instid0(SALU_CYCLE_1) | instskip(NEXT) | instid1(SALU_CYCLE_1)
	s_add_co_i32 s1, s1, s33
	v_add_nc_u32_e32 v17, s1, v55
	s_delay_alu instid0(VALU_DEP_1) | instskip(NEXT) | instid1(VALU_DEP_1)
	v_mad_u32 v17, v17, s31, s19
	v_mad_u32 v17, s0, v17, s28
	s_and_saveexec_b32 s5, s2
	s_cbranch_execz .LBB52_102
; %bb.101:
	s_delay_alu instid0(VALU_DEP_1) | instskip(SKIP_4) | instid1(VALU_DEP_4)
	v_mad_u32 v20, 0x48, v17, v49
	v_dual_lshrrev_b32 v19, 16, v74 :: v_dual_lshrrev_b32 v23, 16, v75
	v_mov_b32_e32 v21, 0
	v_cvt_f32_f16_e32 v18, v74
	v_cvt_f32_f16_e32 v22, v75
	;; [unrolled: 1-line block ×4, first 2 shown]
	s_delay_alu instid0(VALU_DEP_2) | instskip(SKIP_1) | instid1(VALU_DEP_3)
	v_pk_mul_f32 v[18:19], v[16:17], v[18:19] op_sel_hi:[0,1]
	v_lshl_add_u64 v[24:25], v[20:21], 2, s[24:25]
	v_pk_mul_f32 v[20:21], v[16:17], v[22:23] op_sel_hi:[0,1]
	global_store_b128 v[24:25], v[18:21], off
.LBB52_102:
	s_wait_xcnt 0x0
	s_or_b32 exec_lo, exec_lo, s5
	v_cmp_eq_u32_e32 vcc_lo, 0, v53
	s_and_b32 s3, vcc_lo, s3
	s_delay_alu instid0(SALU_CYCLE_1)
	s_and_saveexec_b32 s5, s3
	s_cbranch_execz .LBB52_104
; %bb.103:
	v_dual_mov_b32 v18, v8 :: v_dual_mov_b32 v19, v6
	global_store_b64 v17, v[18:19], s[26:27] scale_offset
.LBB52_104:
	s_wait_xcnt 0x0
	s_or_b32 exec_lo, exec_lo, s5
	v_cmp_gt_i32_e32 vcc_lo, s30, v44
	s_and_b32 exec_lo, exec_lo, vcc_lo
	s_cbranch_execz .LBB52_153
; %bb.105:
	v_cndmask_b32_e64 v8, 0, 1, s4
	v_mov_b32_e32 v6, 1.0
	s_and_not1_b32 vcc_lo, exec_lo, s4
	s_cbranch_vccnz .LBB52_107
; %bb.106:
	v_div_scale_f32 v6, null, v7, v7, 1.0
	s_delay_alu instid0(VALU_DEP_1) | instskip(SKIP_1) | instid1(TRANS32_DEP_1)
	v_rcp_f32_e32 v16, v6
	v_nop
	v_fma_f32 v17, -v6, v16, 1.0
	s_delay_alu instid0(VALU_DEP_1) | instskip(SKIP_1) | instid1(VALU_DEP_1)
	v_fmac_f32_e32 v16, v17, v16
	v_div_scale_f32 v17, vcc_lo, 1.0, v7, 1.0
	v_mul_f32_e32 v18, v17, v16
	s_delay_alu instid0(VALU_DEP_1) | instskip(NEXT) | instid1(VALU_DEP_1)
	v_fma_f32 v19, -v6, v18, v17
	v_fmac_f32_e32 v18, v19, v16
	s_delay_alu instid0(VALU_DEP_1) | instskip(NEXT) | instid1(VALU_DEP_1)
	v_fma_f32 v6, -v6, v18, v17
	v_div_fmas_f32 v6, v6, v16, v18
	s_delay_alu instid0(VALU_DEP_1)
	v_div_fixup_f32 v6, v6, v7, 1.0
.LBB52_107:
	v_add_nc_u32_e32 v16, s1, v54
	s_delay_alu instid0(VALU_DEP_1) | instskip(NEXT) | instid1(VALU_DEP_1)
	v_mad_u32 v16, v16, s31, s19
	v_mad_u32 v16, s0, v16, s28
	s_and_saveexec_b32 s4, s2
	s_cbranch_execz .LBB52_109
; %bb.108:
	s_delay_alu instid0(VALU_DEP_1) | instskip(SKIP_4) | instid1(VALU_DEP_4)
	v_mad_u32 v20, 0x48, v16, v49
	v_dual_lshrrev_b32 v17, 16, v72 :: v_dual_lshrrev_b32 v23, 16, v73
	v_mov_b32_e32 v21, 0
	v_cvt_f32_f16_e32 v18, v72
	v_cvt_f32_f16_e32 v22, v73
	;; [unrolled: 1-line block ×4, first 2 shown]
	s_delay_alu instid0(VALU_DEP_2) | instskip(SKIP_1) | instid1(VALU_DEP_3)
	v_pk_mul_f32 v[18:19], v[6:7], v[18:19] op_sel_hi:[0,1]
	v_lshl_add_u64 v[24:25], v[20:21], 2, s[24:25]
	v_pk_mul_f32 v[20:21], v[6:7], v[22:23] op_sel_hi:[0,1]
	global_store_b128 v[24:25], v[18:21], off
.LBB52_109:
	s_wait_xcnt 0x0
	s_or_b32 exec_lo, exec_lo, s4
	s_and_saveexec_b32 s4, s3
	s_cbranch_execz .LBB52_111
; %bb.110:
	v_mov_b32_e32 v6, v9
	global_store_b64 v16, v[6:7], s[26:27] scale_offset
.LBB52_111:
	s_wait_xcnt 0x0
	s_or_b32 exec_lo, exec_lo, s4
	v_add_nc_u32_e32 v6, s33, v52
	s_delay_alu instid0(VALU_DEP_1)
	v_cmp_gt_i32_e32 vcc_lo, s30, v6
	s_and_b32 exec_lo, exec_lo, vcc_lo
	s_cbranch_execz .LBB52_153
; %bb.112:
	v_cmp_ne_u32_e32 vcc_lo, 1, v8
	v_mov_b32_e32 v6, 1.0
	s_cbranch_vccnz .LBB52_114
; %bb.113:
	v_div_scale_f32 v6, null, v4, v4, 1.0
	s_delay_alu instid0(VALU_DEP_1) | instskip(SKIP_1) | instid1(TRANS32_DEP_1)
	v_rcp_f32_e32 v7, v6
	v_nop
	v_fma_f32 v9, -v6, v7, 1.0
	s_delay_alu instid0(VALU_DEP_1) | instskip(SKIP_1) | instid1(VALU_DEP_1)
	v_fmac_f32_e32 v7, v9, v7
	v_div_scale_f32 v9, vcc_lo, 1.0, v4, 1.0
	v_mul_f32_e32 v16, v9, v7
	s_delay_alu instid0(VALU_DEP_1) | instskip(NEXT) | instid1(VALU_DEP_1)
	v_fma_f32 v17, -v6, v16, v9
	v_fmac_f32_e32 v16, v17, v7
	s_delay_alu instid0(VALU_DEP_1) | instskip(NEXT) | instid1(VALU_DEP_1)
	v_fma_f32 v6, -v6, v16, v9
	v_div_fmas_f32 v6, v6, v7, v16
	s_delay_alu instid0(VALU_DEP_1)
	v_div_fixup_f32 v6, v6, v4, 1.0
.LBB52_114:
	v_add_nc_u32_e32 v7, s1, v52
	s_delay_alu instid0(VALU_DEP_1) | instskip(NEXT) | instid1(VALU_DEP_1)
	v_mad_u32 v7, v7, s31, s19
	v_mad_u32 v7, s0, v7, s28
	s_and_saveexec_b32 s4, s2
	s_cbranch_execz .LBB52_116
; %bb.115:
	s_delay_alu instid0(VALU_DEP_1) | instskip(SKIP_4) | instid1(VALU_DEP_4)
	v_mad_u32 v18, 0x48, v7, v49
	v_dual_lshrrev_b32 v9, 16, v70 :: v_dual_lshrrev_b32 v21, 16, v71
	v_mov_b32_e32 v19, 0
	v_cvt_f32_f16_e32 v16, v70
	v_cvt_f32_f16_e32 v20, v71
	;; [unrolled: 1-line block ×4, first 2 shown]
	s_delay_alu instid0(VALU_DEP_2) | instskip(SKIP_1) | instid1(VALU_DEP_3)
	v_pk_mul_f32 v[16:17], v[6:7], v[16:17] op_sel_hi:[0,1]
	v_lshl_add_u64 v[22:23], v[18:19], 2, s[24:25]
	v_pk_mul_f32 v[18:19], v[6:7], v[20:21] op_sel_hi:[0,1]
	global_store_b128 v[22:23], v[16:19], off
.LBB52_116:
	s_wait_xcnt 0x0
	s_or_b32 exec_lo, exec_lo, s4
	s_and_saveexec_b32 s4, s3
	s_cbranch_execz .LBB52_118
; %bb.117:
	v_dual_mov_b32 v16, v10 :: v_dual_mov_b32 v17, v4
	global_store_b64 v7, v[16:17], s[26:27] scale_offset
.LBB52_118:
	s_wait_xcnt 0x0
	s_or_b32 exec_lo, exec_lo, s4
	v_add_nc_u32_e32 v4, s33, v51
	s_delay_alu instid0(VALU_DEP_1)
	v_cmp_gt_i32_e32 vcc_lo, s30, v4
	s_and_b32 exec_lo, exec_lo, vcc_lo
	s_cbranch_execz .LBB52_153
; %bb.119:
	v_cmp_ne_u32_e32 vcc_lo, 1, v8
	v_mov_b32_e32 v4, 1.0
	s_cbranch_vccnz .LBB52_121
; %bb.120:
	v_div_scale_f32 v4, null, v5, v5, 1.0
	s_delay_alu instid0(VALU_DEP_1) | instskip(SKIP_1) | instid1(TRANS32_DEP_1)
	v_rcp_f32_e32 v6, v4
	v_nop
	v_fma_f32 v7, -v4, v6, 1.0
	s_delay_alu instid0(VALU_DEP_1) | instskip(SKIP_1) | instid1(VALU_DEP_1)
	v_fmac_f32_e32 v6, v7, v6
	v_div_scale_f32 v7, vcc_lo, 1.0, v5, 1.0
	v_mul_f32_e32 v9, v7, v6
	s_delay_alu instid0(VALU_DEP_1) | instskip(NEXT) | instid1(VALU_DEP_1)
	v_fma_f32 v10, -v4, v9, v7
	v_fmac_f32_e32 v9, v10, v6
	s_delay_alu instid0(VALU_DEP_1) | instskip(NEXT) | instid1(VALU_DEP_1)
	v_fma_f32 v4, -v4, v9, v7
	v_div_fmas_f32 v4, v4, v6, v9
	s_delay_alu instid0(VALU_DEP_1)
	v_div_fixup_f32 v4, v4, v5, 1.0
.LBB52_121:
	v_add_nc_u32_e32 v6, s1, v51
	s_delay_alu instid0(VALU_DEP_1) | instskip(NEXT) | instid1(VALU_DEP_1)
	v_mad_u32 v6, v6, s31, s19
	v_mad_u32 v6, s0, v6, s28
	s_and_saveexec_b32 s4, s2
	s_cbranch_execz .LBB52_123
; %bb.122:
	s_delay_alu instid0(VALU_DEP_1) | instskip(SKIP_4) | instid1(VALU_DEP_4)
	v_mad_u32 v18, 0x48, v6, v49
	v_dual_lshrrev_b32 v7, 16, v68 :: v_dual_lshrrev_b32 v9, 16, v69
	v_mov_b32_e32 v19, 0
	v_cvt_f32_f16_e32 v16, v68
	v_cvt_f32_f16_e32 v20, v69
	;; [unrolled: 1-line block ×4, first 2 shown]
	s_delay_alu instid0(VALU_DEP_2) | instskip(SKIP_1) | instid1(VALU_DEP_3)
	v_pk_mul_f32 v[16:17], v[4:5], v[16:17] op_sel_hi:[0,1]
	v_lshl_add_u64 v[22:23], v[18:19], 2, s[24:25]
	v_pk_mul_f32 v[18:19], v[4:5], v[20:21] op_sel_hi:[0,1]
	global_store_b128 v[22:23], v[16:19], off
.LBB52_123:
	s_wait_xcnt 0x0
	s_or_b32 exec_lo, exec_lo, s4
	s_and_saveexec_b32 s4, s3
	s_cbranch_execz .LBB52_125
; %bb.124:
	v_mov_b32_e32 v4, v11
	global_store_b64 v6, v[4:5], s[26:27] scale_offset
.LBB52_125:
	s_wait_xcnt 0x0
	s_or_b32 exec_lo, exec_lo, s4
	v_add_nc_u32_e32 v4, s33, v50
	s_delay_alu instid0(VALU_DEP_1)
	v_cmp_gt_i32_e32 vcc_lo, s30, v4
	s_and_b32 exec_lo, exec_lo, vcc_lo
	s_cbranch_execz .LBB52_153
; %bb.126:
	v_cmp_ne_u32_e32 vcc_lo, 1, v8
	v_mov_b32_e32 v4, 1.0
	s_cbranch_vccnz .LBB52_128
; %bb.127:
	v_div_scale_f32 v4, null, v2, v2, 1.0
	s_delay_alu instid0(VALU_DEP_1) | instskip(SKIP_1) | instid1(TRANS32_DEP_1)
	v_rcp_f32_e32 v5, v4
	v_nop
	v_fma_f32 v6, -v4, v5, 1.0
	s_delay_alu instid0(VALU_DEP_1) | instskip(SKIP_1) | instid1(VALU_DEP_1)
	v_fmac_f32_e32 v5, v6, v5
	v_div_scale_f32 v6, vcc_lo, 1.0, v2, 1.0
	v_mul_f32_e32 v7, v6, v5
	s_delay_alu instid0(VALU_DEP_1) | instskip(NEXT) | instid1(VALU_DEP_1)
	v_fma_f32 v9, -v4, v7, v6
	v_fmac_f32_e32 v7, v9, v5
	s_delay_alu instid0(VALU_DEP_1) | instskip(NEXT) | instid1(VALU_DEP_1)
	v_fma_f32 v4, -v4, v7, v6
	v_div_fmas_f32 v4, v4, v5, v7
	s_delay_alu instid0(VALU_DEP_1)
	v_div_fixup_f32 v4, v4, v2, 1.0
.LBB52_128:
	v_add_nc_u32_e32 v5, s1, v50
	s_delay_alu instid0(VALU_DEP_1) | instskip(NEXT) | instid1(VALU_DEP_1)
	v_mad_u32 v5, v5, s31, s19
	v_mad_u32 v5, s0, v5, s28
	s_and_saveexec_b32 s4, s2
	s_cbranch_execz .LBB52_130
; %bb.129:
	s_delay_alu instid0(VALU_DEP_1) | instskip(SKIP_4) | instid1(VALU_DEP_4)
	v_mad_u32 v6, 0x48, v5, v49
	v_dual_lshrrev_b32 v9, 16, v66 :: v_dual_lshrrev_b32 v16, 16, v67
	v_mov_b32_e32 v7, 0
	v_cvt_f32_f16_e32 v10, v66
	v_cvt_f32_f16_e32 v18, v67
	;; [unrolled: 1-line block ×4, first 2 shown]
	s_delay_alu instid0(VALU_DEP_2) | instskip(SKIP_1) | instid1(VALU_DEP_3)
	v_pk_mul_f32 v[16:17], v[4:5], v[10:11] op_sel_hi:[0,1]
	v_lshl_add_u64 v[6:7], v[6:7], 2, s[24:25]
	v_pk_mul_f32 v[18:19], v[4:5], v[18:19] op_sel_hi:[0,1]
	global_store_b128 v[6:7], v[16:19], off
.LBB52_130:
	s_wait_xcnt 0x0
	s_or_b32 exec_lo, exec_lo, s4
	s_and_saveexec_b32 s4, s3
	s_cbranch_execz .LBB52_132
; %bb.131:
	v_dual_mov_b32 v6, v12 :: v_dual_mov_b32 v7, v2
	global_store_b64 v5, v[6:7], s[26:27] scale_offset
.LBB52_132:
	s_wait_xcnt 0x0
	s_or_b32 exec_lo, exec_lo, s4
	v_add_nc_u32_e32 v2, s33, v48
	s_delay_alu instid0(VALU_DEP_1)
	v_cmp_gt_i32_e32 vcc_lo, s30, v2
	s_and_b32 exec_lo, exec_lo, vcc_lo
	s_cbranch_execz .LBB52_153
; %bb.133:
	v_cmp_ne_u32_e32 vcc_lo, 1, v8
	v_mov_b32_e32 v2, 1.0
	s_cbranch_vccnz .LBB52_135
; %bb.134:
	v_div_scale_f32 v2, null, v3, v3, 1.0
	s_delay_alu instid0(VALU_DEP_1) | instskip(SKIP_1) | instid1(TRANS32_DEP_1)
	v_rcp_f32_e32 v4, v2
	v_nop
	v_fma_f32 v5, -v2, v4, 1.0
	s_delay_alu instid0(VALU_DEP_1) | instskip(SKIP_1) | instid1(VALU_DEP_1)
	v_fmac_f32_e32 v4, v5, v4
	v_div_scale_f32 v5, vcc_lo, 1.0, v3, 1.0
	v_mul_f32_e32 v6, v5, v4
	s_delay_alu instid0(VALU_DEP_1) | instskip(NEXT) | instid1(VALU_DEP_1)
	v_fma_f32 v7, -v2, v6, v5
	v_fmac_f32_e32 v6, v7, v4
	s_delay_alu instid0(VALU_DEP_1) | instskip(NEXT) | instid1(VALU_DEP_1)
	v_fma_f32 v2, -v2, v6, v5
	v_div_fmas_f32 v2, v2, v4, v6
	s_delay_alu instid0(VALU_DEP_1)
	v_div_fixup_f32 v2, v2, v3, 1.0
.LBB52_135:
	v_add_nc_u32_e32 v4, s1, v48
	s_delay_alu instid0(VALU_DEP_1) | instskip(NEXT) | instid1(VALU_DEP_1)
	v_mad_u32 v4, v4, s31, s19
	v_mad_u32 v4, s0, v4, s28
	s_and_saveexec_b32 s4, s2
	s_cbranch_execz .LBB52_137
; %bb.136:
	s_delay_alu instid0(VALU_DEP_1) | instskip(SKIP_4) | instid1(VALU_DEP_4)
	v_mad_u32 v6, 0x48, v4, v49
	v_dual_lshrrev_b32 v5, 16, v64 :: v_dual_lshrrev_b32 v9, 16, v65
	v_mov_b32_e32 v7, 0
	v_cvt_f32_f16_e32 v10, v64
	v_cvt_f32_f16_e32 v18, v65
	;; [unrolled: 1-line block ×4, first 2 shown]
	s_delay_alu instid0(VALU_DEP_2) | instskip(SKIP_1) | instid1(VALU_DEP_3)
	v_pk_mul_f32 v[16:17], v[2:3], v[10:11] op_sel_hi:[0,1]
	v_lshl_add_u64 v[6:7], v[6:7], 2, s[24:25]
	v_pk_mul_f32 v[18:19], v[2:3], v[18:19] op_sel_hi:[0,1]
	global_store_b128 v[6:7], v[16:19], off
.LBB52_137:
	s_wait_xcnt 0x0
	s_or_b32 exec_lo, exec_lo, s4
	s_and_saveexec_b32 s4, s3
	s_cbranch_execz .LBB52_139
; %bb.138:
	v_mov_b32_e32 v2, v13
	global_store_b64 v4, v[2:3], s[26:27] scale_offset
.LBB52_139:
	s_wait_xcnt 0x0
	s_or_b32 exec_lo, exec_lo, s4
	v_add_nc_u32_e32 v2, s33, v45
	s_delay_alu instid0(VALU_DEP_1)
	v_cmp_gt_i32_e32 vcc_lo, s30, v2
	s_and_b32 exec_lo, exec_lo, vcc_lo
	s_cbranch_execz .LBB52_153
; %bb.140:
	v_cmp_ne_u32_e32 vcc_lo, 1, v8
	v_mov_b32_e32 v2, 1.0
	s_cbranch_vccnz .LBB52_142
; %bb.141:
	v_div_scale_f32 v2, null, v0, v0, 1.0
	s_delay_alu instid0(VALU_DEP_1) | instskip(SKIP_1) | instid1(TRANS32_DEP_1)
	v_rcp_f32_e32 v3, v2
	v_nop
	v_fma_f32 v4, -v2, v3, 1.0
	s_delay_alu instid0(VALU_DEP_1) | instskip(SKIP_1) | instid1(VALU_DEP_1)
	v_fmac_f32_e32 v3, v4, v3
	v_div_scale_f32 v4, vcc_lo, 1.0, v0, 1.0
	v_mul_f32_e32 v5, v4, v3
	s_delay_alu instid0(VALU_DEP_1) | instskip(NEXT) | instid1(VALU_DEP_1)
	v_fma_f32 v6, -v2, v5, v4
	v_fmac_f32_e32 v5, v6, v3
	s_delay_alu instid0(VALU_DEP_1) | instskip(NEXT) | instid1(VALU_DEP_1)
	v_fma_f32 v2, -v2, v5, v4
	v_div_fmas_f32 v2, v2, v3, v5
	s_delay_alu instid0(VALU_DEP_1)
	v_div_fixup_f32 v2, v2, v0, 1.0
.LBB52_142:
	v_add_nc_u32_e32 v3, s1, v45
	s_delay_alu instid0(VALU_DEP_1) | instskip(NEXT) | instid1(VALU_DEP_1)
	v_mad_u32 v3, v3, s31, s19
	v_mad_u32 v3, s0, v3, s28
	s_and_saveexec_b32 s4, s2
	s_cbranch_execz .LBB52_144
; %bb.143:
	s_delay_alu instid0(VALU_DEP_1) | instskip(SKIP_4) | instid1(VALU_DEP_4)
	v_mad_u32 v6, 0x48, v3, v49
	v_dual_lshrrev_b32 v5, 16, v62 :: v_dual_lshrrev_b32 v9, 16, v63
	v_mov_b32_e32 v7, 0
	v_cvt_f32_f16_e32 v4, v62
	v_cvt_f32_f16_e32 v10, v63
	;; [unrolled: 1-line block ×4, first 2 shown]
	s_delay_alu instid0(VALU_DEP_2) | instskip(SKIP_1) | instid1(VALU_DEP_3)
	v_pk_mul_f32 v[4:5], v[2:3], v[4:5] op_sel_hi:[0,1]
	v_lshl_add_u64 v[12:13], v[6:7], 2, s[24:25]
	v_pk_mul_f32 v[6:7], v[2:3], v[10:11] op_sel_hi:[0,1]
	global_store_b128 v[12:13], v[4:7], off
.LBB52_144:
	s_wait_xcnt 0x0
	s_or_b32 exec_lo, exec_lo, s4
	s_and_saveexec_b32 s4, s3
	s_cbranch_execz .LBB52_146
; %bb.145:
	v_dual_mov_b32 v4, v14 :: v_dual_mov_b32 v5, v0
	global_store_b64 v3, v[4:5], s[26:27] scale_offset
.LBB52_146:
	s_wait_xcnt 0x0
	s_or_b32 exec_lo, exec_lo, s4
	v_add_nc_u32_e32 v0, s33, v43
	s_delay_alu instid0(VALU_DEP_1)
	v_cmp_gt_i32_e32 vcc_lo, s30, v0
	s_and_b32 exec_lo, exec_lo, vcc_lo
	s_cbranch_execz .LBB52_153
; %bb.147:
	v_cmp_ne_u32_e32 vcc_lo, 1, v8
	v_mov_b32_e32 v0, 1.0
	s_cbranch_vccnz .LBB52_149
; %bb.148:
	v_div_scale_f32 v0, null, v1, v1, 1.0
	s_delay_alu instid0(VALU_DEP_1) | instskip(SKIP_1) | instid1(TRANS32_DEP_1)
	v_rcp_f32_e32 v2, v0
	v_nop
	v_fma_f32 v3, -v0, v2, 1.0
	s_delay_alu instid0(VALU_DEP_1) | instskip(SKIP_1) | instid1(VALU_DEP_1)
	v_fmac_f32_e32 v2, v3, v2
	v_div_scale_f32 v3, vcc_lo, 1.0, v1, 1.0
	v_mul_f32_e32 v4, v3, v2
	s_delay_alu instid0(VALU_DEP_1) | instskip(NEXT) | instid1(VALU_DEP_1)
	v_fma_f32 v5, -v0, v4, v3
	v_fmac_f32_e32 v4, v5, v2
	s_delay_alu instid0(VALU_DEP_1) | instskip(NEXT) | instid1(VALU_DEP_1)
	v_fma_f32 v0, -v0, v4, v3
	v_div_fmas_f32 v0, v0, v2, v4
	s_delay_alu instid0(VALU_DEP_1)
	v_div_fixup_f32 v0, v0, v1, 1.0
.LBB52_149:
	v_add_nc_u32_e32 v2, s1, v43
	s_delay_alu instid0(VALU_DEP_1) | instskip(NEXT) | instid1(VALU_DEP_1)
	v_mad_u32 v2, v2, s31, s19
	v_mad_u32 v2, s0, v2, s28
	s_and_saveexec_b32 s0, s2
	s_cbranch_execz .LBB52_151
; %bb.150:
	s_delay_alu instid0(VALU_DEP_1) | instskip(SKIP_4) | instid1(VALU_DEP_4)
	v_mad_u32 v6, 0x48, v2, v49
	v_dual_lshrrev_b32 v3, 16, v60 :: v_dual_lshrrev_b32 v9, 16, v61
	v_mov_b32_e32 v7, 0
	v_cvt_f32_f16_e32 v4, v60
	v_cvt_f32_f16_e32 v8, v61
	;; [unrolled: 1-line block ×4, first 2 shown]
	s_delay_alu instid0(VALU_DEP_2) | instskip(SKIP_1) | instid1(VALU_DEP_3)
	v_pk_mul_f32 v[4:5], v[0:1], v[4:5] op_sel_hi:[0,1]
	v_lshl_add_u64 v[10:11], v[6:7], 2, s[24:25]
	v_pk_mul_f32 v[6:7], v[0:1], v[8:9] op_sel_hi:[0,1]
	global_store_b128 v[10:11], v[4:7], off
.LBB52_151:
	s_wait_xcnt 0x0
	s_or_b32 exec_lo, exec_lo, s0
	s_delay_alu instid0(SALU_CYCLE_1)
	s_and_b32 exec_lo, exec_lo, s3
	s_cbranch_execz .LBB52_153
; %bb.152:
	v_mov_b32_e32 v0, v15
	global_store_b64 v2, v[0:1], s[26:27] scale_offset
.LBB52_153:
	s_sendmsg sendmsg(MSG_DEALLOC_VGPRS)
	s_endpgm
	.section	.rodata,"a",@progbits
	.p2align	6, 0x0
	.amdhsa_kernel _ZL15flash_attn_tileILi72ELi72ELi64ELi1ELb0EEvPKcS1_S1_S1_S1_PKiPfP15HIP_vector_typeIfLj2EEffffjfiS5_IjLj3EEiiiiiiiiiiiliiliiiiil
		.amdhsa_group_segment_fixed_size 18656
		.amdhsa_private_segment_fixed_size 32
		.amdhsa_kernarg_size 464
		.amdhsa_user_sgpr_count 2
		.amdhsa_user_sgpr_dispatch_ptr 0
		.amdhsa_user_sgpr_queue_ptr 0
		.amdhsa_user_sgpr_kernarg_segment_ptr 1
		.amdhsa_user_sgpr_dispatch_id 0
		.amdhsa_user_sgpr_kernarg_preload_length 0
		.amdhsa_user_sgpr_kernarg_preload_offset 0
		.amdhsa_user_sgpr_private_segment_size 0
		.amdhsa_wavefront_size32 1
		.amdhsa_uses_dynamic_stack 0
		.amdhsa_enable_private_segment 1
		.amdhsa_system_sgpr_workgroup_id_x 1
		.amdhsa_system_sgpr_workgroup_id_y 1
		.amdhsa_system_sgpr_workgroup_id_z 1
		.amdhsa_system_sgpr_workgroup_info 0
		.amdhsa_system_vgpr_workitem_id 1
		.amdhsa_next_free_vgpr 155
		.amdhsa_next_free_sgpr 53
		.amdhsa_named_barrier_count 0
		.amdhsa_reserve_vcc 1
		.amdhsa_float_round_mode_32 0
		.amdhsa_float_round_mode_16_64 0
		.amdhsa_float_denorm_mode_32 3
		.amdhsa_float_denorm_mode_16_64 3
		.amdhsa_fp16_overflow 0
		.amdhsa_memory_ordered 1
		.amdhsa_forward_progress 1
		.amdhsa_inst_pref_size 255
		.amdhsa_round_robin_scheduling 0
		.amdhsa_exception_fp_ieee_invalid_op 0
		.amdhsa_exception_fp_denorm_src 0
		.amdhsa_exception_fp_ieee_div_zero 0
		.amdhsa_exception_fp_ieee_overflow 0
		.amdhsa_exception_fp_ieee_underflow 0
		.amdhsa_exception_fp_ieee_inexact 0
		.amdhsa_exception_int_div_zero 0
	.end_amdhsa_kernel
	.section	.text._ZL15flash_attn_tileILi72ELi72ELi64ELi1ELb0EEvPKcS1_S1_S1_S1_PKiPfP15HIP_vector_typeIfLj2EEffffjfiS5_IjLj3EEiiiiiiiiiiiliiliiiiil,"axG",@progbits,_ZL15flash_attn_tileILi72ELi72ELi64ELi1ELb0EEvPKcS1_S1_S1_S1_PKiPfP15HIP_vector_typeIfLj2EEffffjfiS5_IjLj3EEiiiiiiiiiiiliiliiiiil,comdat
.Lfunc_end52:
	.size	_ZL15flash_attn_tileILi72ELi72ELi64ELi1ELb0EEvPKcS1_S1_S1_S1_PKiPfP15HIP_vector_typeIfLj2EEffffjfiS5_IjLj3EEiiiiiiiiiiiliiliiiiil, .Lfunc_end52-_ZL15flash_attn_tileILi72ELi72ELi64ELi1ELb0EEvPKcS1_S1_S1_S1_PKiPfP15HIP_vector_typeIfLj2EEffffjfiS5_IjLj3EEiiiiiiiiiiiliiliiiiil
                                        ; -- End function
	.set _ZL15flash_attn_tileILi72ELi72ELi64ELi1ELb0EEvPKcS1_S1_S1_S1_PKiPfP15HIP_vector_typeIfLj2EEffffjfiS5_IjLj3EEiiiiiiiiiiiliiliiiiil.num_vgpr, 155
	.set _ZL15flash_attn_tileILi72ELi72ELi64ELi1ELb0EEvPKcS1_S1_S1_S1_PKiPfP15HIP_vector_typeIfLj2EEffffjfiS5_IjLj3EEiiiiiiiiiiiliiliiiiil.num_agpr, 0
	.set _ZL15flash_attn_tileILi72ELi72ELi64ELi1ELb0EEvPKcS1_S1_S1_S1_PKiPfP15HIP_vector_typeIfLj2EEffffjfiS5_IjLj3EEiiiiiiiiiiiliiliiiiil.numbered_sgpr, 53
	.set _ZL15flash_attn_tileILi72ELi72ELi64ELi1ELb0EEvPKcS1_S1_S1_S1_PKiPfP15HIP_vector_typeIfLj2EEffffjfiS5_IjLj3EEiiiiiiiiiiiliiliiiiil.num_named_barrier, 0
	.set _ZL15flash_attn_tileILi72ELi72ELi64ELi1ELb0EEvPKcS1_S1_S1_S1_PKiPfP15HIP_vector_typeIfLj2EEffffjfiS5_IjLj3EEiiiiiiiiiiiliiliiiiil.private_seg_size, 32
	.set _ZL15flash_attn_tileILi72ELi72ELi64ELi1ELb0EEvPKcS1_S1_S1_S1_PKiPfP15HIP_vector_typeIfLj2EEffffjfiS5_IjLj3EEiiiiiiiiiiiliiliiiiil.uses_vcc, 1
	.set _ZL15flash_attn_tileILi72ELi72ELi64ELi1ELb0EEvPKcS1_S1_S1_S1_PKiPfP15HIP_vector_typeIfLj2EEffffjfiS5_IjLj3EEiiiiiiiiiiiliiliiiiil.uses_flat_scratch, 1
	.set _ZL15flash_attn_tileILi72ELi72ELi64ELi1ELb0EEvPKcS1_S1_S1_S1_PKiPfP15HIP_vector_typeIfLj2EEffffjfiS5_IjLj3EEiiiiiiiiiiiliiliiiiil.has_dyn_sized_stack, 0
	.set _ZL15flash_attn_tileILi72ELi72ELi64ELi1ELb0EEvPKcS1_S1_S1_S1_PKiPfP15HIP_vector_typeIfLj2EEffffjfiS5_IjLj3EEiiiiiiiiiiiliiliiiiil.has_recursion, 0
	.set _ZL15flash_attn_tileILi72ELi72ELi64ELi1ELb0EEvPKcS1_S1_S1_S1_PKiPfP15HIP_vector_typeIfLj2EEffffjfiS5_IjLj3EEiiiiiiiiiiiliiliiiiil.has_indirect_call, 0
	.section	.AMDGPU.csdata,"",@progbits
; Kernel info:
; codeLenInByte = 37896
; TotalNumSgprs: 55
; NumVgprs: 155
; ScratchSize: 32
; MemoryBound: 0
; FloatMode: 240
; IeeeMode: 1
; LDSByteSize: 18656 bytes/workgroup (compile time only)
; SGPRBlocks: 0
; VGPRBlocks: 9
; NumSGPRsForWavesPerEU: 55
; NumVGPRsForWavesPerEU: 155
; NamedBarCnt: 0
; Occupancy: 6
; WaveLimiterHint : 1
; COMPUTE_PGM_RSRC2:SCRATCH_EN: 1
; COMPUTE_PGM_RSRC2:USER_SGPR: 2
; COMPUTE_PGM_RSRC2:TRAP_HANDLER: 0
; COMPUTE_PGM_RSRC2:TGID_X_EN: 1
; COMPUTE_PGM_RSRC2:TGID_Y_EN: 1
; COMPUTE_PGM_RSRC2:TGID_Z_EN: 1
; COMPUTE_PGM_RSRC2:TIDIG_COMP_CNT: 1
	.section	.text._ZL25flash_attn_mask_to_KV_maxILi64EEvPK7__half2Piiii,"axG",@progbits,_ZL25flash_attn_mask_to_KV_maxILi64EEvPK7__half2Piiii,comdat
	.globl	_ZL25flash_attn_mask_to_KV_maxILi64EEvPK7__half2Piiii ; -- Begin function _ZL25flash_attn_mask_to_KV_maxILi64EEvPK7__half2Piiii
	.p2align	8
	.type	_ZL25flash_attn_mask_to_KV_maxILi64EEvPK7__half2Piiii,@function
_ZL25flash_attn_mask_to_KV_maxILi64EEvPK7__half2Piiii: ; @_ZL25flash_attn_mask_to_KV_maxILi64EEvPK7__half2Piiii
; %bb.0:
	s_load_b128 s[4:7], s[0:1], 0x0
	s_mov_b32 s2, exec_lo
	v_cmpx_gt_u32_e32 32, v0
; %bb.1:
	v_dual_mov_b32 v2, 1 :: v_dual_lshlrev_b32 v1, 2, v0
	ds_store_b32 v1, v2
; %bb.2:
	s_or_b32 exec_lo, exec_lo, s2
	s_clause 0x1
	s_load_b96 s[8:10], s[0:1], 0x10
	s_load_b32 s11, s[0:1], 0x20
	s_wait_xcnt 0x0
	s_bfe_u32 s1, ttmp6, 0x4000c
	s_bfe_u32 s2, ttmp6, 0x40010
	s_add_co_i32 s1, s1, 1
	s_add_co_i32 s2, s2, 1
	s_and_b32 s0, ttmp6, 15
	s_bfe_u32 s3, ttmp6, 0x40004
	s_mul_i32 s1, ttmp9, s1
	s_mul_i32 s2, ttmp7, s2
	s_getreg_b32 s12, hwreg(HW_REG_IB_STS2, 6, 4)
	s_add_co_i32 s0, s0, s1
	s_add_co_i32 s3, s3, s2
	s_cmp_eq_u32 s12, 0
	v_dual_lshrrev_b32 v1, 3, v0 :: v_dual_bitop2_b32 v2, 31, v0 bitop3:0x40
	s_cselect_b32 s1, ttmp9, s0
	s_cselect_b32 s12, ttmp7, s3
	s_wait_dscnt 0x0
	s_barrier_signal -1
	s_wait_kmcnt 0x0
	s_mul_i32 s0, s1, s9
	s_mul_i32 s2, s10, s12
	s_lshl_b32 s0, s0, 6
	s_barrier_wait -1
	s_add_co_i32 s2, s2, s0
	v_cmp_eq_u32_e64 s0, 0, v2
	s_ashr_i32 s3, s2, 31
	v_lshlrev_b32_e32 v2, 2, v2
	s_lshl_b64 s[2:3], s[2:3], 2
	s_delay_alu instid0(SALU_CYCLE_1)
	s_add_nc_u64 s[2:3], s[4:5], s[2:3]
	s_lshl_b32 s5, s8, 8
	s_branch .LBB53_4
.LBB53_3:                               ;   in Loop: Header=BB53_4 Depth=1
	s_or_b32 exec_lo, exec_lo, s8
	s_wait_dscnt 0x0
	s_barrier_signal -1
	s_barrier_wait -1
	ds_load_b32 v3, v2
	s_wait_dscnt 0x0
	s_barrier_signal -1
	s_barrier_wait -1
	v_cmp_ne_u32_e32 vcc_lo, 0, v3
	s_cmp_lg_u32 vcc_lo, exec_lo
	s_cselect_b32 s8, -1, 0
	s_delay_alu instid0(SALU_CYCLE_1)
	s_and_b32 vcc_lo, exec_lo, s8
	s_cbranch_vccnz .LBB53_260
.LBB53_4:                               ; =>This Inner Loop Header: Depth=1
	s_mov_b32 s4, s5
	s_addk_co_i32 s5, 0xff00
	s_delay_alu instid0(SALU_CYCLE_1)
	s_cmp_lt_i32 s5, 0
	s_cbranch_scc1 .LBB53_259
; %bb.5:                                ;   in Loop: Header=BB53_4 Depth=1
	s_lshr_b32 s8, s5, 1
	s_delay_alu instid0(SALU_CYCLE_1) | instskip(SKIP_4) | instid1(VALU_DEP_2)
	v_add_nc_u32_e32 v3, s8, v0
	global_load_b32 v4, v3, s[2:3] scale_offset
	s_wait_loadcnt 0x0
	v_lshrrev_b32_e32 v5, 16, v4
	v_cmp_class_f16_e64 s8, v4, 0x204
	v_cmp_class_f16_e64 s10, v5, 0x204
	s_and_b32 s13, s8, s10
	s_mov_b32 s10, 0
	s_and_saveexec_b32 s8, s13
	s_cbranch_execz .LBB53_257
; %bb.6:                                ;   in Loop: Header=BB53_4 Depth=1
	v_add_nc_u32_e32 v3, s9, v3
	s_mov_b32 s13, 0
	global_load_b32 v4, v3, s[2:3] scale_offset
	s_wait_loadcnt 0x0
	v_cmp_class_f16_e64 s14, v4, 0x204
	s_and_saveexec_b32 s10, s14
	s_cbranch_execz .LBB53_256
; %bb.7:                                ;   in Loop: Header=BB53_4 Depth=1
	v_lshrrev_b32_e32 v4, 16, v4
	s_mov_b32 s14, 0
	s_delay_alu instid0(VALU_DEP_1)
	v_cmp_class_f16_e64 s15, v4, 0x204
	s_and_saveexec_b32 s13, s15
	s_cbranch_execz .LBB53_255
; %bb.8:                                ;   in Loop: Header=BB53_4 Depth=1
	v_add_nc_u32_e32 v3, s9, v3
	s_mov_b32 s15, 0
	global_load_b32 v4, v3, s[2:3] scale_offset
	s_wait_loadcnt 0x0
	v_cmp_class_f16_e64 s16, v4, 0x204
	s_and_saveexec_b32 s14, s16
	s_cbranch_execz .LBB53_254
; %bb.9:                                ;   in Loop: Header=BB53_4 Depth=1
	v_lshrrev_b32_e32 v4, 16, v4
	s_mov_b32 s16, 0
	s_delay_alu instid0(VALU_DEP_1)
	v_cmp_class_f16_e64 s17, v4, 0x204
	s_and_saveexec_b32 s15, s17
	s_cbranch_execz .LBB53_253
; %bb.10:                               ;   in Loop: Header=BB53_4 Depth=1
	v_add_nc_u32_e32 v3, s9, v3
	s_mov_b32 s17, 0
	global_load_b32 v4, v3, s[2:3] scale_offset
	s_wait_loadcnt 0x0
	v_cmp_class_f16_e64 s18, v4, 0x204
	s_and_saveexec_b32 s16, s18
	s_cbranch_execz .LBB53_252
; %bb.11:                               ;   in Loop: Header=BB53_4 Depth=1
	v_lshrrev_b32_e32 v4, 16, v4
	s_mov_b32 s18, 0
	s_delay_alu instid0(VALU_DEP_1)
	v_cmp_class_f16_e64 s19, v4, 0x204
	s_and_saveexec_b32 s17, s19
	s_cbranch_execz .LBB53_251
; %bb.12:                               ;   in Loop: Header=BB53_4 Depth=1
	v_add_nc_u32_e32 v3, s9, v3
	s_mov_b32 s19, 0
	global_load_b32 v4, v3, s[2:3] scale_offset
	s_wait_loadcnt 0x0
	v_cmp_class_f16_e64 s20, v4, 0x204
	s_and_saveexec_b32 s18, s20
	s_cbranch_execz .LBB53_250
; %bb.13:                               ;   in Loop: Header=BB53_4 Depth=1
	;; [unrolled: 15-line block ×24, first 2 shown]
	v_lshrrev_b32_e32 v4, 16, v4
	s_mov_b32 s65, 0
	s_delay_alu instid0(VALU_DEP_1)
	v_cmp_class_f16_e64 s66, v4, 0x204
	s_and_saveexec_b32 s64, s66
	s_cbranch_execz .LBB53_205
; %bb.58:                               ;   in Loop: Header=BB53_4 Depth=1
	v_add_nc_u32_e32 v3, s9, v3
	global_load_b32 v4, v3, s[2:3] scale_offset
	s_wait_loadcnt 0x0
	v_cmp_class_f16_e64 s66, v4, 0x204
	s_mov_b32 s67, exec_lo
	s_delay_alu instid0(SALU_CYCLE_1)
	s_and_b32 s66, s67, s66
                                        ; implicit-def: $vgpr7 : SGPR spill to VGPR lane
	v_writelane_b32 v7, s67, 0
	s_mov_b32 exec_lo, s66
	s_cbranch_execz .LBB53_204
; %bb.59:                               ;   in Loop: Header=BB53_4 Depth=1
	v_lshrrev_b32_e32 v4, 16, v4
	s_delay_alu instid0(VALU_DEP_1) | instskip(SKIP_1) | instid1(SALU_CYCLE_1)
	v_cmp_class_f16_e64 s66, v4, 0x204
	s_mov_b32 s67, exec_lo
	s_and_b32 s66, s67, s66
	v_writelane_b32 v7, s67, 1
	s_mov_b32 exec_lo, s66
	s_cbranch_execz .LBB53_203
; %bb.60:                               ;   in Loop: Header=BB53_4 Depth=1
	v_add_nc_u32_e32 v3, s9, v3
	global_load_b32 v4, v3, s[2:3] scale_offset
	s_wait_loadcnt 0x0
	v_cmp_class_f16_e64 s66, v4, 0x204
	s_mov_b32 s67, exec_lo
	s_delay_alu instid0(SALU_CYCLE_1)
	s_and_b32 s66, s67, s66
	v_writelane_b32 v7, s67, 2
	s_mov_b32 exec_lo, s66
	s_cbranch_execz .LBB53_202
; %bb.61:                               ;   in Loop: Header=BB53_4 Depth=1
	v_lshrrev_b32_e32 v4, 16, v4
	s_delay_alu instid0(VALU_DEP_1) | instskip(SKIP_1) | instid1(SALU_CYCLE_1)
	v_cmp_class_f16_e64 s66, v4, 0x204
	s_mov_b32 s67, exec_lo
	s_and_b32 s66, s67, s66
	v_writelane_b32 v7, s67, 3
	s_mov_b32 exec_lo, s66
	s_cbranch_execz .LBB53_201
; %bb.62:                               ;   in Loop: Header=BB53_4 Depth=1
	v_add_nc_u32_e32 v3, s9, v3
	global_load_b32 v4, v3, s[2:3] scale_offset
	s_wait_loadcnt 0x0
	v_cmp_class_f16_e64 s66, v4, 0x204
	s_mov_b32 s67, exec_lo
	s_delay_alu instid0(SALU_CYCLE_1)
	s_and_b32 s66, s67, s66
	v_writelane_b32 v7, s67, 4
	s_mov_b32 exec_lo, s66
	s_cbranch_execz .LBB53_200
; %bb.63:                               ;   in Loop: Header=BB53_4 Depth=1
	v_lshrrev_b32_e32 v4, 16, v4
	s_delay_alu instid0(VALU_DEP_1) | instskip(SKIP_1) | instid1(SALU_CYCLE_1)
	v_cmp_class_f16_e64 s66, v4, 0x204
	s_mov_b32 s67, exec_lo
	s_and_b32 s66, s67, s66
	v_writelane_b32 v7, s67, 5
	s_mov_b32 exec_lo, s66
	s_cbranch_execz .LBB53_199
; %bb.64:                               ;   in Loop: Header=BB53_4 Depth=1
	v_add_nc_u32_e32 v3, s9, v3
	global_load_b32 v4, v3, s[2:3] scale_offset
	s_wait_loadcnt 0x0
	v_cmp_class_f16_e64 s66, v4, 0x204
	s_mov_b32 s67, exec_lo
	s_delay_alu instid0(SALU_CYCLE_1)
	s_and_b32 s66, s67, s66
	v_writelane_b32 v7, s67, 6
	s_mov_b32 exec_lo, s66
	s_cbranch_execz .LBB53_198
; %bb.65:                               ;   in Loop: Header=BB53_4 Depth=1
	v_lshrrev_b32_e32 v4, 16, v4
	s_delay_alu instid0(VALU_DEP_1) | instskip(SKIP_1) | instid1(SALU_CYCLE_1)
	v_cmp_class_f16_e64 s66, v4, 0x204
	s_mov_b32 s67, exec_lo
	s_and_b32 s66, s67, s66
	v_writelane_b32 v7, s67, 7
	s_mov_b32 exec_lo, s66
	s_cbranch_execz .LBB53_197
; %bb.66:                               ;   in Loop: Header=BB53_4 Depth=1
	v_add_nc_u32_e32 v3, s9, v3
	global_load_b32 v4, v3, s[2:3] scale_offset
	s_wait_loadcnt 0x0
	v_cmp_class_f16_e64 s66, v4, 0x204
	s_mov_b32 s67, exec_lo
	s_delay_alu instid0(SALU_CYCLE_1)
	s_and_b32 s66, s67, s66
	v_writelane_b32 v7, s67, 8
	s_mov_b32 exec_lo, s66
	s_cbranch_execz .LBB53_196
; %bb.67:                               ;   in Loop: Header=BB53_4 Depth=1
	v_lshrrev_b32_e32 v4, 16, v4
	s_delay_alu instid0(VALU_DEP_1) | instskip(SKIP_1) | instid1(SALU_CYCLE_1)
	v_cmp_class_f16_e64 s66, v4, 0x204
	s_mov_b32 s67, exec_lo
	s_and_b32 s66, s67, s66
	v_writelane_b32 v7, s67, 9
	s_mov_b32 exec_lo, s66
	s_cbranch_execz .LBB53_195
; %bb.68:                               ;   in Loop: Header=BB53_4 Depth=1
	v_add_nc_u32_e32 v3, s9, v3
	global_load_b32 v4, v3, s[2:3] scale_offset
	s_wait_loadcnt 0x0
	v_cmp_class_f16_e64 s66, v4, 0x204
	s_mov_b32 s67, exec_lo
	s_delay_alu instid0(SALU_CYCLE_1)
	s_and_b32 s66, s67, s66
	v_writelane_b32 v7, s67, 10
	s_mov_b32 exec_lo, s66
	s_cbranch_execz .LBB53_194
; %bb.69:                               ;   in Loop: Header=BB53_4 Depth=1
	v_lshrrev_b32_e32 v4, 16, v4
	s_delay_alu instid0(VALU_DEP_1) | instskip(SKIP_1) | instid1(SALU_CYCLE_1)
	v_cmp_class_f16_e64 s66, v4, 0x204
	s_mov_b32 s67, exec_lo
	s_and_b32 s66, s67, s66
	v_writelane_b32 v7, s67, 11
	s_mov_b32 exec_lo, s66
	s_cbranch_execz .LBB53_193
; %bb.70:                               ;   in Loop: Header=BB53_4 Depth=1
	v_add_nc_u32_e32 v3, s9, v3
	global_load_b32 v4, v3, s[2:3] scale_offset
	s_wait_loadcnt 0x0
	v_cmp_class_f16_e64 s66, v4, 0x204
	s_mov_b32 s67, exec_lo
	s_delay_alu instid0(SALU_CYCLE_1)
	s_and_b32 s66, s67, s66
	v_writelane_b32 v7, s67, 12
	s_mov_b32 exec_lo, s66
	s_cbranch_execz .LBB53_192
; %bb.71:                               ;   in Loop: Header=BB53_4 Depth=1
	v_lshrrev_b32_e32 v4, 16, v4
	s_delay_alu instid0(VALU_DEP_1) | instskip(SKIP_1) | instid1(SALU_CYCLE_1)
	v_cmp_class_f16_e64 s66, v4, 0x204
	s_mov_b32 s67, exec_lo
	s_and_b32 s66, s67, s66
	v_writelane_b32 v7, s67, 13
	s_mov_b32 exec_lo, s66
	s_cbranch_execz .LBB53_191
; %bb.72:                               ;   in Loop: Header=BB53_4 Depth=1
	v_add_nc_u32_e32 v3, s9, v3
	global_load_b32 v4, v3, s[2:3] scale_offset
	s_wait_loadcnt 0x0
	v_cmp_class_f16_e64 s66, v4, 0x204
	s_mov_b32 s67, exec_lo
	s_delay_alu instid0(SALU_CYCLE_1)
	s_and_b32 s66, s67, s66
	v_writelane_b32 v7, s67, 14
	s_mov_b32 exec_lo, s66
	s_cbranch_execz .LBB53_190
; %bb.73:                               ;   in Loop: Header=BB53_4 Depth=1
	v_lshrrev_b32_e32 v4, 16, v4
	s_delay_alu instid0(VALU_DEP_1) | instskip(SKIP_1) | instid1(SALU_CYCLE_1)
	v_cmp_class_f16_e64 s66, v4, 0x204
	s_mov_b32 s67, exec_lo
	s_and_b32 s66, s67, s66
	v_writelane_b32 v7, s67, 15
	s_mov_b32 exec_lo, s66
	s_cbranch_execz .LBB53_189
; %bb.74:                               ;   in Loop: Header=BB53_4 Depth=1
	v_add_nc_u32_e32 v3, s9, v3
	global_load_b32 v4, v3, s[2:3] scale_offset
	s_wait_loadcnt 0x0
	v_cmp_class_f16_e64 s66, v4, 0x204
	s_mov_b32 s67, exec_lo
	s_delay_alu instid0(SALU_CYCLE_1)
	s_and_b32 s66, s67, s66
	v_writelane_b32 v7, s67, 16
	s_mov_b32 exec_lo, s66
	s_cbranch_execz .LBB53_188
; %bb.75:                               ;   in Loop: Header=BB53_4 Depth=1
	v_lshrrev_b32_e32 v4, 16, v4
	s_delay_alu instid0(VALU_DEP_1) | instskip(SKIP_1) | instid1(SALU_CYCLE_1)
	v_cmp_class_f16_e64 s66, v4, 0x204
	s_mov_b32 s67, exec_lo
	s_and_b32 s66, s67, s66
	v_writelane_b32 v7, s67, 17
	s_mov_b32 exec_lo, s66
	s_cbranch_execz .LBB53_187
; %bb.76:                               ;   in Loop: Header=BB53_4 Depth=1
	v_add_nc_u32_e32 v3, s9, v3
	global_load_b32 v4, v3, s[2:3] scale_offset
	s_wait_loadcnt 0x0
	v_cmp_class_f16_e64 s66, v4, 0x204
	s_mov_b32 s67, exec_lo
	s_delay_alu instid0(SALU_CYCLE_1)
	s_and_b32 s66, s67, s66
	v_writelane_b32 v7, s67, 18
	s_mov_b32 exec_lo, s66
	s_cbranch_execz .LBB53_186
; %bb.77:                               ;   in Loop: Header=BB53_4 Depth=1
	v_lshrrev_b32_e32 v4, 16, v4
	s_delay_alu instid0(VALU_DEP_1) | instskip(SKIP_1) | instid1(SALU_CYCLE_1)
	v_cmp_class_f16_e64 s66, v4, 0x204
	s_mov_b32 s67, exec_lo
	s_and_b32 s66, s67, s66
	v_writelane_b32 v7, s67, 19
	s_mov_b32 exec_lo, s66
	s_cbranch_execz .LBB53_185
; %bb.78:                               ;   in Loop: Header=BB53_4 Depth=1
	v_add_nc_u32_e32 v3, s9, v3
	global_load_b32 v4, v3, s[2:3] scale_offset
	s_wait_loadcnt 0x0
	v_cmp_class_f16_e64 s66, v4, 0x204
	s_mov_b32 s67, exec_lo
	s_delay_alu instid0(SALU_CYCLE_1)
	s_and_b32 s66, s67, s66
	v_writelane_b32 v7, s67, 20
	s_mov_b32 exec_lo, s66
	s_cbranch_execz .LBB53_184
; %bb.79:                               ;   in Loop: Header=BB53_4 Depth=1
	v_lshrrev_b32_e32 v4, 16, v4
	s_delay_alu instid0(VALU_DEP_1) | instskip(SKIP_1) | instid1(SALU_CYCLE_1)
	v_cmp_class_f16_e64 s66, v4, 0x204
	s_mov_b32 s67, exec_lo
	s_and_b32 s66, s67, s66
	v_writelane_b32 v7, s67, 21
	s_mov_b32 exec_lo, s66
	s_cbranch_execz .LBB53_183
; %bb.80:                               ;   in Loop: Header=BB53_4 Depth=1
	v_add_nc_u32_e32 v3, s9, v3
	global_load_b32 v4, v3, s[2:3] scale_offset
	s_wait_loadcnt 0x0
	v_cmp_class_f16_e64 s66, v4, 0x204
	s_mov_b32 s67, exec_lo
	s_delay_alu instid0(SALU_CYCLE_1)
	s_and_b32 s66, s67, s66
	v_writelane_b32 v7, s67, 22
	s_mov_b32 exec_lo, s66
	s_cbranch_execz .LBB53_182
; %bb.81:                               ;   in Loop: Header=BB53_4 Depth=1
	v_lshrrev_b32_e32 v4, 16, v4
	s_delay_alu instid0(VALU_DEP_1) | instskip(SKIP_1) | instid1(SALU_CYCLE_1)
	v_cmp_class_f16_e64 s66, v4, 0x204
	s_mov_b32 s67, exec_lo
	s_and_b32 s66, s67, s66
	v_writelane_b32 v7, s67, 23
	s_mov_b32 exec_lo, s66
	s_cbranch_execz .LBB53_181
; %bb.82:                               ;   in Loop: Header=BB53_4 Depth=1
	v_add_nc_u32_e32 v3, s9, v3
	global_load_b32 v4, v3, s[2:3] scale_offset
	s_wait_loadcnt 0x0
	v_cmp_class_f16_e64 s66, v4, 0x204
	s_mov_b32 s67, exec_lo
	s_delay_alu instid0(SALU_CYCLE_1)
	s_and_b32 s66, s67, s66
	v_writelane_b32 v7, s67, 24
	s_mov_b32 exec_lo, s66
	s_cbranch_execz .LBB53_180
; %bb.83:                               ;   in Loop: Header=BB53_4 Depth=1
	v_lshrrev_b32_e32 v4, 16, v4
	s_delay_alu instid0(VALU_DEP_1) | instskip(SKIP_1) | instid1(SALU_CYCLE_1)
	v_cmp_class_f16_e64 s66, v4, 0x204
	s_mov_b32 s67, exec_lo
	s_and_b32 s66, s67, s66
	v_writelane_b32 v7, s67, 25
	s_mov_b32 exec_lo, s66
	s_cbranch_execz .LBB53_179
; %bb.84:                               ;   in Loop: Header=BB53_4 Depth=1
	v_add_nc_u32_e32 v3, s9, v3
	global_load_b32 v4, v3, s[2:3] scale_offset
	s_wait_loadcnt 0x0
	v_cmp_class_f16_e64 s66, v4, 0x204
	s_mov_b32 s67, exec_lo
	s_delay_alu instid0(SALU_CYCLE_1)
	s_and_b32 s66, s67, s66
	v_writelane_b32 v7, s67, 26
	s_mov_b32 exec_lo, s66
	s_cbranch_execz .LBB53_178
; %bb.85:                               ;   in Loop: Header=BB53_4 Depth=1
	v_lshrrev_b32_e32 v4, 16, v4
	s_delay_alu instid0(VALU_DEP_1) | instskip(SKIP_1) | instid1(SALU_CYCLE_1)
	v_cmp_class_f16_e64 s66, v4, 0x204
	s_mov_b32 s67, exec_lo
	s_and_b32 s66, s67, s66
	v_writelane_b32 v7, s67, 27
	s_mov_b32 exec_lo, s66
	s_cbranch_execz .LBB53_177
; %bb.86:                               ;   in Loop: Header=BB53_4 Depth=1
	v_add_nc_u32_e32 v3, s9, v3
	global_load_b32 v4, v3, s[2:3] scale_offset
	s_wait_loadcnt 0x0
	v_cmp_class_f16_e64 s66, v4, 0x204
	s_mov_b32 s67, exec_lo
	s_delay_alu instid0(SALU_CYCLE_1)
	s_and_b32 s66, s67, s66
	v_writelane_b32 v7, s67, 28
	s_mov_b32 exec_lo, s66
	s_cbranch_execz .LBB53_176
; %bb.87:                               ;   in Loop: Header=BB53_4 Depth=1
	v_lshrrev_b32_e32 v4, 16, v4
	s_delay_alu instid0(VALU_DEP_1) | instskip(SKIP_1) | instid1(SALU_CYCLE_1)
	v_cmp_class_f16_e64 s66, v4, 0x204
	s_mov_b32 s67, exec_lo
	s_and_b32 s66, s67, s66
	v_writelane_b32 v7, s67, 29
	s_mov_b32 exec_lo, s66
	s_cbranch_execz .LBB53_175
; %bb.88:                               ;   in Loop: Header=BB53_4 Depth=1
	v_add_nc_u32_e32 v3, s9, v3
	global_load_b32 v4, v3, s[2:3] scale_offset
	s_wait_loadcnt 0x0
	v_cmp_class_f16_e64 s66, v4, 0x204
	s_mov_b32 s67, exec_lo
	s_delay_alu instid0(SALU_CYCLE_1)
	s_and_b32 s66, s67, s66
	v_writelane_b32 v7, s67, 30
	s_mov_b32 exec_lo, s66
	s_cbranch_execz .LBB53_174
; %bb.89:                               ;   in Loop: Header=BB53_4 Depth=1
	v_lshrrev_b32_e32 v4, 16, v4
	s_delay_alu instid0(VALU_DEP_1) | instskip(SKIP_1) | instid1(SALU_CYCLE_1)
	v_cmp_class_f16_e64 s66, v4, 0x204
	s_mov_b32 s67, exec_lo
	s_and_b32 s66, s67, s66
	v_writelane_b32 v7, s67, 31
	s_mov_b32 exec_lo, s66
	s_cbranch_execz .LBB53_173
; %bb.90:                               ;   in Loop: Header=BB53_4 Depth=1
	v_add_nc_u32_e32 v3, s9, v3
	global_load_b32 v4, v3, s[2:3] scale_offset
	s_wait_loadcnt 0x0
	v_cmp_class_f16_e64 s66, v4, 0x204
	s_mov_b32 s67, exec_lo
	s_delay_alu instid0(SALU_CYCLE_1)
	s_and_b32 s66, s67, s66
                                        ; implicit-def: $vgpr6 : SGPR spill to VGPR lane
	v_writelane_b32 v6, s67, 0
	s_mov_b32 exec_lo, s66
	s_cbranch_execz .LBB53_172
; %bb.91:                               ;   in Loop: Header=BB53_4 Depth=1
	v_lshrrev_b32_e32 v4, 16, v4
	s_delay_alu instid0(VALU_DEP_1)
	v_cmp_class_f16_e64 s66, v4, 0x204
	s_and_saveexec_b32 s98, s66
	s_cbranch_execz .LBB53_171
; %bb.92:                               ;   in Loop: Header=BB53_4 Depth=1
	v_add_nc_u32_e32 v3, s9, v3
	global_load_b32 v4, v3, s[2:3] scale_offset
	s_wait_loadcnt 0x0
	v_cmp_class_f16_e64 s66, v4, 0x204
	s_and_saveexec_b32 s99, s66
	s_cbranch_execz .LBB53_170
; %bb.93:                               ;   in Loop: Header=BB53_4 Depth=1
	v_lshrrev_b32_e32 v4, 16, v4
	s_delay_alu instid0(VALU_DEP_1)
	v_cmp_class_f16_e64 s66, v4, 0x204
	s_and_saveexec_b32 s100, s66
	s_cbranch_execz .LBB53_169
; %bb.94:                               ;   in Loop: Header=BB53_4 Depth=1
	v_add_nc_u32_e32 v3, s9, v3
	global_load_b32 v4, v3, s[2:3] scale_offset
	s_wait_loadcnt 0x0
	v_cmp_class_f16_e64 s66, v4, 0x204
	s_and_saveexec_b32 s101, s66
	;; [unrolled: 13-line block ×3, first 2 shown]
	s_cbranch_execz .LBB53_166
; %bb.97:                               ;   in Loop: Header=BB53_4 Depth=1
	v_lshrrev_b32_e32 v4, 16, v4
	s_delay_alu instid0(VALU_DEP_1)
	v_cmp_class_f16_e64 s66, v4, 0x204
	s_and_saveexec_b32 s104, s66
	s_cbranch_execz .LBB53_165
; %bb.98:                               ;   in Loop: Header=BB53_4 Depth=1
	v_add_nc_u32_e32 v3, s9, v3
	global_load_b32 v4, v3, s[2:3] scale_offset
	s_wait_loadcnt 0x0
	v_cmp_class_f16_e64 s66, v4, 0x204
	s_and_saveexec_b32 vcc_lo, s66
	s_cbranch_execz .LBB53_164
; %bb.99:                               ;   in Loop: Header=BB53_4 Depth=1
	v_lshrrev_b32_e32 v4, 16, v4
	s_delay_alu instid0(VALU_DEP_1)
	v_cmp_class_f16_e64 s66, v4, 0x204
	s_and_saveexec_b32 vcc_hi, s66
	s_cbranch_execz .LBB53_163
; %bb.100:                              ;   in Loop: Header=BB53_4 Depth=1
	v_add_nc_u32_e32 v3, s9, v3
	s_mov_b32 s66, 0
	global_load_b32 v4, v3, s[2:3] scale_offset
	s_wait_loadcnt 0x0
	v_cmp_class_f16_e64 s67, v4, 0x204
	s_and_saveexec_b32 s65, s67
	s_cbranch_execz .LBB53_162
; %bb.101:                              ;   in Loop: Header=BB53_4 Depth=1
	v_lshrrev_b32_e32 v4, 16, v4
	s_mov_b32 s67, 0
	s_delay_alu instid0(VALU_DEP_1)
	v_cmp_class_f16_e64 s68, v4, 0x204
	s_and_saveexec_b32 s66, s68
	s_cbranch_execz .LBB53_161
; %bb.102:                              ;   in Loop: Header=BB53_4 Depth=1
	v_add_nc_u32_e32 v3, s9, v3
	s_mov_b32 s68, 0
	global_load_b32 v4, v3, s[2:3] scale_offset
	s_wait_loadcnt 0x0
	v_cmp_class_f16_e64 s69, v4, 0x204
	s_and_saveexec_b32 s67, s69
	s_cbranch_execz .LBB53_160
; %bb.103:                              ;   in Loop: Header=BB53_4 Depth=1
	v_lshrrev_b32_e32 v4, 16, v4
	s_mov_b32 s69, 0
	s_delay_alu instid0(VALU_DEP_1)
	v_cmp_class_f16_e64 s70, v4, 0x204
	s_and_saveexec_b32 s68, s70
	;; [unrolled: 15-line block ×15, first 2 shown]
	s_cbranch_execz .LBB53_133
; %bb.130:                              ;   in Loop: Header=BB53_4 Depth=1
	v_add_nc_u32_e32 v3, s9, v3
	global_load_b32 v3, v3, s[2:3] scale_offset
	s_wait_loadcnt 0x0
	v_cmp_class_f16_e64 s97, v3, 0x204
	s_and_saveexec_b32 s96, s97
; %bb.131:                              ;   in Loop: Header=BB53_4 Depth=1
	v_lshrrev_b32_e32 v3, 16, v3
	s_delay_alu instid0(VALU_DEP_1)
	v_cmp_class_f16_e64 s95, v3, 0x204
	s_and_b32 s95, s95, exec_lo
; %bb.132:                              ;   in Loop: Header=BB53_4 Depth=1
	s_or_b32 exec_lo, exec_lo, s96
	s_delay_alu instid0(SALU_CYCLE_1)
	s_and_b32 s95, s95, exec_lo
.LBB53_133:                             ;   in Loop: Header=BB53_4 Depth=1
	s_or_b32 exec_lo, exec_lo, s94
	s_delay_alu instid0(SALU_CYCLE_1)
	s_and_b32 s94, s95, exec_lo
.LBB53_134:                             ;   in Loop: Header=BB53_4 Depth=1
	s_or_b32 exec_lo, exec_lo, s93
	s_delay_alu instid0(SALU_CYCLE_1)
	s_and_b32 s93, s94, exec_lo
.LBB53_135:                             ;   in Loop: Header=BB53_4 Depth=1
	s_or_b32 exec_lo, exec_lo, s92
	s_delay_alu instid0(SALU_CYCLE_1)
	s_and_b32 s92, s93, exec_lo
.LBB53_136:                             ;   in Loop: Header=BB53_4 Depth=1
	s_or_b32 exec_lo, exec_lo, s91
	s_delay_alu instid0(SALU_CYCLE_1)
	s_and_b32 s91, s92, exec_lo
.LBB53_137:                             ;   in Loop: Header=BB53_4 Depth=1
	s_or_b32 exec_lo, exec_lo, s90
	s_delay_alu instid0(SALU_CYCLE_1)
	s_and_b32 s90, s91, exec_lo
.LBB53_138:                             ;   in Loop: Header=BB53_4 Depth=1
	s_or_b32 exec_lo, exec_lo, s89
	s_delay_alu instid0(SALU_CYCLE_1)
	s_and_b32 s89, s90, exec_lo
.LBB53_139:                             ;   in Loop: Header=BB53_4 Depth=1
	s_or_b32 exec_lo, exec_lo, s88
	s_delay_alu instid0(SALU_CYCLE_1)
	s_and_b32 s88, s89, exec_lo
.LBB53_140:                             ;   in Loop: Header=BB53_4 Depth=1
	s_or_b32 exec_lo, exec_lo, s87
	s_delay_alu instid0(SALU_CYCLE_1)
	s_and_b32 s87, s88, exec_lo
.LBB53_141:                             ;   in Loop: Header=BB53_4 Depth=1
	s_or_b32 exec_lo, exec_lo, s86
	s_delay_alu instid0(SALU_CYCLE_1)
	s_and_b32 s86, s87, exec_lo
.LBB53_142:                             ;   in Loop: Header=BB53_4 Depth=1
	s_or_b32 exec_lo, exec_lo, s85
	s_delay_alu instid0(SALU_CYCLE_1)
	s_and_b32 s85, s86, exec_lo
.LBB53_143:                             ;   in Loop: Header=BB53_4 Depth=1
	s_or_b32 exec_lo, exec_lo, s84
	s_delay_alu instid0(SALU_CYCLE_1)
	s_and_b32 s84, s85, exec_lo
.LBB53_144:                             ;   in Loop: Header=BB53_4 Depth=1
	s_or_b32 exec_lo, exec_lo, s83
	s_delay_alu instid0(SALU_CYCLE_1)
	s_and_b32 s83, s84, exec_lo
.LBB53_145:                             ;   in Loop: Header=BB53_4 Depth=1
	s_or_b32 exec_lo, exec_lo, s82
	s_delay_alu instid0(SALU_CYCLE_1)
	s_and_b32 s82, s83, exec_lo
.LBB53_146:                             ;   in Loop: Header=BB53_4 Depth=1
	s_or_b32 exec_lo, exec_lo, s81
	s_delay_alu instid0(SALU_CYCLE_1)
	s_and_b32 s81, s82, exec_lo
.LBB53_147:                             ;   in Loop: Header=BB53_4 Depth=1
	s_or_b32 exec_lo, exec_lo, s80
	s_delay_alu instid0(SALU_CYCLE_1)
	s_and_b32 s80, s81, exec_lo
.LBB53_148:                             ;   in Loop: Header=BB53_4 Depth=1
	s_or_b32 exec_lo, exec_lo, s79
	s_delay_alu instid0(SALU_CYCLE_1)
	s_and_b32 s79, s80, exec_lo
.LBB53_149:                             ;   in Loop: Header=BB53_4 Depth=1
	s_or_b32 exec_lo, exec_lo, s78
	s_delay_alu instid0(SALU_CYCLE_1)
	s_and_b32 s78, s79, exec_lo
.LBB53_150:                             ;   in Loop: Header=BB53_4 Depth=1
	s_or_b32 exec_lo, exec_lo, s77
	s_delay_alu instid0(SALU_CYCLE_1)
	s_and_b32 s77, s78, exec_lo
.LBB53_151:                             ;   in Loop: Header=BB53_4 Depth=1
	s_or_b32 exec_lo, exec_lo, s76
	s_delay_alu instid0(SALU_CYCLE_1)
	s_and_b32 s76, s77, exec_lo
.LBB53_152:                             ;   in Loop: Header=BB53_4 Depth=1
	s_or_b32 exec_lo, exec_lo, s75
	s_delay_alu instid0(SALU_CYCLE_1)
	s_and_b32 s75, s76, exec_lo
.LBB53_153:                             ;   in Loop: Header=BB53_4 Depth=1
	s_or_b32 exec_lo, exec_lo, s74
	s_delay_alu instid0(SALU_CYCLE_1)
	s_and_b32 s74, s75, exec_lo
.LBB53_154:                             ;   in Loop: Header=BB53_4 Depth=1
	s_or_b32 exec_lo, exec_lo, s73
	s_delay_alu instid0(SALU_CYCLE_1)
	s_and_b32 s73, s74, exec_lo
.LBB53_155:                             ;   in Loop: Header=BB53_4 Depth=1
	s_or_b32 exec_lo, exec_lo, s72
	s_delay_alu instid0(SALU_CYCLE_1)
	s_and_b32 s72, s73, exec_lo
.LBB53_156:                             ;   in Loop: Header=BB53_4 Depth=1
	s_or_b32 exec_lo, exec_lo, s71
	s_delay_alu instid0(SALU_CYCLE_1)
	s_and_b32 s71, s72, exec_lo
.LBB53_157:                             ;   in Loop: Header=BB53_4 Depth=1
	s_or_b32 exec_lo, exec_lo, s70
	s_delay_alu instid0(SALU_CYCLE_1)
	s_and_b32 s70, s71, exec_lo
.LBB53_158:                             ;   in Loop: Header=BB53_4 Depth=1
	s_or_b32 exec_lo, exec_lo, s69
	s_delay_alu instid0(SALU_CYCLE_1)
	s_and_b32 s69, s70, exec_lo
.LBB53_159:                             ;   in Loop: Header=BB53_4 Depth=1
	s_or_b32 exec_lo, exec_lo, s68
	s_delay_alu instid0(SALU_CYCLE_1)
	s_and_b32 s68, s69, exec_lo
.LBB53_160:                             ;   in Loop: Header=BB53_4 Depth=1
	s_or_b32 exec_lo, exec_lo, s67
	s_delay_alu instid0(SALU_CYCLE_1)
	s_and_b32 s67, s68, exec_lo
.LBB53_161:                             ;   in Loop: Header=BB53_4 Depth=1
	s_or_b32 exec_lo, exec_lo, s66
	s_delay_alu instid0(SALU_CYCLE_1)
	s_and_b32 s66, s67, exec_lo
.LBB53_162:                             ;   in Loop: Header=BB53_4 Depth=1
	s_or_b32 exec_lo, exec_lo, s65
	s_delay_alu instid0(SALU_CYCLE_1)
	s_and_b32 s65, s66, exec_lo
.LBB53_163:                             ;   in Loop: Header=BB53_4 Depth=1
	s_or_b32 exec_lo, exec_lo, vcc_hi
	s_delay_alu instid0(SALU_CYCLE_1)
	s_and_b32 s65, s65, exec_lo
.LBB53_164:                             ;   in Loop: Header=BB53_4 Depth=1
	s_or_b32 exec_lo, exec_lo, vcc_lo
	s_delay_alu instid0(SALU_CYCLE_1)
	s_and_b32 s65, s65, exec_lo
.LBB53_165:                             ;   in Loop: Header=BB53_4 Depth=1
	s_or_b32 exec_lo, exec_lo, s104
	s_delay_alu instid0(SALU_CYCLE_1)
	s_and_b32 s65, s65, exec_lo
.LBB53_166:                             ;   in Loop: Header=BB53_4 Depth=1
	s_or_b32 exec_lo, exec_lo, s103
	s_delay_alu instid0(SALU_CYCLE_1)
	s_and_b32 s65, s65, exec_lo
.LBB53_167:                             ;   in Loop: Header=BB53_4 Depth=1
	s_or_b32 exec_lo, exec_lo, s102
	s_delay_alu instid0(SALU_CYCLE_1)
	s_and_b32 s65, s65, exec_lo
.LBB53_168:                             ;   in Loop: Header=BB53_4 Depth=1
	s_or_b32 exec_lo, exec_lo, s101
	s_delay_alu instid0(SALU_CYCLE_1)
	s_and_b32 s65, s65, exec_lo
.LBB53_169:                             ;   in Loop: Header=BB53_4 Depth=1
	s_or_b32 exec_lo, exec_lo, s100
	s_delay_alu instid0(SALU_CYCLE_1)
	s_and_b32 s65, s65, exec_lo
.LBB53_170:                             ;   in Loop: Header=BB53_4 Depth=1
	s_or_b32 exec_lo, exec_lo, s99
	s_delay_alu instid0(SALU_CYCLE_1)
	s_and_b32 s65, s65, exec_lo
.LBB53_171:                             ;   in Loop: Header=BB53_4 Depth=1
	s_or_b32 exec_lo, exec_lo, s98
	s_delay_alu instid0(SALU_CYCLE_1)
	s_and_b32 s65, s65, exec_lo
.LBB53_172:                             ;   in Loop: Header=BB53_4 Depth=1
	s_delay_alu instid0(VALU_DEP_1) | instskip(SKIP_1) | instid1(SALU_CYCLE_1)
	v_readlane_b32 s66, v6, 0
	s_or_b32 exec_lo, exec_lo, s66
	s_and_b32 s65, s65, exec_lo
.LBB53_173:                             ;   in Loop: Header=BB53_4 Depth=1
	s_delay_alu instid0(VALU_DEP_1) | instskip(SKIP_1) | instid1(SALU_CYCLE_1)
	v_readlane_b32 s66, v7, 31
	s_or_b32 exec_lo, exec_lo, s66
	s_and_b32 s65, s65, exec_lo
.LBB53_174:                             ;   in Loop: Header=BB53_4 Depth=1
	s_delay_alu instid0(VALU_DEP_1) | instskip(SKIP_1) | instid1(SALU_CYCLE_1)
	v_readlane_b32 s66, v7, 30
	s_or_b32 exec_lo, exec_lo, s66
	s_and_b32 s65, s65, exec_lo
.LBB53_175:                             ;   in Loop: Header=BB53_4 Depth=1
	s_delay_alu instid0(VALU_DEP_1) | instskip(SKIP_1) | instid1(SALU_CYCLE_1)
	v_readlane_b32 s66, v7, 29
	s_or_b32 exec_lo, exec_lo, s66
	s_and_b32 s65, s65, exec_lo
.LBB53_176:                             ;   in Loop: Header=BB53_4 Depth=1
	s_delay_alu instid0(VALU_DEP_1) | instskip(SKIP_1) | instid1(SALU_CYCLE_1)
	v_readlane_b32 s66, v7, 28
	s_or_b32 exec_lo, exec_lo, s66
	s_and_b32 s65, s65, exec_lo
.LBB53_177:                             ;   in Loop: Header=BB53_4 Depth=1
	s_delay_alu instid0(VALU_DEP_1) | instskip(SKIP_1) | instid1(SALU_CYCLE_1)
	v_readlane_b32 s66, v7, 27
	s_or_b32 exec_lo, exec_lo, s66
	s_and_b32 s65, s65, exec_lo
.LBB53_178:                             ;   in Loop: Header=BB53_4 Depth=1
	s_delay_alu instid0(VALU_DEP_1) | instskip(SKIP_1) | instid1(SALU_CYCLE_1)
	v_readlane_b32 s66, v7, 26
	s_or_b32 exec_lo, exec_lo, s66
	s_and_b32 s65, s65, exec_lo
.LBB53_179:                             ;   in Loop: Header=BB53_4 Depth=1
	s_delay_alu instid0(VALU_DEP_1) | instskip(SKIP_1) | instid1(SALU_CYCLE_1)
	v_readlane_b32 s66, v7, 25
	s_or_b32 exec_lo, exec_lo, s66
	s_and_b32 s65, s65, exec_lo
.LBB53_180:                             ;   in Loop: Header=BB53_4 Depth=1
	s_delay_alu instid0(VALU_DEP_1) | instskip(SKIP_1) | instid1(SALU_CYCLE_1)
	v_readlane_b32 s66, v7, 24
	s_or_b32 exec_lo, exec_lo, s66
	s_and_b32 s65, s65, exec_lo
.LBB53_181:                             ;   in Loop: Header=BB53_4 Depth=1
	s_delay_alu instid0(VALU_DEP_1) | instskip(SKIP_1) | instid1(SALU_CYCLE_1)
	v_readlane_b32 s66, v7, 23
	s_or_b32 exec_lo, exec_lo, s66
	s_and_b32 s65, s65, exec_lo
.LBB53_182:                             ;   in Loop: Header=BB53_4 Depth=1
	s_delay_alu instid0(VALU_DEP_1) | instskip(SKIP_1) | instid1(SALU_CYCLE_1)
	v_readlane_b32 s66, v7, 22
	s_or_b32 exec_lo, exec_lo, s66
	s_and_b32 s65, s65, exec_lo
.LBB53_183:                             ;   in Loop: Header=BB53_4 Depth=1
	s_delay_alu instid0(VALU_DEP_1) | instskip(SKIP_1) | instid1(SALU_CYCLE_1)
	v_readlane_b32 s66, v7, 21
	s_or_b32 exec_lo, exec_lo, s66
	s_and_b32 s65, s65, exec_lo
.LBB53_184:                             ;   in Loop: Header=BB53_4 Depth=1
	s_delay_alu instid0(VALU_DEP_1) | instskip(SKIP_1) | instid1(SALU_CYCLE_1)
	v_readlane_b32 s66, v7, 20
	s_or_b32 exec_lo, exec_lo, s66
	s_and_b32 s65, s65, exec_lo
.LBB53_185:                             ;   in Loop: Header=BB53_4 Depth=1
	s_delay_alu instid0(VALU_DEP_1) | instskip(SKIP_1) | instid1(SALU_CYCLE_1)
	v_readlane_b32 s66, v7, 19
	s_or_b32 exec_lo, exec_lo, s66
	s_and_b32 s65, s65, exec_lo
.LBB53_186:                             ;   in Loop: Header=BB53_4 Depth=1
	s_delay_alu instid0(VALU_DEP_1) | instskip(SKIP_1) | instid1(SALU_CYCLE_1)
	v_readlane_b32 s66, v7, 18
	s_or_b32 exec_lo, exec_lo, s66
	s_and_b32 s65, s65, exec_lo
.LBB53_187:                             ;   in Loop: Header=BB53_4 Depth=1
	s_delay_alu instid0(VALU_DEP_1) | instskip(SKIP_1) | instid1(SALU_CYCLE_1)
	v_readlane_b32 s66, v7, 17
	s_or_b32 exec_lo, exec_lo, s66
	s_and_b32 s65, s65, exec_lo
.LBB53_188:                             ;   in Loop: Header=BB53_4 Depth=1
	s_delay_alu instid0(VALU_DEP_1) | instskip(SKIP_1) | instid1(SALU_CYCLE_1)
	v_readlane_b32 s66, v7, 16
	s_or_b32 exec_lo, exec_lo, s66
	s_and_b32 s65, s65, exec_lo
.LBB53_189:                             ;   in Loop: Header=BB53_4 Depth=1
	s_delay_alu instid0(VALU_DEP_1) | instskip(SKIP_1) | instid1(SALU_CYCLE_1)
	v_readlane_b32 s66, v7, 15
	s_or_b32 exec_lo, exec_lo, s66
	s_and_b32 s65, s65, exec_lo
.LBB53_190:                             ;   in Loop: Header=BB53_4 Depth=1
	s_delay_alu instid0(VALU_DEP_1) | instskip(SKIP_1) | instid1(SALU_CYCLE_1)
	v_readlane_b32 s66, v7, 14
	s_or_b32 exec_lo, exec_lo, s66
	s_and_b32 s65, s65, exec_lo
.LBB53_191:                             ;   in Loop: Header=BB53_4 Depth=1
	s_delay_alu instid0(VALU_DEP_1) | instskip(SKIP_1) | instid1(SALU_CYCLE_1)
	v_readlane_b32 s66, v7, 13
	s_or_b32 exec_lo, exec_lo, s66
	s_and_b32 s65, s65, exec_lo
.LBB53_192:                             ;   in Loop: Header=BB53_4 Depth=1
	s_delay_alu instid0(VALU_DEP_1) | instskip(SKIP_1) | instid1(SALU_CYCLE_1)
	v_readlane_b32 s66, v7, 12
	s_or_b32 exec_lo, exec_lo, s66
	s_and_b32 s65, s65, exec_lo
.LBB53_193:                             ;   in Loop: Header=BB53_4 Depth=1
	s_delay_alu instid0(VALU_DEP_1) | instskip(SKIP_1) | instid1(SALU_CYCLE_1)
	v_readlane_b32 s66, v7, 11
	s_or_b32 exec_lo, exec_lo, s66
	s_and_b32 s65, s65, exec_lo
.LBB53_194:                             ;   in Loop: Header=BB53_4 Depth=1
	s_delay_alu instid0(VALU_DEP_1) | instskip(SKIP_1) | instid1(SALU_CYCLE_1)
	v_readlane_b32 s66, v7, 10
	s_or_b32 exec_lo, exec_lo, s66
	s_and_b32 s65, s65, exec_lo
.LBB53_195:                             ;   in Loop: Header=BB53_4 Depth=1
	s_delay_alu instid0(VALU_DEP_1) | instskip(SKIP_1) | instid1(SALU_CYCLE_1)
	v_readlane_b32 s66, v7, 9
	s_or_b32 exec_lo, exec_lo, s66
	s_and_b32 s65, s65, exec_lo
.LBB53_196:                             ;   in Loop: Header=BB53_4 Depth=1
	s_delay_alu instid0(VALU_DEP_1) | instskip(SKIP_1) | instid1(SALU_CYCLE_1)
	v_readlane_b32 s66, v7, 8
	s_or_b32 exec_lo, exec_lo, s66
	s_and_b32 s65, s65, exec_lo
.LBB53_197:                             ;   in Loop: Header=BB53_4 Depth=1
	s_delay_alu instid0(VALU_DEP_1) | instskip(SKIP_1) | instid1(SALU_CYCLE_1)
	v_readlane_b32 s66, v7, 7
	s_or_b32 exec_lo, exec_lo, s66
	s_and_b32 s65, s65, exec_lo
.LBB53_198:                             ;   in Loop: Header=BB53_4 Depth=1
	s_delay_alu instid0(VALU_DEP_1) | instskip(SKIP_1) | instid1(SALU_CYCLE_1)
	v_readlane_b32 s66, v7, 6
	s_or_b32 exec_lo, exec_lo, s66
	s_and_b32 s65, s65, exec_lo
.LBB53_199:                             ;   in Loop: Header=BB53_4 Depth=1
	s_delay_alu instid0(VALU_DEP_1) | instskip(SKIP_1) | instid1(SALU_CYCLE_1)
	v_readlane_b32 s66, v7, 5
	s_or_b32 exec_lo, exec_lo, s66
	s_and_b32 s65, s65, exec_lo
.LBB53_200:                             ;   in Loop: Header=BB53_4 Depth=1
	s_delay_alu instid0(VALU_DEP_1) | instskip(SKIP_1) | instid1(SALU_CYCLE_1)
	v_readlane_b32 s66, v7, 4
	s_or_b32 exec_lo, exec_lo, s66
	s_and_b32 s65, s65, exec_lo
.LBB53_201:                             ;   in Loop: Header=BB53_4 Depth=1
	s_delay_alu instid0(VALU_DEP_1) | instskip(SKIP_1) | instid1(SALU_CYCLE_1)
	v_readlane_b32 s66, v7, 3
	s_or_b32 exec_lo, exec_lo, s66
	s_and_b32 s65, s65, exec_lo
.LBB53_202:                             ;   in Loop: Header=BB53_4 Depth=1
	s_delay_alu instid0(VALU_DEP_1) | instskip(SKIP_1) | instid1(SALU_CYCLE_1)
	v_readlane_b32 s66, v7, 2
	s_or_b32 exec_lo, exec_lo, s66
	s_and_b32 s65, s65, exec_lo
.LBB53_203:                             ;   in Loop: Header=BB53_4 Depth=1
	s_delay_alu instid0(VALU_DEP_1) | instskip(SKIP_1) | instid1(SALU_CYCLE_1)
	v_readlane_b32 s66, v7, 1
	s_or_b32 exec_lo, exec_lo, s66
	s_and_b32 s65, s65, exec_lo
.LBB53_204:                             ;   in Loop: Header=BB53_4 Depth=1
	s_delay_alu instid0(VALU_DEP_1) | instskip(SKIP_1) | instid1(SALU_CYCLE_1)
	v_readlane_b32 s66, v7, 0
	s_or_b32 exec_lo, exec_lo, s66
	s_and_b32 s65, s65, exec_lo
.LBB53_205:                             ;   in Loop: Header=BB53_4 Depth=1
	s_or_b32 exec_lo, exec_lo, s64
	s_delay_alu instid0(SALU_CYCLE_1)
	s_and_b32 s64, s65, exec_lo
.LBB53_206:                             ;   in Loop: Header=BB53_4 Depth=1
	s_or_b32 exec_lo, exec_lo, s63
	s_delay_alu instid0(SALU_CYCLE_1)
	s_and_b32 s63, s64, exec_lo
.LBB53_207:                             ;   in Loop: Header=BB53_4 Depth=1
	s_or_b32 exec_lo, exec_lo, s62
	s_delay_alu instid0(SALU_CYCLE_1)
	s_and_b32 s62, s63, exec_lo
.LBB53_208:                             ;   in Loop: Header=BB53_4 Depth=1
	s_or_b32 exec_lo, exec_lo, s61
	s_delay_alu instid0(SALU_CYCLE_1)
	s_and_b32 s61, s62, exec_lo
.LBB53_209:                             ;   in Loop: Header=BB53_4 Depth=1
	s_or_b32 exec_lo, exec_lo, s60
	s_delay_alu instid0(SALU_CYCLE_1)
	s_and_b32 s60, s61, exec_lo
.LBB53_210:                             ;   in Loop: Header=BB53_4 Depth=1
	s_or_b32 exec_lo, exec_lo, s59
	s_delay_alu instid0(SALU_CYCLE_1)
	s_and_b32 s59, s60, exec_lo
.LBB53_211:                             ;   in Loop: Header=BB53_4 Depth=1
	s_or_b32 exec_lo, exec_lo, s58
	s_delay_alu instid0(SALU_CYCLE_1)
	s_and_b32 s58, s59, exec_lo
.LBB53_212:                             ;   in Loop: Header=BB53_4 Depth=1
	s_or_b32 exec_lo, exec_lo, s57
	s_delay_alu instid0(SALU_CYCLE_1)
	s_and_b32 s57, s58, exec_lo
.LBB53_213:                             ;   in Loop: Header=BB53_4 Depth=1
	s_or_b32 exec_lo, exec_lo, s56
	s_delay_alu instid0(SALU_CYCLE_1)
	s_and_b32 s56, s57, exec_lo
.LBB53_214:                             ;   in Loop: Header=BB53_4 Depth=1
	s_or_b32 exec_lo, exec_lo, s55
	s_delay_alu instid0(SALU_CYCLE_1)
	s_and_b32 s55, s56, exec_lo
.LBB53_215:                             ;   in Loop: Header=BB53_4 Depth=1
	s_or_b32 exec_lo, exec_lo, s54
	s_delay_alu instid0(SALU_CYCLE_1)
	s_and_b32 s54, s55, exec_lo
.LBB53_216:                             ;   in Loop: Header=BB53_4 Depth=1
	s_or_b32 exec_lo, exec_lo, s53
	s_delay_alu instid0(SALU_CYCLE_1)
	s_and_b32 s53, s54, exec_lo
.LBB53_217:                             ;   in Loop: Header=BB53_4 Depth=1
	s_or_b32 exec_lo, exec_lo, s52
	s_delay_alu instid0(SALU_CYCLE_1)
	s_and_b32 s52, s53, exec_lo
.LBB53_218:                             ;   in Loop: Header=BB53_4 Depth=1
	s_or_b32 exec_lo, exec_lo, s51
	s_delay_alu instid0(SALU_CYCLE_1)
	s_and_b32 s51, s52, exec_lo
.LBB53_219:                             ;   in Loop: Header=BB53_4 Depth=1
	s_or_b32 exec_lo, exec_lo, s50
	s_delay_alu instid0(SALU_CYCLE_1)
	s_and_b32 s50, s51, exec_lo
.LBB53_220:                             ;   in Loop: Header=BB53_4 Depth=1
	s_or_b32 exec_lo, exec_lo, s49
	s_delay_alu instid0(SALU_CYCLE_1)
	s_and_b32 s49, s50, exec_lo
.LBB53_221:                             ;   in Loop: Header=BB53_4 Depth=1
	s_or_b32 exec_lo, exec_lo, s48
	s_delay_alu instid0(SALU_CYCLE_1)
	s_and_b32 s48, s49, exec_lo
.LBB53_222:                             ;   in Loop: Header=BB53_4 Depth=1
	s_or_b32 exec_lo, exec_lo, s47
	s_delay_alu instid0(SALU_CYCLE_1)
	s_and_b32 s47, s48, exec_lo
.LBB53_223:                             ;   in Loop: Header=BB53_4 Depth=1
	s_or_b32 exec_lo, exec_lo, s46
	s_delay_alu instid0(SALU_CYCLE_1)
	s_and_b32 s46, s47, exec_lo
.LBB53_224:                             ;   in Loop: Header=BB53_4 Depth=1
	s_or_b32 exec_lo, exec_lo, s45
	s_delay_alu instid0(SALU_CYCLE_1)
	s_and_b32 s45, s46, exec_lo
.LBB53_225:                             ;   in Loop: Header=BB53_4 Depth=1
	s_or_b32 exec_lo, exec_lo, s44
	s_delay_alu instid0(SALU_CYCLE_1)
	s_and_b32 s44, s45, exec_lo
.LBB53_226:                             ;   in Loop: Header=BB53_4 Depth=1
	s_or_b32 exec_lo, exec_lo, s43
	s_delay_alu instid0(SALU_CYCLE_1)
	s_and_b32 s43, s44, exec_lo
.LBB53_227:                             ;   in Loop: Header=BB53_4 Depth=1
	s_or_b32 exec_lo, exec_lo, s42
	s_delay_alu instid0(SALU_CYCLE_1)
	s_and_b32 s42, s43, exec_lo
.LBB53_228:                             ;   in Loop: Header=BB53_4 Depth=1
	s_or_b32 exec_lo, exec_lo, s41
	s_delay_alu instid0(SALU_CYCLE_1)
	s_and_b32 s41, s42, exec_lo
.LBB53_229:                             ;   in Loop: Header=BB53_4 Depth=1
	s_or_b32 exec_lo, exec_lo, s40
	s_delay_alu instid0(SALU_CYCLE_1)
	s_and_b32 s40, s41, exec_lo
.LBB53_230:                             ;   in Loop: Header=BB53_4 Depth=1
	s_or_b32 exec_lo, exec_lo, s39
	s_delay_alu instid0(SALU_CYCLE_1)
	s_and_b32 s39, s40, exec_lo
.LBB53_231:                             ;   in Loop: Header=BB53_4 Depth=1
	s_or_b32 exec_lo, exec_lo, s38
	s_delay_alu instid0(SALU_CYCLE_1)
	s_and_b32 s38, s39, exec_lo
.LBB53_232:                             ;   in Loop: Header=BB53_4 Depth=1
	s_or_b32 exec_lo, exec_lo, s37
	s_delay_alu instid0(SALU_CYCLE_1)
	s_and_b32 s37, s38, exec_lo
.LBB53_233:                             ;   in Loop: Header=BB53_4 Depth=1
	s_or_b32 exec_lo, exec_lo, s36
	s_delay_alu instid0(SALU_CYCLE_1)
	s_and_b32 s36, s37, exec_lo
.LBB53_234:                             ;   in Loop: Header=BB53_4 Depth=1
	s_or_b32 exec_lo, exec_lo, s35
	s_delay_alu instid0(SALU_CYCLE_1)
	s_and_b32 s35, s36, exec_lo
.LBB53_235:                             ;   in Loop: Header=BB53_4 Depth=1
	s_or_b32 exec_lo, exec_lo, s34
	s_delay_alu instid0(SALU_CYCLE_1)
	s_and_b32 s34, s35, exec_lo
.LBB53_236:                             ;   in Loop: Header=BB53_4 Depth=1
	s_or_b32 exec_lo, exec_lo, s33
	s_delay_alu instid0(SALU_CYCLE_1)
	s_and_b32 s33, s34, exec_lo
.LBB53_237:                             ;   in Loop: Header=BB53_4 Depth=1
	s_or_b32 exec_lo, exec_lo, s31
	s_delay_alu instid0(SALU_CYCLE_1)
	s_and_b32 s31, s33, exec_lo
.LBB53_238:                             ;   in Loop: Header=BB53_4 Depth=1
	s_or_b32 exec_lo, exec_lo, s30
	s_delay_alu instid0(SALU_CYCLE_1)
	s_and_b32 s30, s31, exec_lo
.LBB53_239:                             ;   in Loop: Header=BB53_4 Depth=1
	s_or_b32 exec_lo, exec_lo, s29
	s_delay_alu instid0(SALU_CYCLE_1)
	s_and_b32 s29, s30, exec_lo
.LBB53_240:                             ;   in Loop: Header=BB53_4 Depth=1
	s_or_b32 exec_lo, exec_lo, s28
	s_delay_alu instid0(SALU_CYCLE_1)
	s_and_b32 s28, s29, exec_lo
.LBB53_241:                             ;   in Loop: Header=BB53_4 Depth=1
	s_or_b32 exec_lo, exec_lo, s27
	s_delay_alu instid0(SALU_CYCLE_1)
	s_and_b32 s27, s28, exec_lo
.LBB53_242:                             ;   in Loop: Header=BB53_4 Depth=1
	s_or_b32 exec_lo, exec_lo, s26
	s_delay_alu instid0(SALU_CYCLE_1)
	s_and_b32 s26, s27, exec_lo
.LBB53_243:                             ;   in Loop: Header=BB53_4 Depth=1
	s_or_b32 exec_lo, exec_lo, s25
	s_delay_alu instid0(SALU_CYCLE_1)
	s_and_b32 s25, s26, exec_lo
.LBB53_244:                             ;   in Loop: Header=BB53_4 Depth=1
	s_or_b32 exec_lo, exec_lo, s24
	s_delay_alu instid0(SALU_CYCLE_1)
	s_and_b32 s24, s25, exec_lo
.LBB53_245:                             ;   in Loop: Header=BB53_4 Depth=1
	s_or_b32 exec_lo, exec_lo, s23
	s_delay_alu instid0(SALU_CYCLE_1)
	s_and_b32 s23, s24, exec_lo
.LBB53_246:                             ;   in Loop: Header=BB53_4 Depth=1
	s_or_b32 exec_lo, exec_lo, s22
	s_delay_alu instid0(SALU_CYCLE_1)
	s_and_b32 s22, s23, exec_lo
.LBB53_247:                             ;   in Loop: Header=BB53_4 Depth=1
	s_or_b32 exec_lo, exec_lo, s21
	s_delay_alu instid0(SALU_CYCLE_1)
	s_and_b32 s21, s22, exec_lo
.LBB53_248:                             ;   in Loop: Header=BB53_4 Depth=1
	s_or_b32 exec_lo, exec_lo, s20
	s_delay_alu instid0(SALU_CYCLE_1)
	s_and_b32 s20, s21, exec_lo
.LBB53_249:                             ;   in Loop: Header=BB53_4 Depth=1
	s_or_b32 exec_lo, exec_lo, s19
	s_delay_alu instid0(SALU_CYCLE_1)
	s_and_b32 s19, s20, exec_lo
.LBB53_250:                             ;   in Loop: Header=BB53_4 Depth=1
	s_or_b32 exec_lo, exec_lo, s18
	s_delay_alu instid0(SALU_CYCLE_1)
	s_and_b32 s18, s19, exec_lo
.LBB53_251:                             ;   in Loop: Header=BB53_4 Depth=1
	s_or_b32 exec_lo, exec_lo, s17
	s_delay_alu instid0(SALU_CYCLE_1)
	s_and_b32 s17, s18, exec_lo
.LBB53_252:                             ;   in Loop: Header=BB53_4 Depth=1
	s_or_b32 exec_lo, exec_lo, s16
	s_delay_alu instid0(SALU_CYCLE_1)
	s_and_b32 s16, s17, exec_lo
.LBB53_253:                             ;   in Loop: Header=BB53_4 Depth=1
	s_or_b32 exec_lo, exec_lo, s15
	s_delay_alu instid0(SALU_CYCLE_1)
	s_and_b32 s15, s16, exec_lo
.LBB53_254:                             ;   in Loop: Header=BB53_4 Depth=1
	s_or_b32 exec_lo, exec_lo, s14
	s_delay_alu instid0(SALU_CYCLE_1)
	s_and_b32 s14, s15, exec_lo
.LBB53_255:                             ;   in Loop: Header=BB53_4 Depth=1
	s_or_b32 exec_lo, exec_lo, s13
	s_delay_alu instid0(SALU_CYCLE_1)
	s_and_b32 s13, s14, exec_lo
.LBB53_256:                             ;   in Loop: Header=BB53_4 Depth=1
	s_or_b32 exec_lo, exec_lo, s10
	s_delay_alu instid0(SALU_CYCLE_1)
	s_and_b32 s10, s13, exec_lo
.LBB53_257:                             ;   in Loop: Header=BB53_4 Depth=1
	s_or_b32 exec_lo, exec_lo, s8
	v_cndmask_b32_e64 v3, 0, 1, s10
	s_mov_b32 s13, exec_lo
	s_delay_alu instid0(VALU_DEP_1)
	v_cmp_ne_u32_e32 vcc_lo, 0, v3
	s_and_saveexec_b32 s8, s0
	s_cbranch_execz .LBB53_3
; %bb.258:                              ;   in Loop: Header=BB53_4 Depth=1
	s_cmp_eq_u32 vcc_lo, s13
	s_cselect_b32 s10, -1, 0
	s_delay_alu instid0(SALU_CYCLE_1)
	v_cndmask_b32_e64 v3, 0, 1, s10
	ds_store_b32 v1, v3
	s_branch .LBB53_3
.LBB53_259:                             ;   in Loop: Header=BB53_4 Depth=1
	s_cbranch_execz .LBB53_4
.LBB53_260:
	s_mov_b32 s0, exec_lo
	v_cmpx_eq_u32_e32 0, v0
	s_cbranch_execz .LBB53_262
; %bb.261:
	s_mul_i32 s0, s11, s12
	v_mov_b32_e32 v1, s4
	s_add_co_i32 s0, s0, s1
	s_delay_alu instid0(SALU_CYCLE_1)
	v_mov_b32_e32 v0, s0
	global_store_b32 v0, v1, s[6:7] scale_offset
.LBB53_262:
	s_endpgm
	.section	.rodata,"a",@progbits
	.p2align	6, 0x0
	.amdhsa_kernel _ZL25flash_attn_mask_to_KV_maxILi64EEvPK7__half2Piiii
		.amdhsa_group_segment_fixed_size 128
		.amdhsa_private_segment_fixed_size 0
		.amdhsa_kernarg_size 288
		.amdhsa_user_sgpr_count 2
		.amdhsa_user_sgpr_dispatch_ptr 0
		.amdhsa_user_sgpr_queue_ptr 0
		.amdhsa_user_sgpr_kernarg_segment_ptr 1
		.amdhsa_user_sgpr_dispatch_id 0
		.amdhsa_user_sgpr_kernarg_preload_length 0
		.amdhsa_user_sgpr_kernarg_preload_offset 0
		.amdhsa_user_sgpr_private_segment_size 0
		.amdhsa_wavefront_size32 1
		.amdhsa_uses_dynamic_stack 0
		.amdhsa_enable_private_segment 0
		.amdhsa_system_sgpr_workgroup_id_x 1
		.amdhsa_system_sgpr_workgroup_id_y 1
		.amdhsa_system_sgpr_workgroup_id_z 0
		.amdhsa_system_sgpr_workgroup_info 0
		.amdhsa_system_vgpr_workitem_id 0
		.amdhsa_next_free_vgpr 8
		.amdhsa_next_free_sgpr 105
		.amdhsa_named_barrier_count 0
		.amdhsa_reserve_vcc 1
		.amdhsa_float_round_mode_32 0
		.amdhsa_float_round_mode_16_64 0
		.amdhsa_float_denorm_mode_32 3
		.amdhsa_float_denorm_mode_16_64 3
		.amdhsa_fp16_overflow 0
		.amdhsa_memory_ordered 1
		.amdhsa_forward_progress 1
		.amdhsa_inst_pref_size 59
		.amdhsa_round_robin_scheduling 0
		.amdhsa_exception_fp_ieee_invalid_op 0
		.amdhsa_exception_fp_denorm_src 0
		.amdhsa_exception_fp_ieee_div_zero 0
		.amdhsa_exception_fp_ieee_overflow 0
		.amdhsa_exception_fp_ieee_underflow 0
		.amdhsa_exception_fp_ieee_inexact 0
		.amdhsa_exception_int_div_zero 0
	.end_amdhsa_kernel
	.section	.text._ZL25flash_attn_mask_to_KV_maxILi64EEvPK7__half2Piiii,"axG",@progbits,_ZL25flash_attn_mask_to_KV_maxILi64EEvPK7__half2Piiii,comdat
.Lfunc_end53:
	.size	_ZL25flash_attn_mask_to_KV_maxILi64EEvPK7__half2Piiii, .Lfunc_end53-_ZL25flash_attn_mask_to_KV_maxILi64EEvPK7__half2Piiii
                                        ; -- End function
	.set _ZL25flash_attn_mask_to_KV_maxILi64EEvPK7__half2Piiii.num_vgpr, 8
	.set _ZL25flash_attn_mask_to_KV_maxILi64EEvPK7__half2Piiii.num_agpr, 0
	.set _ZL25flash_attn_mask_to_KV_maxILi64EEvPK7__half2Piiii.numbered_sgpr, 105
	.set _ZL25flash_attn_mask_to_KV_maxILi64EEvPK7__half2Piiii.num_named_barrier, 0
	.set _ZL25flash_attn_mask_to_KV_maxILi64EEvPK7__half2Piiii.private_seg_size, 0
	.set _ZL25flash_attn_mask_to_KV_maxILi64EEvPK7__half2Piiii.uses_vcc, 1
	.set _ZL25flash_attn_mask_to_KV_maxILi64EEvPK7__half2Piiii.uses_flat_scratch, 0
	.set _ZL25flash_attn_mask_to_KV_maxILi64EEvPK7__half2Piiii.has_dyn_sized_stack, 0
	.set _ZL25flash_attn_mask_to_KV_maxILi64EEvPK7__half2Piiii.has_recursion, 0
	.set _ZL25flash_attn_mask_to_KV_maxILi64EEvPK7__half2Piiii.has_indirect_call, 0
	.section	.AMDGPU.csdata,"",@progbits
; Kernel info:
; codeLenInByte = 7440
; TotalNumSgprs: 107
; NumVgprs: 8
; ScratchSize: 0
; MemoryBound: 0
; FloatMode: 240
; IeeeMode: 1
; LDSByteSize: 128 bytes/workgroup (compile time only)
; SGPRBlocks: 0
; VGPRBlocks: 0
; NumSGPRsForWavesPerEU: 107
; NumVGPRsForWavesPerEU: 8
; NamedBarCnt: 0
; Occupancy: 16
; WaveLimiterHint : 0
; COMPUTE_PGM_RSRC2:SCRATCH_EN: 0
; COMPUTE_PGM_RSRC2:USER_SGPR: 2
; COMPUTE_PGM_RSRC2:TRAP_HANDLER: 0
; COMPUTE_PGM_RSRC2:TGID_X_EN: 1
; COMPUTE_PGM_RSRC2:TGID_Y_EN: 1
; COMPUTE_PGM_RSRC2:TGID_Z_EN: 0
; COMPUTE_PGM_RSRC2:TIDIG_COMP_CNT: 0
	.section	.text._ZL33flash_attn_stream_k_fixup_uniformILi72ELi64ELi1EEvPfPK15HIP_vector_typeIfLj2EEiiiiiiS1_IjLj3EES5_S5_,"axG",@progbits,_ZL33flash_attn_stream_k_fixup_uniformILi72ELi64ELi1EEvPfPK15HIP_vector_typeIfLj2EEiiiiiiS1_IjLj3EES5_S5_,comdat
	.globl	_ZL33flash_attn_stream_k_fixup_uniformILi72ELi64ELi1EEvPfPK15HIP_vector_typeIfLj2EEiiiiiiS1_IjLj3EES5_S5_ ; -- Begin function _ZL33flash_attn_stream_k_fixup_uniformILi72ELi64ELi1EEvPfPK15HIP_vector_typeIfLj2EEiiiiiiS1_IjLj3EES5_S5_
	.p2align	8
	.type	_ZL33flash_attn_stream_k_fixup_uniformILi72ELi64ELi1EEvPfPK15HIP_vector_typeIfLj2EEiiiiiiS1_IjLj3EES5_S5_,@function
_ZL33flash_attn_stream_k_fixup_uniformILi72ELi64ELi1EEvPfPK15HIP_vector_typeIfLj2EEiiiiiiS1_IjLj3EES5_S5_: ; @_ZL33flash_attn_stream_k_fixup_uniformILi72ELi64ELi1EEvPfPK15HIP_vector_typeIfLj2EEiiiiiiS1_IjLj3EES5_S5_
; %bb.0:
	s_load_b256 s[4:11], s[0:1], 0x1c
	s_bfe_u32 s2, ttmp6, 0x40014
	s_lshr_b32 s3, ttmp7, 16
	s_add_co_i32 s2, s2, 1
	s_bfe_u32 s13, ttmp6, 0x40010
	s_mul_i32 s2, s3, s2
	s_bfe_u32 s12, ttmp6, 0x40008
	s_and_b32 s14, ttmp7, 0xffff
	s_add_co_i32 s13, s13, 1
	s_bfe_u32 s15, ttmp6, 0x4000c
	s_add_co_i32 s2, s12, s2
	s_mul_i32 s12, s14, s13
	s_bfe_u32 s13, ttmp6, 0x40004
	s_add_co_i32 s15, s15, 1
	s_add_co_i32 s13, s13, s12
	s_and_b32 s12, ttmp6, 15
	s_mul_i32 s15, ttmp9, s15
	s_getreg_b32 s20, hwreg(HW_REG_IB_STS2, 6, 4)
	s_add_co_i32 s12, s12, s15
	s_load_b128 s[16:19], s[0:1], 0x3c
	s_cmp_eq_u32 s20, 0
	s_cselect_b32 s12, ttmp9, s12
	s_cselect_b32 s13, s14, s13
	s_wait_kmcnt 0x0
	s_mul_hi_u32 s7, s7, s12
	s_cselect_b32 s14, s3, s2
	s_add_co_i32 s2, s12, s7
	s_delay_alu instid0(SALU_CYCLE_1) | instskip(NEXT) | instid1(SALU_CYCLE_1)
	s_lshr_b32 s7, s2, s8
	s_mul_i32 s2, s7, s9
	s_delay_alu instid0(SALU_CYCLE_1) | instskip(NEXT) | instid1(SALU_CYCLE_1)
	s_sub_co_i32 s8, s12, s2
	s_mul_hi_u32 s2, s8, s10
	s_delay_alu instid0(SALU_CYCLE_1) | instskip(SKIP_2) | instid1(SALU_CYCLE_1)
	s_add_co_i32 s9, s8, s2
	s_load_b64 s[2:3], s[0:1], 0x10
	s_lshr_b32 s15, s9, s11
	s_mul_i32 s9, s15, s16
	s_delay_alu instid0(SALU_CYCLE_1) | instskip(NEXT) | instid1(SALU_CYCLE_1)
	s_sub_co_i32 s8, s8, s9
	s_mul_hi_u32 s9, s8, s17
	s_delay_alu instid0(SALU_CYCLE_1) | instskip(NEXT) | instid1(SALU_CYCLE_1)
	s_add_co_i32 s9, s8, s9
	s_lshr_b32 s17, s9, s18
	s_delay_alu instid0(SALU_CYCLE_1) | instskip(NEXT) | instid1(SALU_CYCLE_1)
	s_mul_i32 s9, s17, s19
	s_sub_co_i32 s16, s8, s9
	s_delay_alu instid0(SALU_CYCLE_1) | instskip(NEXT) | instid1(SALU_CYCLE_1)
	s_lshl_b32 s8, s16, 6
	s_add_co_i32 s8, s8, s13
	s_wait_kmcnt 0x0
	s_cmp_lt_i32 s8, s2
	s_cselect_b32 s8, -1, 0
	s_add_co_i32 s17, s17, s14
	s_delay_alu instid0(SALU_CYCLE_1) | instskip(SKIP_1) | instid1(SALU_CYCLE_1)
	s_cmp_lt_i32 s17, s5
	s_cselect_b32 s9, -1, 0
	s_and_b32 s8, s8, s9
	s_delay_alu instid0(SALU_CYCLE_1)
	s_and_not1_b32 vcc_lo, exec_lo, s8
	s_cbranch_vccnz .LBB54_6
; %bb.1:
	s_load_b128 s[8:11], s[0:1], 0x0
	s_wait_xcnt 0x0
	s_mul_i32 s0, s7, s2
	s_mul_i32 s15, s15, s5
	s_add_co_i32 s0, s0, s13
	s_add_co_i32 s1, s17, s15
	s_mul_i32 s0, s0, s3
	s_mul_i32 s2, s3, s16
	s_add_co_i32 s0, s1, s0
	s_mulk_i32 s2, 0x1200
	s_mulk_i32 s0, 0x48
	s_mul_i32 s7, s6, s12
	v_add3_u32 v4, s0, s2, v0
	s_add_co_i32 s5, s7, s6
	s_add_co_i32 s13, s13, s14
	s_lshl_b32 s0, s5, 6
	s_add_co_i32 s2, s5, -2
	s_add_co_i32 s0, s13, s0
	v_ashrrev_i32_e32 v5, 31, v4
	s_sub_co_i32 s0, s0, 64
	s_delay_alu instid0(SALU_CYCLE_1)
	s_ashr_i32 s1, s0, 31
	s_wait_kmcnt 0x0
	global_load_b32 v3, v4, s[8:9] scale_offset
	s_lshl_b64 s[0:1], s[0:1], 3
	s_cmp_lt_i32 s2, s7
	s_add_nc_u64 s[0:1], s[10:11], s[0:1]
	s_load_b32 s14, s[0:1], 0x4
	s_cbranch_scc1 .LBB54_4
; %bb.2:
	s_wait_xcnt 0x0
	s_load_b32 s0, s[0:1], 0x0
	s_add_co_i32 s12, s12, 1
	s_lshl_b32 s2, s4, 8
	s_wait_xcnt 0x0
	s_mul_i32 s1, s6, s12
	s_mul_i32 s6, s13, 0x48
	s_lshl_b32 s12, s1, 6
	s_mulk_i32 s1, 0x1200
	s_ashr_i32 s3, s2, 31
	s_add_co_i32 s6, s6, s1
	s_add_co_i32 s12, s13, s12
	s_lshl_b32 s1, s4, 6
	v_add3_u32 v0, s6, v0, 0xffffdc00
	s_wait_kmcnt 0x0
	v_mov_b32_e32 v2, s14
	s_lshl_b64 s[2:3], s[2:3], 2
	s_add_co_i32 s4, s12, s1
	s_add_nc_u64 s[2:3], s[10:11], s[2:3]
	s_add_co_i32 s1, s5, -1
	s_addk_co_i32 s4, 0xff80
.LBB54_3:                               ; =>This Inner Loop Header: Depth=1
	global_load_b32 v7, v0, s[2:3] scale_offset
	s_ashr_i32 s5, s4, 31
	v_max_num_f32_e64 v1, s0, s0
	s_lshl_b64 s[12:13], s[4:5], 3
	s_delay_alu instid0(SALU_CYCLE_1) | instskip(SKIP_1) | instid1(VALU_DEP_1)
	s_add_nc_u64 s[12:13], s[10:11], s[12:13]
	s_load_b64 s[12:13], s[12:13], 0x0
	v_readfirstlane_b32 s5, v1
	v_add_nc_u32_e32 v0, 0xffffee00, v0
	s_wait_kmcnt 0x0
	v_max_num_f32_e64 v1, s12, s12
	s_delay_alu instid0(VALU_DEP_1) | instskip(SKIP_1) | instid1(SALU_CYCLE_3)
	v_readfirstlane_b32 s6, v1
	s_max_num_f32 s5, s5, s6
	s_sub_f32 s0, s0, s5
	s_sub_f32 s6, s12, s5
	s_delay_alu instid0(SALU_CYCLE_2) | instskip(NEXT) | instid1(SALU_CYCLE_2)
	s_mul_f32 s12, s0, 0x3fb8aa3b
	s_mul_f32 s14, s6, 0x3fb8aa3b
	s_delay_alu instid0(SALU_CYCLE_2)
	s_xor_b32 s15, s12, 0x80000000
	s_rndne_f32 s16, s12
	s_fmamk_f32 s15, s0, 0x3fb8aa3b, s15
	s_cmp_nlt_f32 s0, 0xc2ce8ed0
	s_rndne_f32 s17, s14
	s_sub_f32 s12, s12, s16
	s_fmamk_f32 s15, s0, 0x32a5705f, s15
	s_cselect_b32 vcc_lo, -1, 0
	s_cmp_ngt_f32 s0, 0x42b17218
	s_delay_alu instid0(SALU_CYCLE_1) | instskip(SKIP_2) | instid1(SALU_CYCLE_1)
	s_add_f32 s12, s12, s15
	s_cvt_i32_f32 s15, s16
	s_sub_f32 s16, s14, s17
	v_s_exp_f32 s12, s12
	v_nop
	s_delay_alu instid0(TRANS32_DEP_1) | instskip(SKIP_1) | instid1(VALU_DEP_1)
	v_ldexp_f32 v1, s12, s15
	s_cvt_i32_f32 s12, s17
	v_cndmask_b32_e32 v1, 0, v1, vcc_lo
	s_cselect_b32 vcc_lo, -1, 0
	s_cmp_ge_f32 s0, 0xc1a00000
	s_delay_alu instid0(VALU_DEP_1)
	v_cndmask_b32_e32 v1, 0x7f800000, v1, vcc_lo
	s_cselect_b32 vcc_lo, -1, 0
	s_xor_b32 s0, s14, 0x80000000
	s_cmp_nlt_f32 s6, 0xc2ce8ed0
	s_fmamk_f32 s0, s6, 0x3fb8aa3b, s0
	v_cndmask_b32_e32 v10, 0, v1, vcc_lo
	s_delay_alu instid0(SALU_CYCLE_2) | instskip(NEXT) | instid1(SALU_CYCLE_3)
	s_fmamk_f32 s0, s6, 0x32a5705f, s0
	s_add_f32 s0, s16, s0
	s_delay_alu instid0(SALU_CYCLE_3) | instskip(SKIP_1) | instid1(TRANS32_DEP_1)
	v_s_exp_f32 s0, s0
	v_nop
	v_ldexp_f32 v6, s0, s12
	s_cselect_b32 s0, -1, 0
	s_cmp_ngt_f32 s6, 0x42b17218
	s_delay_alu instid0(VALU_DEP_1) | instskip(SKIP_2) | instid1(VALU_DEP_1)
	v_cndmask_b32_e64 v6, 0, v6, s0
	s_cselect_b32 s0, -1, 0
	s_cmp_ge_f32 s6, 0xc1a00000
	v_cndmask_b32_e64 v8, 0x7f800000, v6, s0
	s_cselect_b32 s0, -1, 0
	v_mov_b32_e32 v6, s13
	s_add_co_i32 s1, s1, -1
	s_sub_co_i32 s4, s4, 64
	v_cndmask_b32_e64 v8, 0, v8, s0
	s_cmp_le_i32 s1, s7
	s_mov_b32 s0, s5
	s_wait_loadcnt 0x0
	s_delay_alu instid0(VALU_DEP_1) | instskip(NEXT) | instid1(VALU_DEP_1)
	v_pk_mul_f32 v[6:7], v[6:7], v[8:9] op_sel_hi:[1,0]
	v_pk_fma_f32 v[2:3], v[2:3], v[10:11], v[6:7] op_sel_hi:[1,0,1]
	s_cbranch_scc0 .LBB54_3
	s_branch .LBB54_5
.LBB54_4:
	s_wait_kmcnt 0x0
	v_mov_b32_e32 v2, s14
.LBB54_5:
	v_lshl_add_u64 v[0:1], v[4:5], 2, s[8:9]
	s_wait_loadcnt 0x0
	s_delay_alu instid0(VALU_DEP_2) | instskip(NEXT) | instid1(VALU_DEP_1)
	v_div_scale_f32 v4, null, v2, v2, v3
	v_rcp_f32_e32 v5, v4
	v_nop
	s_delay_alu instid0(TRANS32_DEP_1) | instskip(NEXT) | instid1(VALU_DEP_1)
	v_fma_f32 v6, -v4, v5, 1.0
	v_fmac_f32_e32 v5, v6, v5
	v_div_scale_f32 v6, vcc_lo, v3, v2, v3
	s_delay_alu instid0(VALU_DEP_1) | instskip(NEXT) | instid1(VALU_DEP_1)
	v_mul_f32_e32 v7, v6, v5
	v_fma_f32 v8, -v4, v7, v6
	s_delay_alu instid0(VALU_DEP_1) | instskip(NEXT) | instid1(VALU_DEP_1)
	v_fmac_f32_e32 v7, v8, v5
	v_fma_f32 v4, -v4, v7, v6
	s_delay_alu instid0(VALU_DEP_1) | instskip(NEXT) | instid1(VALU_DEP_1)
	v_div_fmas_f32 v4, v4, v5, v7
	v_div_fixup_f32 v2, v4, v2, v3
	global_store_b32 v[0:1], v2, off
.LBB54_6:
	s_endpgm
	.section	.rodata,"a",@progbits
	.p2align	6, 0x0
	.amdhsa_kernel _ZL33flash_attn_stream_k_fixup_uniformILi72ELi64ELi1EEvPfPK15HIP_vector_typeIfLj2EEiiiiiiS1_IjLj3EES5_S5_
		.amdhsa_group_segment_fixed_size 0
		.amdhsa_private_segment_fixed_size 0
		.amdhsa_kernarg_size 76
		.amdhsa_user_sgpr_count 2
		.amdhsa_user_sgpr_dispatch_ptr 0
		.amdhsa_user_sgpr_queue_ptr 0
		.amdhsa_user_sgpr_kernarg_segment_ptr 1
		.amdhsa_user_sgpr_dispatch_id 0
		.amdhsa_user_sgpr_kernarg_preload_length 0
		.amdhsa_user_sgpr_kernarg_preload_offset 0
		.amdhsa_user_sgpr_private_segment_size 0
		.amdhsa_wavefront_size32 1
		.amdhsa_uses_dynamic_stack 0
		.amdhsa_enable_private_segment 0
		.amdhsa_system_sgpr_workgroup_id_x 1
		.amdhsa_system_sgpr_workgroup_id_y 1
		.amdhsa_system_sgpr_workgroup_id_z 1
		.amdhsa_system_sgpr_workgroup_info 0
		.amdhsa_system_vgpr_workitem_id 0
		.amdhsa_next_free_vgpr 12
		.amdhsa_next_free_sgpr 21
		.amdhsa_named_barrier_count 0
		.amdhsa_reserve_vcc 1
		.amdhsa_float_round_mode_32 0
		.amdhsa_float_round_mode_16_64 0
		.amdhsa_float_denorm_mode_32 3
		.amdhsa_float_denorm_mode_16_64 3
		.amdhsa_fp16_overflow 0
		.amdhsa_memory_ordered 1
		.amdhsa_forward_progress 1
		.amdhsa_inst_pref_size 9
		.amdhsa_round_robin_scheduling 0
		.amdhsa_exception_fp_ieee_invalid_op 0
		.amdhsa_exception_fp_denorm_src 0
		.amdhsa_exception_fp_ieee_div_zero 0
		.amdhsa_exception_fp_ieee_overflow 0
		.amdhsa_exception_fp_ieee_underflow 0
		.amdhsa_exception_fp_ieee_inexact 0
		.amdhsa_exception_int_div_zero 0
	.end_amdhsa_kernel
	.section	.text._ZL33flash_attn_stream_k_fixup_uniformILi72ELi64ELi1EEvPfPK15HIP_vector_typeIfLj2EEiiiiiiS1_IjLj3EES5_S5_,"axG",@progbits,_ZL33flash_attn_stream_k_fixup_uniformILi72ELi64ELi1EEvPfPK15HIP_vector_typeIfLj2EEiiiiiiS1_IjLj3EES5_S5_,comdat
.Lfunc_end54:
	.size	_ZL33flash_attn_stream_k_fixup_uniformILi72ELi64ELi1EEvPfPK15HIP_vector_typeIfLj2EEiiiiiiS1_IjLj3EES5_S5_, .Lfunc_end54-_ZL33flash_attn_stream_k_fixup_uniformILi72ELi64ELi1EEvPfPK15HIP_vector_typeIfLj2EEiiiiiiS1_IjLj3EES5_S5_
                                        ; -- End function
	.set _ZL33flash_attn_stream_k_fixup_uniformILi72ELi64ELi1EEvPfPK15HIP_vector_typeIfLj2EEiiiiiiS1_IjLj3EES5_S5_.num_vgpr, 12
	.set _ZL33flash_attn_stream_k_fixup_uniformILi72ELi64ELi1EEvPfPK15HIP_vector_typeIfLj2EEiiiiiiS1_IjLj3EES5_S5_.num_agpr, 0
	.set _ZL33flash_attn_stream_k_fixup_uniformILi72ELi64ELi1EEvPfPK15HIP_vector_typeIfLj2EEiiiiiiS1_IjLj3EES5_S5_.numbered_sgpr, 21
	.set _ZL33flash_attn_stream_k_fixup_uniformILi72ELi64ELi1EEvPfPK15HIP_vector_typeIfLj2EEiiiiiiS1_IjLj3EES5_S5_.num_named_barrier, 0
	.set _ZL33flash_attn_stream_k_fixup_uniformILi72ELi64ELi1EEvPfPK15HIP_vector_typeIfLj2EEiiiiiiS1_IjLj3EES5_S5_.private_seg_size, 0
	.set _ZL33flash_attn_stream_k_fixup_uniformILi72ELi64ELi1EEvPfPK15HIP_vector_typeIfLj2EEiiiiiiS1_IjLj3EES5_S5_.uses_vcc, 1
	.set _ZL33flash_attn_stream_k_fixup_uniformILi72ELi64ELi1EEvPfPK15HIP_vector_typeIfLj2EEiiiiiiS1_IjLj3EES5_S5_.uses_flat_scratch, 0
	.set _ZL33flash_attn_stream_k_fixup_uniformILi72ELi64ELi1EEvPfPK15HIP_vector_typeIfLj2EEiiiiiiS1_IjLj3EES5_S5_.has_dyn_sized_stack, 0
	.set _ZL33flash_attn_stream_k_fixup_uniformILi72ELi64ELi1EEvPfPK15HIP_vector_typeIfLj2EEiiiiiiS1_IjLj3EES5_S5_.has_recursion, 0
	.set _ZL33flash_attn_stream_k_fixup_uniformILi72ELi64ELi1EEvPfPK15HIP_vector_typeIfLj2EEiiiiiiS1_IjLj3EES5_S5_.has_indirect_call, 0
	.section	.AMDGPU.csdata,"",@progbits
; Kernel info:
; codeLenInByte = 1072
; TotalNumSgprs: 23
; NumVgprs: 12
; ScratchSize: 0
; MemoryBound: 0
; FloatMode: 240
; IeeeMode: 1
; LDSByteSize: 0 bytes/workgroup (compile time only)
; SGPRBlocks: 0
; VGPRBlocks: 0
; NumSGPRsForWavesPerEU: 23
; NumVGPRsForWavesPerEU: 12
; NamedBarCnt: 0
; Occupancy: 16
; WaveLimiterHint : 0
; COMPUTE_PGM_RSRC2:SCRATCH_EN: 0
; COMPUTE_PGM_RSRC2:USER_SGPR: 2
; COMPUTE_PGM_RSRC2:TRAP_HANDLER: 0
; COMPUTE_PGM_RSRC2:TGID_X_EN: 1
; COMPUTE_PGM_RSRC2:TGID_Y_EN: 1
; COMPUTE_PGM_RSRC2:TGID_Z_EN: 1
; COMPUTE_PGM_RSRC2:TIDIG_COMP_CNT: 0
	.section	.text._ZL33flash_attn_stream_k_fixup_generalILi72ELi64ELi1EEvPfPK15HIP_vector_typeIfLj2EEiiiiS1_IjLj3EES5_S5_S5_,"axG",@progbits,_ZL33flash_attn_stream_k_fixup_generalILi72ELi64ELi1EEvPfPK15HIP_vector_typeIfLj2EEiiiiS1_IjLj3EES5_S5_S5_,comdat
	.globl	_ZL33flash_attn_stream_k_fixup_generalILi72ELi64ELi1EEvPfPK15HIP_vector_typeIfLj2EEiiiiS1_IjLj3EES5_S5_S5_ ; -- Begin function _ZL33flash_attn_stream_k_fixup_generalILi72ELi64ELi1EEvPfPK15HIP_vector_typeIfLj2EEiiiiS1_IjLj3EES5_S5_S5_
	.p2align	8
	.type	_ZL33flash_attn_stream_k_fixup_generalILi72ELi64ELi1EEvPfPK15HIP_vector_typeIfLj2EEiiiiS1_IjLj3EES5_S5_S5_,@function
_ZL33flash_attn_stream_k_fixup_generalILi72ELi64ELi1EEvPfPK15HIP_vector_typeIfLj2EEiiiiS1_IjLj3EES5_S5_S5_: ; @_ZL33flash_attn_stream_k_fixup_generalILi72ELi64ELi1EEvPfPK15HIP_vector_typeIfLj2EEiiiiS1_IjLj3EES5_S5_S5_
; %bb.0:
	s_clause 0x1
	s_load_b128 s[4:7], s[0:1], 0x10
	s_load_b32 s16, s[0:1], 0x50
	s_bfe_u32 s2, ttmp6, 0x4000c
	s_and_b32 s3, ttmp6, 15
	s_add_co_i32 s2, s2, 1
	s_getreg_b32 s15, hwreg(HW_REG_IB_STS2, 6, 4)
	s_mul_i32 s2, ttmp9, s2
	s_mov_b32 s17, 0
	s_add_co_i32 s3, s3, s2
	s_cmp_eq_u32 s15, 0
	s_cselect_b32 s2, ttmp9, s3
	s_delay_alu instid0(SALU_CYCLE_1) | instskip(SKIP_3) | instid1(SALU_CYCLE_1)
	s_ashr_i32 s3, s2, 31
	s_wait_kmcnt 0x0
	s_ashr_i32 s19, s7, 31
	s_mov_b32 s18, s7
	s_mul_u64 s[8:9], s[18:19], s[2:3]
	s_delay_alu instid0(SALU_CYCLE_1) | instskip(NEXT) | instid1(SALU_CYCLE_1)
	s_and_b64 s[10:11], s[8:9], 0xffffffff00000000
	s_cmp_lg_u64 s[10:11], 0
	s_cbranch_scc0 .LBB55_21
; %bb.1:
	s_add_nc_u64 s[10:11], s[16:17], 0
	s_mov_b32 s23, s17
	s_xor_b64 s[10:11], s[10:11], 0
	s_mov_b32 s27, s17
	s_cvt_f32_u32 s3, s10
	s_cvt_f32_u32 s7, s11
	s_sub_nc_u64 s[20:21], 0, s[10:11]
	s_delay_alu instid0(SALU_CYCLE_2) | instskip(NEXT) | instid1(SALU_CYCLE_3)
	s_fmamk_f32 s3, s7, 0x4f800000, s3
	v_s_rcp_f32 s3, s3
	s_delay_alu instid0(TRANS32_DEP_1) | instskip(NEXT) | instid1(SALU_CYCLE_3)
	s_mul_f32 s3, s3, 0x5f7ffffc
	s_mul_f32 s7, s3, 0x2f800000
	s_delay_alu instid0(SALU_CYCLE_3) | instskip(NEXT) | instid1(SALU_CYCLE_3)
	s_trunc_f32 s7, s7
	s_fmamk_f32 s3, s7, 0xcf800000, s3
	s_cvt_u32_f32 s13, s7
	s_delay_alu instid0(SALU_CYCLE_2) | instskip(NEXT) | instid1(SALU_CYCLE_3)
	s_cvt_u32_f32 s12, s3
	s_mul_u64 s[24:25], s[20:21], s[12:13]
	s_delay_alu instid0(SALU_CYCLE_1)
	s_mul_hi_u32 s29, s12, s25
	s_mul_i32 s28, s12, s25
	s_mul_hi_u32 s22, s12, s24
	s_mul_i32 s7, s13, s24
	s_add_nc_u64 s[22:23], s[22:23], s[28:29]
	s_mul_hi_u32 s3, s13, s24
	s_mul_hi_u32 s14, s13, s25
	s_add_co_u32 s7, s22, s7
	s_add_co_ci_u32 s26, s23, s3
	s_mul_i32 s24, s13, s25
	s_add_co_ci_u32 s25, s14, 0
	s_delay_alu instid0(SALU_CYCLE_1) | instskip(SKIP_3) | instid1(SALU_CYCLE_1)
	s_add_nc_u64 s[22:23], s[26:27], s[24:25]
	s_mov_b32 s25, s17
	s_add_co_u32 s12, s12, s22
	s_cselect_b32 s3, -1, 0
	s_cmp_lg_u32 s3, 0
	s_add_co_ci_u32 s13, s13, s23
	s_mov_b32 s23, s17
	s_mul_u64 s[20:21], s[20:21], s[12:13]
	s_delay_alu instid0(SALU_CYCLE_1)
	s_mul_hi_u32 s27, s12, s21
	s_mul_i32 s26, s12, s21
	s_mul_hi_u32 s22, s12, s20
	s_mul_i32 s7, s13, s20
	s_add_nc_u64 s[22:23], s[22:23], s[26:27]
	s_mul_hi_u32 s3, s13, s20
	s_mul_hi_u32 s14, s13, s21
	s_add_co_u32 s7, s22, s7
	s_add_co_ci_u32 s24, s23, s3
	s_mul_i32 s20, s13, s21
	s_add_co_ci_u32 s21, s14, 0
	s_mov_b32 s23, s17
	s_add_nc_u64 s[20:21], s[24:25], s[20:21]
	s_delay_alu instid0(SALU_CYCLE_1) | instskip(SKIP_1) | instid1(SALU_CYCLE_1)
	s_add_co_u32 s3, s12, s20
	s_cselect_b32 s7, -1, 0
	s_cmp_lg_u32 s7, 0
	s_add_co_ci_u32 s7, s13, s21
	s_ashr_i32 s12, s9, 31
	s_delay_alu instid0(SALU_CYCLE_1) | instskip(NEXT) | instid1(SALU_CYCLE_1)
	s_mov_b32 s13, s12
	s_add_nc_u64 s[20:21], s[8:9], s[12:13]
	s_delay_alu instid0(SALU_CYCLE_1) | instskip(NEXT) | instid1(SALU_CYCLE_1)
	s_xor_b64 s[20:21], s[20:21], s[12:13]
	s_mul_hi_u32 s27, s20, s7
	s_mul_i32 s26, s20, s7
	s_mul_hi_u32 s22, s20, s3
	s_mul_hi_u32 s14, s21, s3
	s_mul_i32 s3, s21, s3
	s_add_nc_u64 s[22:23], s[22:23], s[26:27]
	s_mul_hi_u32 s9, s21, s7
	s_add_co_u32 s3, s22, s3
	s_add_co_ci_u32 s24, s23, s14
	s_mul_i32 s26, s21, s7
	s_add_co_ci_u32 s27, s9, 0
	s_delay_alu instid0(SALU_CYCLE_1) | instskip(NEXT) | instid1(SALU_CYCLE_1)
	s_add_nc_u64 s[22:23], s[24:25], s[26:27]
	s_and_b64 s[24:25], s[22:23], 0xffffffff00000000
	s_delay_alu instid0(SALU_CYCLE_1) | instskip(NEXT) | instid1(SALU_CYCLE_1)
	s_or_b32 s24, s24, s22
	s_mul_u64 s[22:23], s[10:11], s[24:25]
	s_add_nc_u64 s[26:27], s[24:25], 1
	s_sub_co_u32 s3, s20, s22
	s_cselect_b32 s7, -1, 0
	s_sub_co_i32 s9, s21, s23
	s_cmp_lg_u32 s7, 0
	s_add_nc_u64 s[28:29], s[24:25], 2
	s_sub_co_ci_u32 s9, s9, s11
	s_sub_co_u32 s14, s3, s10
	s_cselect_b32 s20, -1, 0
	s_delay_alu instid0(SALU_CYCLE_1) | instskip(SKIP_1) | instid1(SALU_CYCLE_1)
	s_cmp_lg_u32 s20, 0
	s_sub_co_ci_u32 s9, s9, 0
	s_cmp_ge_u32 s9, s11
	s_cselect_b32 s20, -1, 0
	s_cmp_ge_u32 s14, s10
	s_cselect_b32 s14, -1, 0
	s_cmp_eq_u32 s9, s11
	s_cselect_b32 s9, s14, s20
	s_delay_alu instid0(SALU_CYCLE_1) | instskip(SKIP_4) | instid1(SALU_CYCLE_1)
	s_cmp_lg_u32 s9, 0
	s_cselect_b32 s9, s28, s26
	s_cselect_b32 s14, s29, s27
	s_cmp_lg_u32 s7, 0
	s_sub_co_ci_u32 s7, s21, s23
	s_cmp_ge_u32 s7, s11
	s_cselect_b32 s20, -1, 0
	s_cmp_ge_u32 s3, s10
	s_cselect_b32 s3, -1, 0
	s_cmp_eq_u32 s7, s11
	s_cselect_b32 s3, s3, s20
	s_delay_alu instid0(SALU_CYCLE_1) | instskip(SKIP_4) | instid1(SALU_CYCLE_1)
	s_cmp_lg_u32 s3, 0
	s_mov_b32 s3, s17
	s_cselect_b32 s11, s14, s25
	s_cselect_b32 s10, s9, s24
	s_xor_b64 s[12:13], s[12:13], 0
	s_xor_b64 s[10:11], s[10:11], s[12:13]
	s_delay_alu instid0(SALU_CYCLE_1)
	s_sub_nc_u64 s[20:21], s[10:11], s[12:13]
	s_and_not1_b32 vcc_lo, exec_lo, s3
	s_cbranch_vccnz .LBB55_3
.LBB55_2:
	v_cvt_f32_u32_e32 v1, s16
	s_sub_co_i32 s7, 0, s16
	s_mov_b32 s21, 0
	s_delay_alu instid0(VALU_DEP_1) | instskip(SKIP_1) | instid1(TRANS32_DEP_1)
	v_rcp_iflag_f32_e32 v1, v1
	v_nop
	v_mul_f32_e32 v1, 0x4f7ffffe, v1
	s_delay_alu instid0(VALU_DEP_1) | instskip(NEXT) | instid1(VALU_DEP_1)
	v_cvt_u32_f32_e32 v1, v1
	v_readfirstlane_b32 s3, v1
	s_mul_i32 s7, s7, s3
	s_delay_alu instid0(SALU_CYCLE_1) | instskip(NEXT) | instid1(SALU_CYCLE_1)
	s_mul_hi_u32 s7, s3, s7
	s_add_co_i32 s3, s3, s7
	s_delay_alu instid0(SALU_CYCLE_1) | instskip(NEXT) | instid1(SALU_CYCLE_1)
	s_mul_hi_u32 s3, s8, s3
	s_mul_i32 s7, s3, s16
	s_delay_alu instid0(SALU_CYCLE_1)
	s_sub_co_i32 s7, s8, s7
	s_add_co_i32 s8, s3, 1
	s_sub_co_i32 s9, s7, s16
	s_cmp_ge_u32 s7, s16
	s_cselect_b32 s3, s8, s3
	s_cselect_b32 s7, s9, s7
	s_add_co_i32 s8, s3, 1
	s_cmp_ge_u32 s7, s16
	s_cselect_b32 s20, s8, s3
.LBB55_3:
	s_add_co_i32 s8, s2, 1
	s_delay_alu instid0(SALU_CYCLE_1) | instskip(NEXT) | instid1(SALU_CYCLE_1)
	s_ashr_i32 s9, s8, 31
	s_mul_u64 s[8:9], s[18:19], s[8:9]
	s_delay_alu instid0(SALU_CYCLE_1) | instskip(NEXT) | instid1(SALU_CYCLE_1)
	s_and_b64 s[10:11], s[8:9], 0xffffffff00000000
	s_cmp_lg_u64 s[10:11], 0
	s_cbranch_scc0 .LBB55_22
; %bb.4:
	s_add_nc_u64 s[10:11], s[16:17], 0
	s_delay_alu instid0(SALU_CYCLE_1) | instskip(SKIP_4) | instid1(SALU_CYCLE_2)
	s_xor_b64 s[12:13], s[10:11], 0
	s_mov_b32 s11, 0
	s_cvt_f32_u32 s3, s12
	s_cvt_f32_u32 s7, s13
	s_sub_nc_u64 s[24:25], 0, s[12:13]
	s_fmamk_f32 s3, s7, 0x4f800000, s3
	s_delay_alu instid0(SALU_CYCLE_3) | instskip(NEXT) | instid1(TRANS32_DEP_1)
	v_s_rcp_f32 s3, s3
	s_mul_f32 s3, s3, 0x5f7ffffc
	s_delay_alu instid0(SALU_CYCLE_3) | instskip(NEXT) | instid1(SALU_CYCLE_3)
	s_mul_f32 s7, s3, 0x2f800000
	s_trunc_f32 s7, s7
	s_delay_alu instid0(SALU_CYCLE_3) | instskip(SKIP_1) | instid1(SALU_CYCLE_2)
	s_fmamk_f32 s3, s7, 0xcf800000, s3
	s_cvt_u32_f32 s23, s7
	s_cvt_u32_f32 s22, s3
	s_delay_alu instid0(SALU_CYCLE_3) | instskip(NEXT) | instid1(SALU_CYCLE_1)
	s_mul_u64 s[26:27], s[24:25], s[22:23]
	s_mul_hi_u32 s29, s22, s27
	s_mul_i32 s28, s22, s27
	s_mul_hi_u32 s10, s22, s26
	s_mul_i32 s7, s23, s26
	s_add_nc_u64 s[28:29], s[10:11], s[28:29]
	s_mul_hi_u32 s3, s23, s26
	s_mul_hi_u32 s14, s23, s27
	s_add_co_u32 s7, s28, s7
	s_add_co_ci_u32 s10, s29, s3
	s_mul_i32 s26, s23, s27
	s_add_co_ci_u32 s27, s14, 0
	s_delay_alu instid0(SALU_CYCLE_1) | instskip(NEXT) | instid1(SALU_CYCLE_1)
	s_add_nc_u64 s[26:27], s[10:11], s[26:27]
	s_add_co_u32 s22, s22, s26
	s_cselect_b32 s3, -1, 0
	s_delay_alu instid0(SALU_CYCLE_1) | instskip(SKIP_1) | instid1(SALU_CYCLE_1)
	s_cmp_lg_u32 s3, 0
	s_add_co_ci_u32 s23, s23, s27
	s_mul_u64 s[24:25], s[24:25], s[22:23]
	s_delay_alu instid0(SALU_CYCLE_1)
	s_mul_hi_u32 s27, s22, s25
	s_mul_i32 s26, s22, s25
	s_mul_hi_u32 s10, s22, s24
	s_mul_i32 s7, s23, s24
	s_add_nc_u64 s[26:27], s[10:11], s[26:27]
	s_mul_hi_u32 s3, s23, s24
	s_mul_hi_u32 s14, s23, s25
	s_add_co_u32 s7, s26, s7
	s_add_co_ci_u32 s10, s27, s3
	s_mul_i32 s24, s23, s25
	s_add_co_ci_u32 s25, s14, 0
	s_delay_alu instid0(SALU_CYCLE_1) | instskip(NEXT) | instid1(SALU_CYCLE_1)
	s_add_nc_u64 s[24:25], s[10:11], s[24:25]
	s_add_co_u32 s3, s22, s24
	s_cselect_b32 s7, -1, 0
	s_delay_alu instid0(SALU_CYCLE_1) | instskip(SKIP_2) | instid1(SALU_CYCLE_1)
	s_cmp_lg_u32 s7, 0
	s_add_co_ci_u32 s7, s23, s25
	s_ashr_i32 s22, s9, 31
	s_mov_b32 s23, s22
	s_delay_alu instid0(SALU_CYCLE_1) | instskip(NEXT) | instid1(SALU_CYCLE_1)
	s_add_nc_u64 s[24:25], s[8:9], s[22:23]
	s_xor_b64 s[24:25], s[24:25], s[22:23]
	s_delay_alu instid0(SALU_CYCLE_1)
	s_mul_hi_u32 s27, s24, s7
	s_mul_i32 s26, s24, s7
	s_mul_hi_u32 s10, s24, s3
	s_mul_hi_u32 s14, s25, s3
	s_mul_i32 s3, s25, s3
	s_add_nc_u64 s[26:27], s[10:11], s[26:27]
	s_mul_hi_u32 s9, s25, s7
	s_add_co_u32 s3, s26, s3
	s_add_co_ci_u32 s10, s27, s14
	s_mul_i32 s28, s25, s7
	s_add_co_ci_u32 s29, s9, 0
	s_delay_alu instid0(SALU_CYCLE_1) | instskip(NEXT) | instid1(SALU_CYCLE_1)
	s_add_nc_u64 s[26:27], s[10:11], s[28:29]
	s_and_b64 s[28:29], s[26:27], 0xffffffff00000000
	s_delay_alu instid0(SALU_CYCLE_1) | instskip(NEXT) | instid1(SALU_CYCLE_1)
	s_or_b32 s28, s28, s26
	s_mul_u64 s[26:27], s[12:13], s[28:29]
	s_add_nc_u64 s[30:31], s[28:29], 1
	s_sub_co_u32 s3, s24, s26
	s_cselect_b32 s7, -1, 0
	s_sub_co_i32 s9, s25, s27
	s_cmp_lg_u32 s7, 0
	s_add_nc_u64 s[34:35], s[28:29], 2
	s_sub_co_ci_u32 s9, s9, s13
	s_sub_co_u32 s10, s3, s12
	s_cselect_b32 s14, -1, 0
	s_delay_alu instid0(SALU_CYCLE_1) | instskip(SKIP_1) | instid1(SALU_CYCLE_1)
	s_cmp_lg_u32 s14, 0
	s_sub_co_ci_u32 s9, s9, 0
	s_cmp_ge_u32 s9, s13
	s_cselect_b32 s14, -1, 0
	s_cmp_ge_u32 s10, s12
	s_cselect_b32 s10, -1, 0
	s_cmp_eq_u32 s9, s13
	s_cselect_b32 s9, s10, s14
	s_delay_alu instid0(SALU_CYCLE_1) | instskip(SKIP_4) | instid1(SALU_CYCLE_1)
	s_cmp_lg_u32 s9, 0
	s_cselect_b32 s9, s34, s30
	s_cselect_b32 s10, s35, s31
	s_cmp_lg_u32 s7, 0
	s_sub_co_ci_u32 s7, s25, s27
	s_cmp_ge_u32 s7, s13
	s_cselect_b32 s14, -1, 0
	s_cmp_ge_u32 s3, s12
	s_cselect_b32 s3, -1, 0
	s_cmp_eq_u32 s7, s13
	s_cselect_b32 s3, s3, s14
	s_delay_alu instid0(SALU_CYCLE_1) | instskip(SKIP_3) | instid1(SALU_CYCLE_1)
	s_cmp_lg_u32 s3, 0
	s_cselect_b32 s13, s10, s29
	s_cselect_b32 s12, s9, s28
	s_xor_b64 s[22:23], s[22:23], 0
	s_xor_b64 s[12:13], s[12:13], s[22:23]
	s_delay_alu instid0(SALU_CYCLE_1)
	s_sub_nc_u64 s[24:25], s[12:13], s[22:23]
	s_load_b96 s[12:14], s[0:1], 0x44
	s_cbranch_execnz .LBB55_6
.LBB55_5:
	v_cvt_f32_u32_e32 v1, s16
	s_sub_co_i32 s7, 0, s16
	s_delay_alu instid0(VALU_DEP_1) | instskip(SKIP_1) | instid1(TRANS32_DEP_1)
	v_rcp_iflag_f32_e32 v1, v1
	v_nop
	v_mul_f32_e32 v1, 0x4f7ffffe, v1
	s_delay_alu instid0(VALU_DEP_1) | instskip(NEXT) | instid1(VALU_DEP_1)
	v_cvt_u32_f32_e32 v1, v1
	v_readfirstlane_b32 s3, v1
	s_mul_i32 s7, s7, s3
	s_delay_alu instid0(SALU_CYCLE_1) | instskip(NEXT) | instid1(SALU_CYCLE_1)
	s_mul_hi_u32 s7, s3, s7
	s_add_co_i32 s3, s3, s7
	s_delay_alu instid0(SALU_CYCLE_1) | instskip(NEXT) | instid1(SALU_CYCLE_1)
	s_mul_hi_u32 s3, s8, s3
	s_mul_i32 s7, s3, s16
	s_delay_alu instid0(SALU_CYCLE_1)
	s_sub_co_i32 s7, s8, s7
	s_add_co_i32 s8, s3, 1
	s_sub_co_i32 s9, s7, s16
	s_cmp_ge_u32 s7, s16
	s_cselect_b32 s3, s8, s3
	s_cselect_b32 s7, s9, s7
	s_add_co_i32 s8, s3, 1
	s_cmp_ge_u32 s7, s16
	s_cselect_b32 s24, s8, s3
.LBB55_6:
	s_delay_alu instid0(SALU_CYCLE_1)
	s_cmp_eq_u32 s20, s24
	s_mov_b64 s[8:9], 0xffffffff
	s_cselect_b32 s3, -1, 0
	s_and_b64 s[8:9], s[20:21], s[8:9]
	s_mov_b32 s23, 0
	s_wait_kmcnt 0x0
	s_mov_b32 s22, s12
	s_mov_b32 s25, s23
	s_mul_u64 s[10:11], s[8:9], s[22:23]
	s_delay_alu instid0(SALU_CYCLE_1) | instskip(SKIP_2) | instid1(SALU_CYCLE_1)
	s_add_co_i32 s7, s11, s20
	s_mul_u64 s[10:11], s[24:25], s[22:23]
	s_lshr_b32 s12, s7, s13
	s_mul_i32 s7, s12, s14
	s_delay_alu instid0(SALU_CYCLE_1) | instskip(SKIP_2) | instid1(SALU_CYCLE_1)
	s_cmp_eq_u32 s7, s20
	s_cselect_b32 s7, -1, 0
	s_add_co_i32 s10, s11, s24
	s_lshr_b32 s10, s10, s13
	s_delay_alu instid0(SALU_CYCLE_1)
	s_cmp_eq_u32 s12, s10
	s_mul_i32 s10, s10, s14
	s_cselect_b32 s11, -1, 0
	s_cmp_lg_u32 s10, s24
	s_cselect_b32 s10, -1, 0
	s_or_b32 s3, s3, s7
	s_and_b32 s10, s11, s10
	s_delay_alu instid0(SALU_CYCLE_1) | instskip(NEXT) | instid1(SALU_CYCLE_1)
	s_or_b32 s3, s3, s10
	s_and_b32 vcc_lo, exec_lo, s3
	s_cbranch_vccnz .LBB55_24
; %bb.7:
	s_load_b256 s[24:31], s[0:1], 0x20
	s_bfe_u32 s7, ttmp6, 0x40014
	s_bfe_u32 s33, ttmp6, 0x40010
	s_lshr_b32 s3, ttmp7, 16
	s_add_co_i32 s7, s7, 1
	s_and_b32 s21, ttmp7, 0xffff
	s_add_co_i32 s33, s33, 1
	s_bfe_u32 s10, ttmp6, 0x40008
	s_mul_i32 s7, s3, s7
	s_bfe_u32 s34, ttmp6, 0x40004
	s_mul_i32 s33, s21, s33
	s_mov_b32 s11, s23
	s_add_co_i32 s7, s10, s7
	s_add_co_i32 s34, s34, s33
	s_cmp_eq_u32 s15, 0
	s_cselect_b32 s15, s21, s34
	s_cselect_b32 s3, s3, s7
	s_wait_kmcnt 0x0
	s_mov_b32 s10, s24
	s_delay_alu instid0(SALU_CYCLE_1) | instskip(SKIP_2) | instid1(SALU_CYCLE_1)
	s_mul_u64 s[8:9], s[8:9], s[10:11]
	s_load_b32 s8, s[0:1], 0x40
	s_add_co_i32 s7, s9, s20
	s_lshr_b32 s7, s7, s25
	s_delay_alu instid0(SALU_CYCLE_1) | instskip(NEXT) | instid1(SALU_CYCLE_1)
	s_mul_i32 s9, s7, s26
	s_sub_co_i32 s9, s20, s9
	s_delay_alu instid0(SALU_CYCLE_1) | instskip(NEXT) | instid1(SALU_CYCLE_1)
	s_mul_hi_u32 s10, s9, s27
	s_add_co_i32 s10, s9, s10
	s_delay_alu instid0(SALU_CYCLE_1) | instskip(NEXT) | instid1(SALU_CYCLE_1)
	s_lshr_b32 s21, s10, s28
	s_mul_i32 s10, s21, s29
	s_delay_alu instid0(SALU_CYCLE_1) | instskip(NEXT) | instid1(SALU_CYCLE_1)
	s_sub_co_i32 s10, s9, s10
	s_mul_hi_u32 s9, s10, s30
	s_delay_alu instid0(SALU_CYCLE_1) | instskip(NEXT) | instid1(SALU_CYCLE_1)
	s_add_co_i32 s9, s10, s9
	s_lshr_b32 s25, s9, s31
	s_mov_b32 s9, s23
	s_wait_kmcnt 0x0
	s_mul_i32 s8, s25, s8
	s_delay_alu instid0(SALU_CYCLE_1) | instskip(NEXT) | instid1(SALU_CYCLE_1)
	s_sub_co_i32 s8, s10, s8
	s_mul_u64 s[10:11], s[8:9], s[22:23]
	s_delay_alu instid0(SALU_CYCLE_1) | instskip(NEXT) | instid1(SALU_CYCLE_1)
	s_add_co_i32 s8, s8, s11
	s_lshr_b32 s24, s8, s13
	s_delay_alu instid0(SALU_CYCLE_1) | instskip(NEXT) | instid1(SALU_CYCLE_1)
	s_lshl_b32 s8, s24, 6
	s_add_co_i32 s8, s8, s15
	s_delay_alu instid0(SALU_CYCLE_1) | instskip(SKIP_2) | instid1(SALU_CYCLE_1)
	s_cmp_lt_i32 s8, s4
	s_cselect_b32 s8, -1, 0
	s_add_co_i32 s25, s25, s3
	s_cmp_lt_i32 s25, s6
	s_cselect_b32 s9, -1, 0
	s_delay_alu instid0(SALU_CYCLE_1) | instskip(NEXT) | instid1(SALU_CYCLE_1)
	s_and_b32 s8, s8, s9
	s_and_not1_b32 vcc_lo, exec_lo, s8
	s_cbranch_vccnz .LBB55_24
; %bb.8:
	s_load_b128 s[8:11], s[0:1], 0x0
	s_wait_xcnt 0x0
	s_mul_i32 s0, s7, s4
	s_mul_i32 s21, s21, s6
	s_add_co_i32 s0, s0, s15
	s_add_co_i32 s1, s25, s21
	s_mul_i32 s0, s0, s5
	s_mul_i32 s4, s5, s24
	s_add_co_i32 s0, s1, s0
	s_mulk_i32 s4, 0x1200
	s_mulk_i32 s0, 0x48
	s_add_co_i32 s15, s15, s3
	v_add3_u32 v2, s4, s0, v0
	s_add_nc_u64 s[0:1], s[16:17], 0
	v_cvt_f32_u32_e32 v4, s16
	s_xor_b64 s[6:7], s[0:1], 0
	s_lshl_b32 s0, s2, 6
	s_cvt_f32_u32 s3, s6
	s_cvt_f32_u32 s4, s7
	s_add_co_i32 s0, s0, s15
	v_rcp_iflag_f32_e32 v4, v4
	s_wait_kmcnt 0x0
	global_load_b32 v1, v2, s[8:9] scale_offset
	s_fmamk_f32 s3, s4, 0x4f800000, s3
	s_ashr_i32 s1, s0, 31
	s_lshl_b32 s24, s16, 8
	s_lshl_b64 s[0:1], s[0:1], 3
	v_s_rcp_f32 s3, s3
	s_add_nc_u64 s[0:1], s[10:11], s[0:1]
	s_mov_b32 s25, 0
	s_load_b64 s[28:29], s[0:1], 0x0
	v_mad_u32 v6, 0x48, s15, v0
	v_dual_mul_f32 v4, 0x4f7ffffe, v4 :: v_dual_ashrrev_i32 v3, 31, v2
	s_wait_xcnt 0x0
	s_lshl_b64 s[0:1], s[24:25], 2
	s_mul_f32 s3, s3, 0x5f7ffffc
	s_add_nc_u64 s[26:27], s[10:11], s[0:1]
	v_lshl_add_u64 v[2:3], v[2:3], 2, s[8:9]
	v_cvt_u32_f32_e32 v7, v4
	s_mul_f32 s4, s3, 0x2f800000
	s_mov_b64 s[8:9], 0xffffffff
	s_add_co_i32 s36, s2, -1
	s_sub_nc_u64 s[34:35], 0, s[6:7]
	s_trunc_f32 s4, s4
	s_delay_alu instid0(SALU_CYCLE_3)
	s_fmamk_f32 s0, s4, 0xcf800000, s3
	s_cvt_u32_f32 s31, s4
	s_wait_kmcnt 0x0
	v_mov_b32_e32 v0, s29
	s_cvt_u32_f32 s30, s0
.LBB55_9:                               ; =>This Inner Loop Header: Depth=1
	s_ashr_i32 s37, s36, 31
                                        ; implicit-def: $sgpr40_sgpr41
	s_delay_alu instid0(SALU_CYCLE_1) | instskip(NEXT) | instid1(SALU_CYCLE_1)
	s_mul_u64 s[0:1], s[36:37], s[18:19]
	s_and_b64 s[2:3], s[0:1], 0xffffffff00000000
	s_delay_alu instid0(SALU_CYCLE_1)
	s_cmp_lg_u64 s[2:3], 0
	s_mov_b32 s2, -1
	s_cbranch_scc0 .LBB55_11
; %bb.10:                               ;   in Loop: Header=BB55_9 Depth=1
	s_mul_u64 s[2:3], s[34:35], s[30:31]
	s_delay_alu instid0(SALU_CYCLE_1)
	s_mul_hi_u32 s5, s30, s3
	s_mul_i32 s4, s30, s3
	s_mul_hi_u32 s24, s30, s2
	s_mul_hi_u32 s17, s31, s2
	s_add_nc_u64 s[4:5], s[24:25], s[4:5]
	s_mul_i32 s2, s31, s2
	s_mul_hi_u32 s21, s31, s3
	s_add_co_u32 s2, s4, s2
	s_add_co_ci_u32 s24, s5, s17
	s_add_co_ci_u32 s5, s21, 0
	s_mul_i32 s4, s31, s3
	s_delay_alu instid0(SALU_CYCLE_1) | instskip(NEXT) | instid1(SALU_CYCLE_1)
	s_add_nc_u64 s[2:3], s[24:25], s[4:5]
	s_add_co_u32 s2, s30, s2
	s_cselect_b32 s4, -1, 0
	s_delay_alu instid0(SALU_CYCLE_1) | instskip(SKIP_1) | instid1(SALU_CYCLE_1)
	s_cmp_lg_u32 s4, 0
	s_add_co_ci_u32 s3, s31, s3
	s_mul_u64 s[4:5], s[34:35], s[2:3]
	s_delay_alu instid0(SALU_CYCLE_1)
	s_mul_hi_u32 s39, s2, s5
	s_mul_i32 s38, s2, s5
	s_mul_hi_u32 s24, s2, s4
	s_mul_hi_u32 s17, s3, s4
	s_mul_i32 s4, s3, s4
	s_add_nc_u64 s[38:39], s[24:25], s[38:39]
	s_mul_hi_u32 s21, s3, s5
	s_add_co_u32 s4, s38, s4
	s_add_co_ci_u32 s24, s39, s17
	s_mul_i32 s4, s3, s5
	s_add_co_ci_u32 s5, s21, 0
	s_delay_alu instid0(SALU_CYCLE_1) | instskip(NEXT) | instid1(SALU_CYCLE_1)
	s_add_nc_u64 s[4:5], s[24:25], s[4:5]
	s_add_co_u32 s17, s2, s4
	s_cselect_b32 s2, -1, 0
	s_delay_alu instid0(SALU_CYCLE_1) | instskip(SKIP_2) | instid1(SALU_CYCLE_1)
	s_cmp_lg_u32 s2, 0
	s_add_co_ci_u32 s21, s3, s5
	s_ashr_i32 s2, s1, 31
	s_mov_b32 s3, s2
	s_delay_alu instid0(SALU_CYCLE_1) | instskip(NEXT) | instid1(SALU_CYCLE_1)
	s_add_nc_u64 s[4:5], s[0:1], s[2:3]
	s_xor_b64 s[4:5], s[4:5], s[2:3]
	s_delay_alu instid0(SALU_CYCLE_1)
	s_mul_hi_u32 s39, s4, s21
	s_mul_i32 s38, s4, s21
	s_mul_hi_u32 s24, s4, s17
	s_mul_hi_u32 s29, s5, s17
	s_mul_i32 s17, s5, s17
	s_add_nc_u64 s[38:39], s[24:25], s[38:39]
	s_mul_hi_u32 s1, s5, s21
	s_add_co_u32 s17, s38, s17
	s_add_co_ci_u32 s24, s39, s29
	s_mul_i32 s40, s5, s21
	s_add_co_ci_u32 s41, s1, 0
	s_delay_alu instid0(SALU_CYCLE_1) | instskip(NEXT) | instid1(SALU_CYCLE_1)
	s_add_nc_u64 s[38:39], s[24:25], s[40:41]
	s_and_b64 s[40:41], s[38:39], 0xffffffff00000000
	s_delay_alu instid0(SALU_CYCLE_1) | instskip(NEXT) | instid1(SALU_CYCLE_1)
	s_or_b32 s40, s40, s38
	s_mul_u64 s[38:39], s[6:7], s[40:41]
	s_add_nc_u64 s[42:43], s[40:41], 1
	s_sub_co_u32 s1, s4, s38
	s_cselect_b32 s4, -1, 0
	s_sub_co_i32 s17, s5, s39
	s_cmp_lg_u32 s4, 0
	s_add_nc_u64 s[44:45], s[40:41], 2
	s_sub_co_ci_u32 s17, s17, s7
	s_sub_co_u32 s21, s1, s6
	s_cselect_b32 s24, -1, 0
	s_delay_alu instid0(SALU_CYCLE_1) | instskip(SKIP_1) | instid1(SALU_CYCLE_1)
	s_cmp_lg_u32 s24, 0
	s_sub_co_ci_u32 s17, s17, 0
	s_cmp_ge_u32 s17, s7
	s_cselect_b32 s24, -1, 0
	s_cmp_ge_u32 s21, s6
	s_cselect_b32 s21, -1, 0
	s_cmp_eq_u32 s17, s7
	s_cselect_b32 s17, s21, s24
	s_delay_alu instid0(SALU_CYCLE_1) | instskip(SKIP_4) | instid1(SALU_CYCLE_1)
	s_cmp_lg_u32 s17, 0
	s_cselect_b32 s17, s44, s42
	s_cselect_b32 s21, s45, s43
	s_cmp_lg_u32 s4, 0
	s_sub_co_ci_u32 s4, s5, s39
	s_cmp_ge_u32 s4, s7
	s_cselect_b32 s5, -1, 0
	s_cmp_ge_u32 s1, s6
	s_cselect_b32 s1, -1, 0
	s_cmp_eq_u32 s4, s7
	s_cselect_b32 s1, s1, s5
	s_delay_alu instid0(SALU_CYCLE_1) | instskip(SKIP_3) | instid1(SALU_CYCLE_1)
	s_cmp_lg_u32 s1, 0
	s_cselect_b32 s5, s21, s41
	s_cselect_b32 s4, s17, s40
	s_xor_b64 s[2:3], s[2:3], 0
	s_xor_b64 s[4:5], s[4:5], s[2:3]
	s_delay_alu instid0(SALU_CYCLE_1)
	s_sub_nc_u64 s[40:41], s[4:5], s[2:3]
	s_mov_b32 s2, 0
.LBB55_11:                              ;   in Loop: Header=BB55_9 Depth=1
	s_delay_alu instid0(SALU_CYCLE_1)
	s_and_not1_b32 vcc_lo, exec_lo, s2
	s_cbranch_vccnz .LBB55_13
; %bb.12:                               ;   in Loop: Header=BB55_9 Depth=1
	v_readfirstlane_b32 s1, v7
	s_sub_co_i32 s2, 0, s16
	s_delay_alu instid0(SALU_CYCLE_1) | instskip(NEXT) | instid1(SALU_CYCLE_1)
	s_mul_i32 s2, s2, s1
	s_mul_hi_u32 s2, s1, s2
	s_delay_alu instid0(SALU_CYCLE_1) | instskip(NEXT) | instid1(SALU_CYCLE_1)
	s_add_co_i32 s1, s1, s2
	s_mul_hi_u32 s1, s0, s1
	s_delay_alu instid0(SALU_CYCLE_1) | instskip(NEXT) | instid1(SALU_CYCLE_1)
	s_mul_i32 s2, s1, s16
	s_sub_co_i32 s0, s0, s2
	s_add_co_i32 s2, s1, 1
	s_sub_co_i32 s3, s0, s16
	s_cmp_ge_u32 s0, s16
	s_cselect_b32 s1, s2, s1
	s_cselect_b32 s0, s3, s0
	s_add_co_i32 s2, s1, 1
	s_cmp_ge_u32 s0, s16
	s_cselect_b32 s24, s2, s1
	s_delay_alu instid0(SALU_CYCLE_1)
	s_mov_b64 s[40:41], s[24:25]
.LBB55_13:                              ;   in Loop: Header=BB55_9 Depth=1
	s_delay_alu instid0(SALU_CYCLE_1)
	s_cmp_lg_u32 s20, s40
	s_mov_b32 s0, -1
                                        ; implicit-def: $vgpr4_vgpr5
                                        ; implicit-def: $sgpr24
                                        ; implicit-def: $sgpr17
                                        ; implicit-def: $sgpr21
                                        ; implicit-def: $sgpr29
	s_cbranch_scc0 .LBB55_18
; %bb.14:                               ;   in Loop: Header=BB55_9 Depth=1
	s_add_co_i32 s0, s36, s16
	v_max_num_f32_e64 v4, s28, s28
	s_lshl_b32 s0, s0, 6
	s_mov_b32 s29, s20
	s_add_co_i32 s0, s0, s15
	s_load_b64 s[38:39], s[10:11], s0 offset:0x0 scale_offset
	s_wait_xcnt 0x0
	v_readfirstlane_b32 s0, v4
	s_wait_kmcnt 0x0
	v_max_num_f32_e64 v5, s38, s38
	s_delay_alu instid0(VALU_DEP_1) | instskip(SKIP_1) | instid1(SALU_CYCLE_3)
	v_readfirstlane_b32 s1, v5
	s_max_num_f32 s17, s0, s1
	s_sub_f32 s33, s28, s17
	s_sub_f32 s37, s38, s17
	s_delay_alu instid0(SALU_CYCLE_2)
	s_cmp_nlt_f32 s33, 0xc2ce8ed0
	s_cselect_b32 s1, -1, 0
	s_cmp_ngt_f32 s33, 0x42b17218
	s_cselect_b32 s2, -1, 0
	s_cmp_ge_f32 s33, 0xc1a00000
	s_cselect_b32 s0, -1, 0
	s_cmp_nlt_f32 s37, 0xc2ce8ed0
	s_cselect_b32 s3, -1, 0
	s_cmp_ngt_f32 s37, 0x42b17218
	s_cselect_b32 s4, -1, 0
	s_cmp_ge_f32 s37, 0xc1a00000
	s_cselect_b32 s5, -1, 0
	s_and_b64 s[42:43], s[40:41], s[8:9]
	s_delay_alu instid0(SALU_CYCLE_1) | instskip(NEXT) | instid1(SALU_CYCLE_1)
	s_mul_u64 s[42:43], s[42:43], s[22:23]
	s_add_co_i32 s21, s43, s40
	s_delay_alu instid0(SALU_CYCLE_1) | instskip(NEXT) | instid1(SALU_CYCLE_1)
	s_lshr_b32 s21, s21, s13
	s_mul_i32 s24, s21, s14
	s_delay_alu instid0(SALU_CYCLE_1) | instskip(SKIP_3) | instid1(SALU_CYCLE_1)
	s_cmp_eq_u32 s24, s40
	s_cselect_b32 s24, -1, 0
	s_cmp_lt_u32 s21, s12
	s_cselect_b32 s21, -1, 0
	s_or_b32 s21, s21, s24
	s_mov_b32 s24, -1
	s_and_b32 vcc_lo, exec_lo, s21
	s_mov_b32 s21, s36
	s_cbranch_vccnz .LBB55_16
; %bb.15:                               ;   in Loop: Header=BB55_9 Depth=1
	s_add_co_i32 s21, s36, -1
	s_mov_b32 s24, 0
	s_mov_b32 s29, s40
.LBB55_16:                              ;   in Loop: Header=BB55_9 Depth=1
	v_mad_u32 v4, 0x1200, s36, v6
	s_mul_f32 s40, s33, 0x3fb8aa3b
	s_mul_f32 s38, s37, 0x3fb8aa3b
	s_delay_alu instid0(SALU_CYCLE_2)
	s_xor_b32 s42, s40, 0x80000000
	s_rndne_f32 s44, s40
	s_fmamk_f32 s42, s33, 0x3fb8aa3b, s42
	s_xor_b32 s41, s38, 0x80000000
	s_rndne_f32 s43, s38
	s_sub_f32 s40, s40, s44
	global_load_b32 v5, v4, s[26:27] scale_offset
	s_fmamk_f32 s33, s33, 0x32a5705f, s42
	s_fmamk_f32 s41, s37, 0x3fb8aa3b, s41
	s_sub_f32 s38, s38, s43
	s_delay_alu instid0(SALU_CYCLE_1) | instskip(NEXT) | instid1(SALU_CYCLE_1)
	s_add_f32 s33, s40, s33
	s_fmamk_f32 s37, s37, 0x32a5705f, s41
	s_cvt_i32_f32 s40, s44
	s_delay_alu instid0(SALU_CYCLE_1) | instskip(NEXT) | instid1(SALU_CYCLE_1)
	v_s_exp_f32 s33, s33
	s_add_f32 s37, s38, s37
	s_cvt_i32_f32 s38, s43
	s_delay_alu instid0(SALU_CYCLE_2) | instskip(NEXT) | instid1(TRANS32_DEP_2)
	v_s_exp_f32 s37, s37
	v_ldexp_f32 v8, s33, s40
	s_wait_xcnt 0x0
	s_delay_alu instid0(TRANS32_DEP_1) | instskip(NEXT) | instid1(VALU_DEP_2)
	v_ldexp_f32 v4, s37, s38
	v_cndmask_b32_e64 v8, 0, v8, s1
	s_delay_alu instid0(VALU_DEP_1) | instskip(NEXT) | instid1(VALU_DEP_1)
	v_cndmask_b32_e64 v9, 0x7f800000, v8, s2
	v_dual_cndmask_b32 v4, 0, v4, s3 :: v_dual_cndmask_b32 v10, 0, v9, s0
	s_delay_alu instid0(VALU_DEP_1) | instskip(NEXT) | instid1(VALU_DEP_1)
	v_cndmask_b32_e64 v4, 0x7f800000, v4, s4
	v_dual_cndmask_b32 v8, 0, v4, s5 :: v_dual_mov_b32 v4, s39
	s_wait_loadcnt 0x0
	s_delay_alu instid0(VALU_DEP_1) | instskip(NEXT) | instid1(VALU_DEP_1)
	v_pk_mul_f32 v[4:5], v[4:5], v[8:9] op_sel_hi:[1,0]
	v_pk_fma_f32 v[4:5], v[0:1], v[10:11], v[4:5] op_sel_hi:[1,0,1]
	s_cbranch_execz .LBB55_19
.LBB55_17:                              ;   in Loop: Header=BB55_9 Depth=1
	s_and_not1_b32 vcc_lo, exec_lo, s24
	s_cbranch_vccnz .LBB55_20
	s_branch .LBB55_23
.LBB55_18:                              ;   in Loop: Header=BB55_9 Depth=1
	s_and_not1_b32 vcc_lo, exec_lo, s0
	s_cbranch_vccnz .LBB55_17
.LBB55_19:                              ;   in Loop: Header=BB55_9 Depth=1
	s_wait_loadcnt 0x0
	v_mov_b64_e32 v[4:5], v[0:1]
	s_add_co_i32 s21, s36, -1
	s_mov_b32 s29, s20
	s_mov_b32 s17, s28
	s_cbranch_execz .LBB55_23
.LBB55_20:                              ;   in Loop: Header=BB55_9 Depth=1
	s_wait_loadcnt 0x0
	s_delay_alu instid0(VALU_DEP_1)
	v_mov_b64_e32 v[0:1], v[4:5]
	s_mov_b32 s20, s29
	s_mov_b32 s36, s21
	s_mov_b32 s28, s17
	s_branch .LBB55_9
.LBB55_21:
                                        ; implicit-def: $sgpr20_sgpr21
	s_branch .LBB55_2
.LBB55_22:
                                        ; implicit-def: $sgpr24_sgpr25
	s_load_b96 s[12:14], s[0:1], 0x44
	s_branch .LBB55_5
.LBB55_23:
	s_delay_alu instid0(VALU_DEP_1) | instskip(SKIP_1) | instid1(VALU_DEP_1)
	v_div_scale_f32 v0, null, v4, v4, v5
	s_wait_loadcnt 0x0
	v_rcp_f32_e32 v1, v0
	v_nop
	s_delay_alu instid0(TRANS32_DEP_1) | instskip(NEXT) | instid1(VALU_DEP_1)
	v_fma_f32 v6, -v0, v1, 1.0
	v_fmac_f32_e32 v1, v6, v1
	v_div_scale_f32 v6, vcc_lo, v5, v4, v5
	s_delay_alu instid0(VALU_DEP_1) | instskip(NEXT) | instid1(VALU_DEP_1)
	v_mul_f32_e32 v7, v6, v1
	v_fma_f32 v8, -v0, v7, v6
	s_delay_alu instid0(VALU_DEP_1) | instskip(NEXT) | instid1(VALU_DEP_1)
	v_fmac_f32_e32 v7, v8, v1
	v_fma_f32 v0, -v0, v7, v6
	s_delay_alu instid0(VALU_DEP_1) | instskip(NEXT) | instid1(VALU_DEP_1)
	v_div_fmas_f32 v0, v0, v1, v7
	v_div_fixup_f32 v0, v0, v4, v5
	global_store_b32 v[2:3], v0, off
.LBB55_24:
	s_endpgm
	.section	.rodata,"a",@progbits
	.p2align	6, 0x0
	.amdhsa_kernel _ZL33flash_attn_stream_k_fixup_generalILi72ELi64ELi1EEvPfPK15HIP_vector_typeIfLj2EEiiiiS1_IjLj3EES5_S5_S5_
		.amdhsa_group_segment_fixed_size 0
		.amdhsa_private_segment_fixed_size 0
		.amdhsa_kernarg_size 336
		.amdhsa_user_sgpr_count 2
		.amdhsa_user_sgpr_dispatch_ptr 0
		.amdhsa_user_sgpr_queue_ptr 0
		.amdhsa_user_sgpr_kernarg_segment_ptr 1
		.amdhsa_user_sgpr_dispatch_id 0
		.amdhsa_user_sgpr_kernarg_preload_length 0
		.amdhsa_user_sgpr_kernarg_preload_offset 0
		.amdhsa_user_sgpr_private_segment_size 0
		.amdhsa_wavefront_size32 1
		.amdhsa_uses_dynamic_stack 0
		.amdhsa_enable_private_segment 0
		.amdhsa_system_sgpr_workgroup_id_x 1
		.amdhsa_system_sgpr_workgroup_id_y 1
		.amdhsa_system_sgpr_workgroup_id_z 1
		.amdhsa_system_sgpr_workgroup_info 0
		.amdhsa_system_vgpr_workitem_id 0
		.amdhsa_next_free_vgpr 12
		.amdhsa_next_free_sgpr 46
		.amdhsa_named_barrier_count 0
		.amdhsa_reserve_vcc 1
		.amdhsa_float_round_mode_32 0
		.amdhsa_float_round_mode_16_64 0
		.amdhsa_float_denorm_mode_32 3
		.amdhsa_float_denorm_mode_16_64 3
		.amdhsa_fp16_overflow 0
		.amdhsa_memory_ordered 1
		.amdhsa_forward_progress 1
		.amdhsa_inst_pref_size 27
		.amdhsa_round_robin_scheduling 0
		.amdhsa_exception_fp_ieee_invalid_op 0
		.amdhsa_exception_fp_denorm_src 0
		.amdhsa_exception_fp_ieee_div_zero 0
		.amdhsa_exception_fp_ieee_overflow 0
		.amdhsa_exception_fp_ieee_underflow 0
		.amdhsa_exception_fp_ieee_inexact 0
		.amdhsa_exception_int_div_zero 0
	.end_amdhsa_kernel
	.section	.text._ZL33flash_attn_stream_k_fixup_generalILi72ELi64ELi1EEvPfPK15HIP_vector_typeIfLj2EEiiiiS1_IjLj3EES5_S5_S5_,"axG",@progbits,_ZL33flash_attn_stream_k_fixup_generalILi72ELi64ELi1EEvPfPK15HIP_vector_typeIfLj2EEiiiiS1_IjLj3EES5_S5_S5_,comdat
.Lfunc_end55:
	.size	_ZL33flash_attn_stream_k_fixup_generalILi72ELi64ELi1EEvPfPK15HIP_vector_typeIfLj2EEiiiiS1_IjLj3EES5_S5_S5_, .Lfunc_end55-_ZL33flash_attn_stream_k_fixup_generalILi72ELi64ELi1EEvPfPK15HIP_vector_typeIfLj2EEiiiiS1_IjLj3EES5_S5_S5_
                                        ; -- End function
	.set _ZL33flash_attn_stream_k_fixup_generalILi72ELi64ELi1EEvPfPK15HIP_vector_typeIfLj2EEiiiiS1_IjLj3EES5_S5_S5_.num_vgpr, 12
	.set _ZL33flash_attn_stream_k_fixup_generalILi72ELi64ELi1EEvPfPK15HIP_vector_typeIfLj2EEiiiiS1_IjLj3EES5_S5_S5_.num_agpr, 0
	.set _ZL33flash_attn_stream_k_fixup_generalILi72ELi64ELi1EEvPfPK15HIP_vector_typeIfLj2EEiiiiS1_IjLj3EES5_S5_S5_.numbered_sgpr, 46
	.set _ZL33flash_attn_stream_k_fixup_generalILi72ELi64ELi1EEvPfPK15HIP_vector_typeIfLj2EEiiiiS1_IjLj3EES5_S5_S5_.num_named_barrier, 0
	.set _ZL33flash_attn_stream_k_fixup_generalILi72ELi64ELi1EEvPfPK15HIP_vector_typeIfLj2EEiiiiS1_IjLj3EES5_S5_S5_.private_seg_size, 0
	.set _ZL33flash_attn_stream_k_fixup_generalILi72ELi64ELi1EEvPfPK15HIP_vector_typeIfLj2EEiiiiS1_IjLj3EES5_S5_S5_.uses_vcc, 1
	.set _ZL33flash_attn_stream_k_fixup_generalILi72ELi64ELi1EEvPfPK15HIP_vector_typeIfLj2EEiiiiS1_IjLj3EES5_S5_S5_.uses_flat_scratch, 0
	.set _ZL33flash_attn_stream_k_fixup_generalILi72ELi64ELi1EEvPfPK15HIP_vector_typeIfLj2EEiiiiS1_IjLj3EES5_S5_S5_.has_dyn_sized_stack, 0
	.set _ZL33flash_attn_stream_k_fixup_generalILi72ELi64ELi1EEvPfPK15HIP_vector_typeIfLj2EEiiiiS1_IjLj3EES5_S5_S5_.has_recursion, 0
	.set _ZL33flash_attn_stream_k_fixup_generalILi72ELi64ELi1EEvPfPK15HIP_vector_typeIfLj2EEiiiiS1_IjLj3EES5_S5_S5_.has_indirect_call, 0
	.section	.AMDGPU.csdata,"",@progbits
; Kernel info:
; codeLenInByte = 3344
; TotalNumSgprs: 48
; NumVgprs: 12
; ScratchSize: 0
; MemoryBound: 0
; FloatMode: 240
; IeeeMode: 1
; LDSByteSize: 0 bytes/workgroup (compile time only)
; SGPRBlocks: 0
; VGPRBlocks: 0
; NumSGPRsForWavesPerEU: 48
; NumVGPRsForWavesPerEU: 12
; NamedBarCnt: 0
; Occupancy: 16
; WaveLimiterHint : 0
; COMPUTE_PGM_RSRC2:SCRATCH_EN: 0
; COMPUTE_PGM_RSRC2:USER_SGPR: 2
; COMPUTE_PGM_RSRC2:TRAP_HANDLER: 0
; COMPUTE_PGM_RSRC2:TGID_X_EN: 1
; COMPUTE_PGM_RSRC2:TGID_Y_EN: 1
; COMPUTE_PGM_RSRC2:TGID_Z_EN: 1
; COMPUTE_PGM_RSRC2:TIDIG_COMP_CNT: 0
	.section	.text._ZL15flash_attn_tileILi72ELi72ELi32ELi1ELb0EEvPKcS1_S1_S1_S1_PKiPfP15HIP_vector_typeIfLj2EEffffjfiS5_IjLj3EEiiiiiiiiiiiliiliiiiil,"axG",@progbits,_ZL15flash_attn_tileILi72ELi72ELi32ELi1ELb0EEvPKcS1_S1_S1_S1_PKiPfP15HIP_vector_typeIfLj2EEffffjfiS5_IjLj3EEiiiiiiiiiiiliiliiiiil,comdat
	.globl	_ZL15flash_attn_tileILi72ELi72ELi32ELi1ELb0EEvPKcS1_S1_S1_S1_PKiPfP15HIP_vector_typeIfLj2EEffffjfiS5_IjLj3EEiiiiiiiiiiiliiliiiiil ; -- Begin function _ZL15flash_attn_tileILi72ELi72ELi32ELi1ELb0EEvPKcS1_S1_S1_S1_PKiPfP15HIP_vector_typeIfLj2EEffffjfiS5_IjLj3EEiiiiiiiiiiiliiliiiiil
	.p2align	8
	.type	_ZL15flash_attn_tileILi72ELi72ELi32ELi1ELb0EEvPKcS1_S1_S1_S1_PKiPfP15HIP_vector_typeIfLj2EEffffjfiS5_IjLj3EEiiiiiiiiiiiliiliiiiil,@function
_ZL15flash_attn_tileILi72ELi72ELi32ELi1ELb0EEvPKcS1_S1_S1_S1_PKiPfP15HIP_vector_typeIfLj2EEffffjfiS5_IjLj3EEiiiiiiiiiiiliiliiiiil: ; @_ZL15flash_attn_tileILi72ELi72ELi32ELi1ELb0EEvPKcS1_S1_S1_S1_PKiPfP15HIP_vector_typeIfLj2EEffffjfiS5_IjLj3EEiiiiiiiiiiiliiliiiiil
; %bb.0:
	s_clause 0x1
	s_load_b128 s[20:23], s[0:1], 0x5c
	s_load_b64 s[38:39], s[0:1], 0x80
	s_bfe_u32 s4, ttmp6, 0x40014
	s_lshr_b32 s3, ttmp7, 16
	s_add_co_i32 s4, s4, 1
	s_bfe_u32 s5, ttmp6, 0x40008
	s_mul_i32 s4, s3, s4
	s_getreg_b32 s40, hwreg(HW_REG_IB_STS2, 6, 4)
	s_add_co_i32 s5, s5, s4
	s_mov_b32 s31, 0
	s_mov_b64 s[36:37], 0
	s_wait_kmcnt 0x0
	s_cvt_f32_u32 s2, s23
	s_sub_co_i32 s6, 0, s23
	s_delay_alu instid0(SALU_CYCLE_2) | instskip(SKIP_1) | instid1(TRANS32_DEP_1)
	v_rcp_iflag_f32_e32 v1, s2
	v_nop
	v_readfirstlane_b32 s2, v1
	s_mul_f32 s2, s2, 0x4f7ffffe
	s_delay_alu instid0(SALU_CYCLE_3) | instskip(NEXT) | instid1(SALU_CYCLE_3)
	s_cvt_u32_f32 s2, s2
	s_mul_i32 s6, s6, s2
	s_delay_alu instid0(SALU_CYCLE_1) | instskip(NEXT) | instid1(SALU_CYCLE_1)
	s_mul_hi_u32 s6, s2, s6
	s_add_co_i32 s2, s2, s6
	s_cmp_eq_u32 s40, 0
	s_cselect_b32 s28, s3, s5
	s_delay_alu instid0(SALU_CYCLE_1) | instskip(NEXT) | instid1(SALU_CYCLE_1)
	s_mul_hi_u32 s2, s28, s2
	s_mul_i32 s3, s2, s23
	s_add_co_i32 s4, s2, 1
	s_sub_co_i32 s3, s28, s3
	s_delay_alu instid0(SALU_CYCLE_1)
	s_sub_co_i32 s5, s3, s23
	s_cmp_ge_u32 s3, s23
	s_cselect_b32 s2, s4, s2
	s_cselect_b32 s3, s5, s3
	s_add_co_i32 s4, s2, 1
	s_cmp_ge_u32 s3, s23
	s_cselect_b32 s34, s4, s2
	s_abs_i32 s2, s39
	s_abs_i32 s5, s23
	s_cvt_f32_u32 s3, s2
	s_sub_co_i32 s4, 0, s2
	s_mul_i32 s30, s34, s23
	s_delay_alu instid0(SALU_CYCLE_1) | instskip(SKIP_1) | instid1(TRANS32_DEP_1)
	v_rcp_iflag_f32_e32 v1, s3
	v_nop
	v_readfirstlane_b32 s3, v1
	s_mul_f32 s3, s3, 0x4f7ffffe
	s_delay_alu instid0(SALU_CYCLE_3) | instskip(NEXT) | instid1(SALU_CYCLE_3)
	s_cvt_u32_f32 s3, s3
	s_mul_i32 s4, s4, s3
	s_delay_alu instid0(SALU_CYCLE_1) | instskip(NEXT) | instid1(SALU_CYCLE_1)
	s_mul_hi_u32 s4, s3, s4
	s_add_co_i32 s3, s3, s4
	s_xor_b32 s4, s23, s39
	s_mul_hi_u32 s3, s5, s3
	s_ashr_i32 s4, s4, 31
	s_mul_i32 s6, s3, s2
	s_delay_alu instid0(SALU_CYCLE_1)
	s_sub_co_i32 s5, s5, s6
	s_add_co_i32 s6, s3, 1
	s_sub_co_i32 s7, s5, s2
	s_cmp_ge_u32 s5, s2
	s_cselect_b32 s3, s6, s3
	s_cselect_b32 s5, s7, s5
	s_add_co_i32 s6, s3, 1
	s_cmp_ge_u32 s5, s2
	s_cselect_b32 s2, s6, s3
	s_delay_alu instid0(SALU_CYCLE_1) | instskip(NEXT) | instid1(SALU_CYCLE_1)
	s_xor_b32 s2, s2, s4
	s_sub_co_i32 s35, s2, s4
	s_load_b512 s[4:19], s[0:1], 0x0
	s_abs_i32 s41, s35
	s_load_b64 s[2:3], s[0:1], 0xb8
	s_cvt_f32_u32 s24, s41
	s_delay_alu instid0(SALU_CYCLE_3) | instskip(SKIP_1) | instid1(TRANS32_DEP_1)
	v_rcp_iflag_f32_e32 v1, s24
	v_nop
	v_readfirstlane_b32 s24, v1
	s_mul_f32 s29, s24, 0x4f7ffffe
	s_wait_kmcnt 0x0
	s_cmp_eq_u64 s[10:11], 0
	s_cbranch_scc1 .LBB56_2
; %bb.1:
	s_abs_i32 s2, s2
	s_abs_i32 s26, s34
	s_cvt_f32_u32 s24, s2
	s_sub_co_i32 s25, 0, s2
	s_delay_alu instid0(SALU_CYCLE_2) | instskip(SKIP_1) | instid1(TRANS32_DEP_1)
	v_rcp_iflag_f32_e32 v1, s24
	v_nop
	v_readfirstlane_b32 s24, v1
	s_mul_f32 s24, s24, 0x4f7ffffe
	s_delay_alu instid0(SALU_CYCLE_3) | instskip(NEXT) | instid1(SALU_CYCLE_3)
	s_cvt_u32_f32 s24, s24
	s_mul_i32 s25, s25, s24
	s_delay_alu instid0(SALU_CYCLE_1) | instskip(NEXT) | instid1(SALU_CYCLE_1)
	s_mul_hi_u32 s25, s24, s25
	s_add_co_i32 s24, s24, s25
	s_delay_alu instid0(SALU_CYCLE_1) | instskip(SKIP_2) | instid1(SALU_CYCLE_1)
	s_mul_hi_u32 s27, s26, s24
	s_load_b64 s[24:25], s[0:1], 0xc8
	s_mul_i32 s27, s27, s2
	s_sub_co_i32 s26, s26, s27
	s_ashr_i32 s27, s34, 31
	s_sub_co_i32 s33, s26, s2
	s_cmp_ge_u32 s26, s2
	s_cselect_b32 s26, s33, s26
	s_delay_alu instid0(SALU_CYCLE_1) | instskip(SKIP_2) | instid1(SALU_CYCLE_1)
	s_sub_co_i32 s33, s26, s2
	s_cmp_ge_u32 s26, s2
	s_cselect_b32 s2, s33, s26
	s_xor_b32 s2, s2, s27
	s_delay_alu instid0(SALU_CYCLE_1) | instskip(NEXT) | instid1(SALU_CYCLE_1)
	s_sub_co_i32 s26, s2, s27
	s_ashr_i32 s27, s26, 31
	s_wait_kmcnt 0x0
	s_mul_u64 s[24:25], s[24:25], s[26:27]
	s_delay_alu instid0(SALU_CYCLE_1)
	s_add_nc_u64 s[36:37], s[10:11], s[24:25]
.LBB56_2:
	s_clause 0x1
	s_load_b128 s[24:27], s[0:1], 0x40
	s_load_b32 s10, s[0:1], 0x50
	s_sub_co_i32 s2, 0, s41
	s_sub_co_i32 s33, s28, s30
	v_mov_b32_e32 v58, 1.0
	s_wait_kmcnt 0x0
	s_cmp_le_f32 s25, 0
	s_cvt_u32_f32 s25, s29
	s_cbranch_scc1 .LBB56_4
; %bb.3:
	v_sub_co_u32 v1, s10, s33, s10
	s_and_b32 s28, s10, exec_lo
	s_cselect_b32 s26, s26, s27
	s_add_co_i32 s27, s33, 1
	v_readfirstlane_b32 s11, v1
	s_lshl_b32 s11, s11, 1
	s_delay_alu instid0(SALU_CYCLE_1) | instskip(SKIP_4) | instid1(SALU_CYCLE_3)
	s_or_b32 s11, s11, 1
	s_and_b32 s10, s10, exec_lo
	s_cselect_b32 s10, s27, s11
	s_cmp_neq_f32 s26, 1.0
	s_cvt_f32_i32 s10, s10
	s_cselect_b32 s11, s10, 1.0
	s_delay_alu instid0(SALU_CYCLE_1) | instskip(SKIP_1) | instid1(SALU_CYCLE_1)
	s_cmp_neq_f32 s11, 0
	s_cselect_b32 s10, s26, 1.0
	v_cvt_f64_f32_e64 v[2:3], |s10|
	s_delay_alu instid0(VALU_DEP_1) | instskip(SKIP_1) | instid1(VALU_DEP_1)
	v_frexp_exp_i32_f64_e32 v1, v[2:3]
	v_frexp_mant_f32_e64 v2, |s10|
	v_readfirstlane_b32 s26, v2
	s_cmp_lt_f32 s26, 0x3f2aaaab
	s_cselect_b32 vcc_lo, -1, 0
	s_delay_alu instid0(SALU_CYCLE_1) | instskip(SKIP_1) | instid1(SALU_CYCLE_1)
	s_and_b32 s27, vcc_lo, exec_lo
	s_cselect_b32 s27, 2.0, 1.0
	s_mul_f32 s26, s26, s27
	s_delay_alu instid0(SALU_CYCLE_3) | instskip(SKIP_1) | instid1(SALU_CYCLE_2)
	s_add_f32 s27, s26, 1.0
	s_add_f32 s29, s26, -1.0
	v_s_rcp_f32 s28, s27
	s_add_f32 s42, s27, -1.0
	v_subrev_co_ci_u32_e64 v1, null, 0, v1, vcc_lo
	s_delay_alu instid0(SALU_CYCLE_2) | instskip(NEXT) | instid1(TRANS32_DEP_1)
	s_sub_f32 s26, s26, s42
	s_mul_f32 s30, s29, s28
	v_cvt_f32_i32_e32 v1, v1
	s_delay_alu instid0(SALU_CYCLE_2) | instskip(NEXT) | instid1(SALU_CYCLE_3)
	s_mul_f32 s39, s27, s30
	v_dual_mov_b32 v3, s29 :: v_dual_mov_b32 v4, s39
	s_xor_b32 s43, s39, 0x80000000
	s_delay_alu instid0(SALU_CYCLE_1) | instskip(NEXT) | instid1(SALU_CYCLE_3)
	s_fmac_f32 s43, s30, s27
	s_fmac_f32 s43, s30, s26
	s_delay_alu instid0(SALU_CYCLE_3) | instskip(SKIP_2) | instid1(SALU_CYCLE_1)
	s_add_f32 s26, s39, s43
	v_mov_b32_e32 v6, s43
	s_mov_b32 s39, 0x3e76c4e1
	s_sub_f32 s27, s29, s26
	v_dual_mov_b32 v2, s26 :: v_dual_mov_b32 v7, s26
	s_delay_alu instid0(SALU_CYCLE_2) | instskip(NEXT) | instid1(VALU_DEP_1)
	v_mov_b32_e32 v5, s27
	v_pk_add_f32 v[2:3], v[2:3], v[4:5] neg_lo:[0,1] neg_hi:[0,1]
	s_delay_alu instid0(VALU_DEP_1) | instskip(NEXT) | instid1(VALU_DEP_1)
	v_pk_add_f32 v[2:3], v[2:3], v[6:7] neg_lo:[0,1] neg_hi:[0,1]
	v_readfirstlane_b32 s26, v3
	s_delay_alu instid0(VALU_DEP_2) | instskip(SKIP_1) | instid1(SALU_CYCLE_3)
	v_readfirstlane_b32 s29, v2
	s_add_f32 s26, s29, s26
	s_add_f32 s26, s27, s26
	s_delay_alu instid0(SALU_CYCLE_3) | instskip(NEXT) | instid1(SALU_CYCLE_3)
	s_mul_f32 s27, s28, s26
	s_add_f32 s26, s30, s27
	s_delay_alu instid0(SALU_CYCLE_3) | instskip(SKIP_1) | instid1(SALU_CYCLE_2)
	s_sub_f32 s28, s26, s30
	s_mul_f32 s29, s26, s26
	s_sub_f32 s30, s27, s28
	s_delay_alu instid0(SALU_CYCLE_2) | instskip(NEXT) | instid1(SALU_CYCLE_1)
	s_xor_b32 s27, s29, 0x80000000
	s_fmac_f32 s27, s26, s26
	s_delay_alu instid0(SALU_CYCLE_1) | instskip(NEXT) | instid1(SALU_CYCLE_3)
	s_add_f32 s28, s30, s30
	s_fmac_f32 s27, s26, s28
	s_delay_alu instid0(SALU_CYCLE_3) | instskip(NEXT) | instid1(SALU_CYCLE_3)
	s_add_f32 s28, s29, s27
	s_fmaak_f32 s39, s28, s39, 0x3e91f4c4
	s_sub_f32 s29, s28, s29
	s_delay_alu instid0(SALU_CYCLE_2) | instskip(NEXT) | instid1(SALU_CYCLE_2)
	s_fmaak_f32 s39, s28, s39, 0x3ecccdef
	s_sub_f32 s44, s27, s29
	s_delay_alu instid0(SALU_CYCLE_2) | instskip(NEXT) | instid1(SALU_CYCLE_3)
	s_mul_f32 s42, s28, s39
	s_xor_b32 s43, s42, 0x80000000
	s_delay_alu instid0(SALU_CYCLE_1) | instskip(NEXT) | instid1(SALU_CYCLE_3)
	s_fmac_f32 s43, s28, s39
	s_fmac_f32 s43, s44, s39
	s_delay_alu instid0(SALU_CYCLE_3) | instskip(NEXT) | instid1(SALU_CYCLE_3)
	s_add_f32 s29, s42, s43
	s_sub_f32 s27, s29, s42
	s_add_f32 s39, s29, 0x3f2aaaaa
	s_delay_alu instid0(SALU_CYCLE_2) | instskip(NEXT) | instid1(SALU_CYCLE_2)
	s_sub_f32 s27, s43, s27
	s_add_f32 s42, s39, 0xbf2aaaaa
	s_delay_alu instid0(SALU_CYCLE_2) | instskip(NEXT) | instid1(SALU_CYCLE_2)
	s_add_f32 s27, s27, 0x31739010
	s_sub_f32 s29, s29, s42
	s_delay_alu instid0(SALU_CYCLE_2) | instskip(NEXT) | instid1(SALU_CYCLE_2)
	v_mov_b64_e32 v[2:3], s[26:27]
	v_mov_b64_e32 v[4:5], s[28:29]
	s_delay_alu instid0(VALU_DEP_1) | instskip(SKIP_2) | instid1(VALU_DEP_3)
	v_pk_mul_f32 v[6:7], v[2:3], v[4:5]
	v_pk_add_f32 v[2:3], v[2:3], v[4:5]
	v_mov_b32_e32 v9, s39
	v_xor_b32_e32 v8, 0x80000000, v6
	s_delay_alu instid0(VALU_DEP_3) | instskip(NEXT) | instid1(VALU_DEP_2)
	v_mov_b32_e32 v7, v3
	v_fmac_f32_e64 v8, s28, s26
	s_delay_alu instid0(VALU_DEP_1) | instskip(NEXT) | instid1(VALU_DEP_1)
	v_fmac_f32_e64 v8, s28, s30
	v_fmac_f32_e64 v8, s44, s26
	s_delay_alu instid0(VALU_DEP_1) | instskip(NEXT) | instid1(VALU_DEP_1)
	v_pk_add_f32 v[4:5], v[6:7], v[8:9]
	v_dual_mov_b32 v2, v5 :: v_dual_sub_f32 v7, s39, v5
	v_mul_f32_e32 v12, 0x3f317218, v1
	s_delay_alu instid0(VALU_DEP_2) | instskip(NEXT) | instid1(VALU_DEP_3)
	v_pk_mul_f32 v[10:11], v[4:5], v[2:3]
	v_add_f32_e32 v3, v3, v7
	s_delay_alu instid0(VALU_DEP_3) | instskip(NEXT) | instid1(VALU_DEP_3)
	v_xor_b32_e32 v7, 0x80000000, v12
	v_xor_b32_e32 v2, 0x80000000, v10
	s_delay_alu instid0(VALU_DEP_2) | instskip(NEXT) | instid1(VALU_DEP_2)
	v_dual_sub_f32 v6, v4, v6 :: v_dual_fmac_f32 v7, 0x3f317218, v1
	v_fmac_f32_e32 v2, v4, v5
	s_delay_alu instid0(VALU_DEP_2) | instskip(NEXT) | instid1(VALU_DEP_2)
	v_sub_f32_e32 v6, v8, v6
	v_fmac_f32_e32 v2, v4, v3
	s_delay_alu instid0(VALU_DEP_1) | instskip(SKIP_3) | instid1(VALU_DEP_2)
	v_fmac_f32_e32 v2, v6, v5
	v_fmamk_f32 v4, v1, 0xb102e308, v7
	v_ldexp_f32 v5, s26, 1
	v_ldexp_f32 v1, s30, 1
	v_dual_add_f32 v13, v10, v2 :: v_dual_mov_b32 v11, v5
	s_delay_alu instid0(VALU_DEP_1) | instskip(SKIP_1) | instid1(VALU_DEP_2)
	v_pk_add_f32 v[6:7], v[12:13], v[4:5]
	v_dual_mov_b32 v8, v13 :: v_dual_mov_b32 v3, v13
	v_dual_mov_b32 v9, v7 :: v_dual_mov_b32 v5, v6
	v_mov_b32_e32 v14, v7
	s_delay_alu instid0(VALU_DEP_2) | instskip(NEXT) | instid1(VALU_DEP_1)
	v_pk_add_f32 v[8:9], v[8:9], v[10:11] neg_lo:[0,1] neg_hi:[0,1]
	v_pk_add_f32 v[2:3], v[2:3], v[8:9] neg_lo:[0,1] neg_hi:[0,1]
	s_delay_alu instid0(VALU_DEP_1) | instskip(NEXT) | instid1(VALU_DEP_1)
	v_add_f32_e32 v1, v1, v2
	v_add_f32_e32 v13, v1, v3
	s_delay_alu instid0(VALU_DEP_1) | instskip(SKIP_1) | instid1(VALU_DEP_2)
	v_pk_add_f32 v[2:3], v[6:7], v[12:13]
	v_pk_add_f32 v[8:9], v[6:7], v[12:13] neg_lo:[0,1] neg_hi:[0,1]
	v_mov_b32_e32 v9, v3
	s_delay_alu instid0(VALU_DEP_1) | instskip(SKIP_2) | instid1(VALU_DEP_3)
	v_pk_add_f32 v[10:11], v[4:5], v[8:9]
	v_pk_add_f32 v[4:5], v[4:5], v[8:9] neg_lo:[0,1] neg_hi:[0,1]
	v_dual_mov_b32 v16, v3 :: v_dual_mov_b32 v5, v6
	v_dual_mov_b32 v12, v11 :: v_dual_mov_b32 v17, v11
	s_delay_alu instid0(VALU_DEP_3) | instskip(NEXT) | instid1(VALU_DEP_2)
	v_readfirstlane_b32 s26, v4
	v_pk_add_f32 v[8:9], v[12:13], v[6:7] neg_lo:[0,1] neg_hi:[0,1]
	s_delay_alu instid0(VALU_DEP_2) | instskip(NEXT) | instid1(VALU_DEP_2)
	v_dual_mov_b32 v4, v13 :: v_dual_mov_b32 v10, s26
	v_dual_mov_b32 v15, v8 :: v_dual_mov_b32 v1, v8
	s_delay_alu instid0(VALU_DEP_1) | instskip(NEXT) | instid1(VALU_DEP_2)
	v_pk_add_f32 v[6:7], v[16:17], v[14:15] neg_lo:[0,1] neg_hi:[0,1]
	v_pk_add_f32 v[2:3], v[2:3], v[0:1] neg_lo:[0,1] neg_hi:[0,1]
	v_mov_b32_e32 v2, s26
	s_delay_alu instid0(VALU_DEP_3) | instskip(NEXT) | instid1(VALU_DEP_1)
	v_pk_add_f32 v[4:5], v[4:5], v[6:7] neg_lo:[0,1] neg_hi:[0,1]
	v_pk_add_f32 v[2:3], v[2:3], v[4:5]
	s_delay_alu instid0(VALU_DEP_1) | instskip(NEXT) | instid1(VALU_DEP_2)
	v_readfirstlane_b32 s27, v2
	v_mov_b32_e32 v6, v3
	s_delay_alu instid0(VALU_DEP_1) | instskip(NEXT) | instid1(VALU_DEP_3)
	v_pk_add_f32 v[6:7], v[2:3], v[6:7]
	v_mov_b32_e32 v2, s27
	s_delay_alu instid0(VALU_DEP_2) | instskip(SKIP_1) | instid1(VALU_DEP_2)
	v_pk_add_f32 v[8:9], v[12:13], v[6:7]
	v_mov_b32_e32 v5, v6
	v_readfirstlane_b32 s28, v8
	s_delay_alu instid0(VALU_DEP_1) | instskip(NEXT) | instid1(VALU_DEP_1)
	v_mov_b32_e32 v3, s28
	v_pk_add_f32 v[2:3], v[2:3], v[10:11] neg_lo:[0,1] neg_hi:[0,1]
	s_delay_alu instid0(VALU_DEP_1) | instskip(NEXT) | instid1(VALU_DEP_2)
	v_readfirstlane_b32 s29, v2
	v_pk_add_f32 v[2:3], v[4:5], v[2:3] neg_lo:[0,1] neg_hi:[0,1]
	s_sub_f32 s27, s27, s29
	s_delay_alu instid0(VALU_DEP_1) | instskip(NEXT) | instid1(SALU_CYCLE_2)
	v_readfirstlane_b32 s29, v2
	s_sub_f32 s26, s26, s27
	v_readfirstlane_b32 s27, v3
	s_delay_alu instid0(SALU_CYCLE_2) | instskip(NEXT) | instid1(SALU_CYCLE_3)
	s_add_f32 s26, s29, s26
	s_add_f32 s26, s26, s27
	s_delay_alu instid0(SALU_CYCLE_3) | instskip(NEXT) | instid1(SALU_CYCLE_3)
	s_add_f32 s27, s28, s26
	s_mul_f32 s29, s11, s27
	s_sub_f32 s28, s27, s28
	s_delay_alu instid0(SALU_CYCLE_2) | instskip(NEXT) | instid1(SALU_CYCLE_2)
	s_xor_b32 s30, s29, 0x80000000
	s_sub_f32 s26, s26, s28
	s_fmac_f32 s30, s11, s27
	s_delay_alu instid0(SALU_CYCLE_3) | instskip(SKIP_1) | instid1(SALU_CYCLE_2)
	s_fmac_f32 s30, s11, s26
	v_cmp_class_f32_e64 s26, s29, 0x204
	s_add_f32 s27, s29, s30
	s_and_b32 s26, s26, exec_lo
	s_delay_alu instid0(SALU_CYCLE_2) | instskip(SKIP_1) | instid1(SALU_CYCLE_1)
	s_sub_f32 s26, s27, s29
	s_cselect_b32 s27, s29, s27
	s_and_b32 s28, s27, 0x7fffffff
	s_delay_alu instid0(SALU_CYCLE_1) | instskip(SKIP_1) | instid1(SALU_CYCLE_2)
	s_sub_f32 s26, s30, s26
	s_cmp_neq_f32 s28, 0x7f800000
	s_cselect_b32 s26, s26, 0
	s_cmp_eq_f32 s27, 0x42b17218
	s_cselect_b32 s28, 0x37000000, 0
	s_delay_alu instid0(SALU_CYCLE_1) | instskip(SKIP_1) | instid1(SALU_CYCLE_2)
	s_sub_f32 s27, s27, s28
	s_add_f32 s26, s28, s26
	s_mul_f32 s29, s27, 0x3fb8aa3b
	s_delay_alu instid0(SALU_CYCLE_3) | instskip(SKIP_3) | instid1(SALU_CYCLE_1)
	s_xor_b32 s30, s29, 0x80000000
	s_rndne_f32 s39, s29
	s_fmamk_f32 s30, s27, 0x3fb8aa3b, s30
	s_cmp_nlt_f32 s27, 0xc2ce8ed0
	s_sub_f32 s29, s29, s39
	s_delay_alu instid0(SALU_CYCLE_1)
	s_fmamk_f32 s30, s27, 0x32a5705f, s30
	s_cselect_b32 vcc_lo, -1, 0
	s_cmp_ngt_f32 s27, 0x42b17218
	s_trunc_f32 s27, s11
	s_add_f32 s29, s29, s30
	s_cvt_i32_f32 s30, s39
	s_delay_alu instid0(SALU_CYCLE_2)
	v_s_exp_f32 s29, s29
	v_nop
	s_delay_alu instid0(TRANS32_DEP_1) | instid1(SALU_CYCLE_1)
	v_ldexp_f32 v1, s29, s30
	s_mul_f32 s29, s11, 0.5
	s_delay_alu instid0(VALU_DEP_1) | instskip(SKIP_3) | instid1(VALU_DEP_1)
	v_cndmask_b32_e32 v1, 0, v1, vcc_lo
	s_cselect_b32 vcc_lo, -1, 0
	s_cmp_eq_f32 s27, s11
	s_trunc_f32 s30, s29
	v_cndmask_b32_e32 v1, 0x7f800000, v1, vcc_lo
	s_cselect_b32 s39, -1, 0
	s_delay_alu instid0(SALU_CYCLE_1) | instskip(NEXT) | instid1(VALU_DEP_1)
	s_cmp_neq_f32 s30, s29
	v_fma_f32 v2, s26, v1, v1
	v_cmp_class_f32_e64 vcc_lo, v1, 0x204
	s_cselect_b32 s28, -1, 0
	s_delay_alu instid0(SALU_CYCLE_1)
	s_and_b32 s26, s39, s28
	v_cndmask_b32_e32 v1, v2, v1, vcc_lo
	s_and_b32 s28, s26, exec_lo
	s_cselect_b32 s28, s10, 1.0
	s_cmp_eq_f32 s27, s11
	v_cmp_class_f32_e64 s27, s10, 0x204
	v_bfi_b32 v1, 0x7fffffff, v1, s28
	s_cselect_b32 vcc_lo, -1, 0
	s_cmp_lt_f32 s10, 0
	s_delay_alu instid0(VALU_DEP_1) | instskip(SKIP_2) | instid1(VALU_DEP_1)
	v_cndmask_b32_e32 v2, 0x7fc00000, v1, vcc_lo
	s_cselect_b32 vcc_lo, -1, 0
	s_cmp_eq_f32 s10, 0
	v_cndmask_b32_e32 v1, v1, v2, vcc_lo
	s_cselect_b32 s28, -1, 0
	s_delay_alu instid0(SALU_CYCLE_1) | instskip(SKIP_2) | instid1(SALU_CYCLE_1)
	s_or_b32 vcc_lo, s28, s27
	s_cmp_lt_f32 s11, 0
	s_cselect_b32 s11, -1, 0
	s_xor_b32 s11, s11, s28
	s_delay_alu instid0(SALU_CYCLE_1)
	s_and_b32 s11, s11, exec_lo
	s_cselect_b32 s11, 0, 0x7f800000
	s_and_b32 s26, s26, exec_lo
	s_cselect_b32 s26, s10, 0
	s_cmp_o_f32 s10, s10
	v_mov_b32_e32 v2, s26
	s_delay_alu instid0(VALU_DEP_1) | instskip(NEXT) | instid1(VALU_DEP_1)
	v_bfi_b32 v2, 0x7fffffff, s11, v2
	v_cndmask_b32_e32 v1, v1, v2, vcc_lo
	s_cselect_b32 vcc_lo, -1, 0
	s_delay_alu instid0(VALU_DEP_1)
	v_cndmask_b32_e32 v58, 0x7fc00000, v1, vcc_lo
.LBB56_4:
	s_load_b96 s[28:30], s[0:1], 0x70
	s_bfe_u32 s10, ttmp6, 0x4000c
	s_mul_i32 s26, s2, s25
	s_add_co_i32 s10, s10, 1
	s_and_b32 s2, ttmp6, 15
	s_mul_i32 s10, ttmp9, s10
	v_and_b32_e32 v48, 0x3ff, v0
	s_add_co_i32 s2, s2, s10
	v_bfe_u32 v61, v0, 10, 10
	s_cmp_eq_u32 s40, 0
	s_delay_alu instid0(VALU_DEP_2) | instskip(SKIP_1) | instid1(VALU_DEP_2)
	v_dual_mov_b32 v35, 0 :: v_dual_lshlrev_b32 v34, 4, v48
	s_cselect_b32 s42, ttmp9, s2
	v_dual_lshlrev_b32 v52, 3, v48 :: v_dual_lshlrev_b32 v51, 2, v61
	s_lshl_b32 s39, s42, 5
	v_cmp_gt_u32_e64 s2, 18, v48
	s_mov_b32 s11, 0
	v_add_nc_u32_e32 v2, 0x14e0, v52
	s_mov_b32 s10, s20
	s_wait_kmcnt 0x0
	s_mul_i32 s44, s34, s30
	s_mul_i32 s46, s33, s29
	s_ashr_i32 s45, s44, 31
	s_ashr_i32 s47, s46, 31
	s_add_nc_u64 s[4:5], s[4:5], s[44:45]
	s_ashr_i32 s29, s28, 31
	s_add_nc_u64 s[4:5], s[4:5], s[46:47]
	s_delay_alu instid0(SALU_CYCLE_1)
	v_add_nc_u64_e32 v[0:1], s[4:5], v[34:35]
	v_add_nc_u32_e32 v34, s39, v51
	s_lshr_b64 s[4:5], s[28:29], 2
	s_and_saveexec_b32 s20, s2
	s_cbranch_execz .LBB56_6
; %bb.5:
	s_delay_alu instid0(VALU_DEP_1) | instskip(NEXT) | instid1(VALU_DEP_1)
	v_mul_u64_e32 v[4:5], s[10:11], v[34:35]
	v_dual_add_nc_u32 v3, v34, v5 :: v_dual_mov_b32 v5, v35
	s_delay_alu instid0(VALU_DEP_1) | instskip(NEXT) | instid1(VALU_DEP_1)
	v_lshrrev_b32_e32 v3, s21, v3
	v_mul_lo_u32 v3, v3, s22
	s_delay_alu instid0(VALU_DEP_1) | instskip(NEXT) | instid1(VALU_DEP_1)
	v_sub_nc_u32_e32 v4, v34, v3
	v_mul_u64_e32 v[4:5], s[4:5], v[4:5]
	s_delay_alu instid0(VALU_DEP_1) | instskip(SKIP_4) | instid1(VALU_DEP_2)
	v_lshl_add_u64 v[4:5], v[4:5], 2, v[0:1]
	global_load_b128 v[4:7], v[4:5], off
	s_wait_loadcnt 0x0
	v_fma_mixlo_f16 v3, s24, v4, 0
	v_mov_b32_e32 v4, v7
	v_and_b32_e32 v3, 0xffff, v3
	s_delay_alu instid0(VALU_DEP_2) | instskip(NEXT) | instid1(VALU_DEP_1)
	v_pk_mul_f32 v[4:5], s[24:25], v[4:5] op_sel_hi:[0,1]
	v_cvt_pk_f16_f32 v4, v4, v5
	v_fma_mixlo_f16 v5, s24, v6, 0
	s_delay_alu instid0(VALU_DEP_2) | instskip(NEXT) | instid1(VALU_DEP_2)
	v_and_b32_e32 v6, 0xffff0000, v4
	v_and_b32_e32 v5, 0xffff, v5
	s_delay_alu instid0(VALU_DEP_2) | instskip(SKIP_1) | instid1(VALU_DEP_2)
	v_dual_lshlrev_b32 v4, 16, v4 :: v_dual_bitop2_b32 v3, v6, v3 bitop3:0x54
	v_mad_u32_u24 v6, 0x240, v61, v2
	v_or3_b32 v5, v4, v5, 0
	s_delay_alu instid0(VALU_DEP_3)
	v_or3_b32 v4, 0, 0, v3
	ds_store_b64 v6, v[4:5]
.LBB56_6:
	s_or_b32 exec_lo, exec_lo, s20
	v_or_b32_e32 v49, 1, v51
	s_mul_hi_u32 s20, s25, s26
	s_delay_alu instid0(VALU_DEP_1)
	v_add_nc_u32_e32 v32, s39, v49
	s_and_saveexec_b32 s26, s2
	s_cbranch_execz .LBB56_8
; %bb.7:
	v_mov_b32_e32 v33, 0
	s_delay_alu instid0(VALU_DEP_1) | instskip(NEXT) | instid1(VALU_DEP_1)
	v_mul_u64_e32 v[4:5], s[10:11], v[32:33]
	v_dual_add_nc_u32 v3, v32, v5 :: v_dual_mov_b32 v5, v33
	s_delay_alu instid0(VALU_DEP_1) | instskip(NEXT) | instid1(VALU_DEP_1)
	v_lshrrev_b32_e32 v3, s21, v3
	v_mul_lo_u32 v3, v3, s22
	s_delay_alu instid0(VALU_DEP_1) | instskip(NEXT) | instid1(VALU_DEP_1)
	v_sub_nc_u32_e32 v4, v32, v3
	v_mul_u64_e32 v[4:5], s[4:5], v[4:5]
	s_delay_alu instid0(VALU_DEP_1) | instskip(SKIP_4) | instid1(VALU_DEP_2)
	v_lshl_add_u64 v[4:5], v[4:5], 2, v[0:1]
	global_load_b128 v[4:7], v[4:5], off
	s_wait_loadcnt 0x0
	v_fma_mixlo_f16 v3, s24, v4, 0
	v_mov_b32_e32 v4, v7
	v_and_b32_e32 v3, 0xffff, v3
	s_delay_alu instid0(VALU_DEP_2) | instskip(NEXT) | instid1(VALU_DEP_1)
	v_pk_mul_f32 v[4:5], s[24:25], v[4:5] op_sel_hi:[0,1]
	v_cvt_pk_f16_f32 v4, v4, v5
	v_fma_mixlo_f16 v5, s24, v6, 0
	s_delay_alu instid0(VALU_DEP_2) | instskip(NEXT) | instid1(VALU_DEP_2)
	v_and_b32_e32 v6, 0xffff0000, v4
	v_and_b32_e32 v5, 0xffff, v5
	s_delay_alu instid0(VALU_DEP_2) | instskip(SKIP_1) | instid1(VALU_DEP_2)
	v_dual_lshlrev_b32 v4, 16, v4 :: v_dual_bitop2_b32 v3, v6, v3 bitop3:0x54
	v_mad_u32_u24 v6, 0x90, v49, v2
	v_or3_b32 v5, v4, v5, 0
	s_delay_alu instid0(VALU_DEP_3)
	v_or3_b32 v4, 0, 0, v3
	ds_store_b64 v6, v[4:5]
.LBB56_8:
	s_or_b32 exec_lo, exec_lo, s26
	v_or_b32_e32 v37, 2, v51
	s_abs_i32 s30, s33
	s_add_co_i32 s26, s25, s20
	s_and_saveexec_b32 s20, s2
	s_cbranch_execz .LBB56_10
; %bb.9:
	v_dual_mov_b32 v5, 0 :: v_dual_add_nc_u32 v4, s39, v37
	s_delay_alu instid0(VALU_DEP_1) | instskip(NEXT) | instid1(VALU_DEP_1)
	v_mul_u64_e32 v[6:7], s[10:11], v[4:5]
	v_add_nc_u32_e32 v3, v4, v7
	s_delay_alu instid0(VALU_DEP_1) | instskip(NEXT) | instid1(VALU_DEP_1)
	v_lshrrev_b32_e32 v3, s21, v3
	v_mul_lo_u32 v3, v3, s22
	s_delay_alu instid0(VALU_DEP_1) | instskip(NEXT) | instid1(VALU_DEP_1)
	v_sub_nc_u32_e32 v4, v4, v3
	v_mul_u64_e32 v[4:5], s[4:5], v[4:5]
	s_delay_alu instid0(VALU_DEP_1) | instskip(SKIP_4) | instid1(VALU_DEP_2)
	v_lshl_add_u64 v[4:5], v[4:5], 2, v[0:1]
	global_load_b128 v[4:7], v[4:5], off
	s_wait_loadcnt 0x0
	v_fma_mixlo_f16 v3, s24, v4, 0
	v_mov_b32_e32 v4, v7
	v_and_b32_e32 v3, 0xffff, v3
	s_delay_alu instid0(VALU_DEP_2) | instskip(NEXT) | instid1(VALU_DEP_1)
	v_pk_mul_f32 v[4:5], s[24:25], v[4:5] op_sel_hi:[0,1]
	v_cvt_pk_f16_f32 v4, v4, v5
	v_fma_mixlo_f16 v5, s24, v6, 0
	s_delay_alu instid0(VALU_DEP_2) | instskip(NEXT) | instid1(VALU_DEP_2)
	v_and_b32_e32 v6, 0xffff0000, v4
	v_and_b32_e32 v5, 0xffff, v5
	s_delay_alu instid0(VALU_DEP_2) | instskip(SKIP_1) | instid1(VALU_DEP_2)
	v_dual_lshlrev_b32 v4, 16, v4 :: v_dual_bitop2_b32 v3, v6, v3 bitop3:0x54
	v_mad_u32_u24 v6, 0x90, v37, v2
	v_or3_b32 v5, v4, v5, 0
	s_delay_alu instid0(VALU_DEP_3)
	v_or3_b32 v4, 0, 0, v3
	ds_store_b64 v6, v[4:5]
.LBB56_10:
	s_or_b32 exec_lo, exec_lo, s20
	v_or_b32_e32 v33, 3, v51
	s_mov_b32 s27, s31
	s_and_saveexec_b32 s20, s2
	s_cbranch_execz .LBB56_12
; %bb.11:
	s_delay_alu instid0(VALU_DEP_1) | instskip(SKIP_1) | instid1(VALU_DEP_2)
	v_dual_mov_b32 v5, 0 :: v_dual_add_nc_u32 v4, s39, v33
	v_mad_u32_u24 v2, 0x90, v33, v2
	v_mul_u64_e32 v[6:7], s[10:11], v[4:5]
	s_delay_alu instid0(VALU_DEP_1) | instskip(NEXT) | instid1(VALU_DEP_1)
	v_add_nc_u32_e32 v3, v4, v7
	v_lshrrev_b32_e32 v3, s21, v3
	s_delay_alu instid0(VALU_DEP_1) | instskip(NEXT) | instid1(VALU_DEP_1)
	v_mul_lo_u32 v3, v3, s22
	v_sub_nc_u32_e32 v4, v4, v3
	s_delay_alu instid0(VALU_DEP_1) | instskip(NEXT) | instid1(VALU_DEP_1)
	v_mul_u64_e32 v[4:5], s[4:5], v[4:5]
	v_lshl_add_u64 v[0:1], v[4:5], 2, v[0:1]
	global_load_b128 v[4:7], v[0:1], off
	s_wait_loadcnt 0x0
	v_fma_mixlo_f16 v3, s24, v4, 0
	v_mov_b32_e32 v4, v7
	s_delay_alu instid0(VALU_DEP_2) | instskip(NEXT) | instid1(VALU_DEP_2)
	v_and_b32_e32 v3, 0xffff, v3
	v_pk_mul_f32 v[0:1], s[24:25], v[4:5] op_sel_hi:[0,1]
	s_delay_alu instid0(VALU_DEP_1) | instskip(SKIP_1) | instid1(VALU_DEP_2)
	v_cvt_pk_f16_f32 v0, v0, v1
	v_fma_mixlo_f16 v1, s24, v6, 0
	v_and_b32_e32 v4, 0xffff0000, v0
	s_delay_alu instid0(VALU_DEP_2) | instskip(NEXT) | instid1(VALU_DEP_2)
	v_and_b32_e32 v1, 0xffff, v1
	v_dual_lshlrev_b32 v0, 16, v0 :: v_dual_bitop2_b32 v3, v4, v3 bitop3:0x54
	s_delay_alu instid0(VALU_DEP_1) | instskip(NEXT) | instid1(VALU_DEP_2)
	v_or3_b32 v1, v0, v1, 0
	v_or3_b32 v0, 0, 0, v3
	ds_store_b64 v2, v[0:1]
.LBB56_12:
	s_or_b32 exec_lo, exec_lo, s20
	s_ashr_i32 s20, s33, 31
	s_ashr_i32 s28, s35, 31
	s_mul_u64 s[4:5], s[30:31], s[26:27]
	s_cmp_eq_u64 s[14:15], 0
	s_wait_dscnt 0x0
	s_barrier_signal -1
	s_barrier_wait -1
	s_cbranch_scc1 .LBB56_14
; %bb.13:
	s_load_b32 s4, s[0:1], 0xd0
	s_wait_kmcnt 0x0
	s_mul_i32 s4, s4, s34
	s_delay_alu instid0(SALU_CYCLE_1)
	s_add_co_i32 s4, s4, s42
	s_load_b32 s38, s[14:15], s4 offset:0x0 scale_offset
.LBB56_14:
	s_wait_xcnt 0x0
	s_clause 0x2
	s_load_b64 s[14:15], s[0:1], 0x8c
	s_load_b128 s[24:27], s[0:1], 0x98
	s_load_b64 s[42:43], s[0:1], 0xa8
	s_mul_i32 s4, s5, s41
	s_ashr_i32 s31, s3, 1
	s_sub_co_i32 s4, s30, s4
	s_ashr_i32 s35, s34, 31
	s_xor_b32 s3, s20, s28
	s_add_co_i32 s20, s5, 1
	s_sub_co_i32 s29, s4, s41
	v_dual_lshlrev_b32 v50, 2, v48 :: v_dual_lshrrev_b32 v62, 3, v48
	v_lshl_add_u32 v59, v61, 5, v48
	v_mul_u32_u24_e32 v60, 0xa0, v48
	v_lshl_add_u32 v54, v61, 8, 0x26e0
	s_delay_alu instid0(VALU_DEP_4)
	v_and_b32_e32 v36, 28, v50
	v_mbcnt_lo_u32_b32 v53, -1, 0
	s_wait_kmcnt 0x0
	s_ashr_i32 s28, s14, 2
	s_ashr_i32 s14, s26, 2
	s_cmp_ge_u32 s4, s41
	s_mul_u64 s[24:25], s[24:25], s[34:35]
	s_cselect_b32 s20, s20, s5
	s_cselect_b32 s4, s29, s4
	s_add_co_i32 s26, s20, 1
	s_cmp_ge_u32 s4, s41
	s_add_nc_u64 s[4:5], s[6:7], s[24:25]
	s_cselect_b32 s6, s26, s20
	s_bfe_u32 s7, ttmp6, 0x40010
	s_xor_b32 s6, s6, s3
	s_and_b32 s20, ttmp7, 0xffff
	s_add_co_i32 s7, s7, 1
	s_sub_co_i32 s3, s6, s3
	s_bfe_u32 s24, ttmp6, 0x40004
	s_mul_i32 s7, s20, s7
	s_mul_i32 s6, s3, s15
	;; [unrolled: 1-line block ×3, first 2 shown]
	s_add_co_i32 s24, s24, s7
	s_ashr_i32 s7, s6, 31
	s_ashr_i32 s27, s26, 31
	s_cmp_eq_u32 s40, 0
	s_mul_u64 s[42:43], s[42:43], s[34:35]
	s_cselect_b32 s20, s20, s24
	s_add_nc_u64 s[6:7], s[4:5], s[6:7]
	s_sub_co_i32 s30, s38, 32
	s_lshl_b32 s24, s20, 5
	s_add_nc_u64 s[4:5], s[8:9], s[42:43]
	s_cmp_ge_i32 s24, s30
	s_add_nc_u64 s[8:9], s[4:5], s[26:27]
	s_cbranch_scc1 .LBB56_30
; %bb.15:
	v_dual_mov_b32 v39, 0 :: v_dual_bitop2_b32 v38, 1, v34 bitop3:0x54
	v_mul_lo_u32 v40, s28, v59
	v_mul_lo_u32 v42, s14, v59
	s_movk_i32 s4, 0x80
	s_movk_i32 s5, 0x240
	v_mul_u64_e32 v[0:1], s[10:11], v[38:39]
	s_movk_i32 s15, 0x90
	s_ashr_i32 s29, s28, 31
	v_cmp_gt_u32_e64 s3, 32, v59
	v_mad_u32_u24 v63, 0xa0, v59, s4
	v_mad_u32_u24 v64, v61, s5, 0x14e0
	;; [unrolled: 1-line block ×3, first 2 shown]
	v_dual_mov_b32 v24, v39 :: v_dual_mov_b32 v23, v39
	v_dual_mov_b32 v25, v39 :: v_dual_mov_b32 v55, v39
	;; [unrolled: 1-line block ×4, first 2 shown]
	v_dual_ashrrev_i32 v41, 31, v40 :: v_dual_ashrrev_i32 v43, 31, v42
	v_dual_mov_b32 v14, 0xfeffffff :: v_dual_mov_b32 v15, 0xfeffffff
	s_cmp_lg_u64 s[36:37], 0
	s_add_nc_u64 s[4:5], s[0:1], 0xd0
	s_cselect_b32 s35, -1, 0
	s_ashr_i32 s15, s14, 31
	v_dual_mov_b32 v35, v39 :: v_dual_mov_b32 v12, 0xfeffffff
	v_dual_mov_b32 v13, 0xfeffffff :: v_dual_add_nc_u32 v0, v38, v1
	s_delay_alu instid0(VALU_DEP_1) | instskip(NEXT) | instid1(VALU_DEP_1)
	v_lshrrev_b32_e32 v0, s21, v0
	v_mul_lo_u32 v0, v0, s22
	s_delay_alu instid0(VALU_DEP_1) | instskip(NEXT) | instid1(VALU_DEP_1)
	v_dual_sub_nc_u32 v4, v38, v0 :: v_dual_bitop2_b32 v38, 2, v34 bitop3:0x54
	v_mul_u64_e32 v[0:1], s[10:11], v[38:39]
	s_delay_alu instid0(VALU_DEP_1) | instskip(NEXT) | instid1(VALU_DEP_3)
	v_add_nc_u32_e32 v0, v38, v1
	v_mul_lo_u32 v68, v4, s31
	s_delay_alu instid0(VALU_DEP_2) | instskip(NEXT) | instid1(VALU_DEP_1)
	v_lshrrev_b32_e32 v0, s21, v0
	v_mul_lo_u32 v0, v0, s22
	s_delay_alu instid0(VALU_DEP_1) | instskip(SKIP_3) | instid1(VALU_DEP_4)
	v_dual_sub_nc_u32 v5, v38, v0 :: v_dual_bitop2_b32 v38, 3, v34 bitop3:0x54
	v_mul_u64_e32 v[0:1], s[10:11], v[34:35]
	v_add_nc_u32_e32 v0, v62, v51
	v_mbcnt_lo_u32_b32 v35, -1, 0
	v_mul_lo_u32 v70, v5, s31
	v_mul_u64_e32 v[2:3], s[10:11], v[38:39]
	v_lshlrev_b32_e32 v2, 2, v36
	v_mul_lo_u32 v44, s28, v0
	v_mul_lo_u32 v46, s14, v0
	s_delay_alu instid0(VALU_DEP_3) | instskip(SKIP_1) | instid1(VALU_DEP_4)
	v_mad_u32_u24 v66, 0xa0, v0, v2
	v_mad_u32_u24 v67, 0x90, v0, v2
	v_dual_mov_b32 v2, v39 :: v_dual_ashrrev_i32 v45, 31, v44
	v_add_nc_u32_e32 v3, v38, v3
	s_delay_alu instid0(VALU_DEP_1) | instskip(NEXT) | instid1(VALU_DEP_1)
	v_dual_add_nc_u32 v1, v34, v1 :: v_dual_lshrrev_b32 v0, s21, v3
	v_dual_lshrrev_b32 v1, s21, v1 :: v_dual_mov_b32 v3, v39
	s_delay_alu instid0(VALU_DEP_2) | instskip(NEXT) | instid1(VALU_DEP_2)
	v_mul_lo_u32 v0, v0, s22
	v_mul_lo_u32 v1, v1, s22
	s_delay_alu instid0(VALU_DEP_2) | instskip(NEXT) | instid1(VALU_DEP_2)
	v_dual_ashrrev_i32 v47, 31, v46 :: v_dual_sub_nc_u32 v0, v38, v0
	v_dual_sub_nc_u32 v1, v34, v1 :: v_dual_lshlrev_b32 v38, 2, v36
	s_delay_alu instid0(VALU_DEP_2) | instskip(NEXT) | instid1(VALU_DEP_2)
	v_mul_lo_u32 v71, v0, s31
	v_mul_lo_u32 v69, v1, s31
	v_dual_mov_b32 v0, v39 :: v_dual_mov_b32 v1, v39
.LBB56_16:                              ; =>This Inner Loop Header: Depth=1
	s_ashr_i32 s25, s24, 31
	s_delay_alu instid0(SALU_CYCLE_1) | instskip(NEXT) | instid1(SALU_CYCLE_1)
	s_mul_u64 s[26:27], s[24:25], s[28:29]
	s_lshl_b64 s[26:27], s[26:27], 2
	s_delay_alu instid0(SALU_CYCLE_1)
	s_add_nc_u64 s[26:27], s[6:7], s[26:27]
	s_and_saveexec_b32 s40, s3
	s_cbranch_execz .LBB56_18
; %bb.17:                               ;   in Loop: Header=BB56_16 Depth=1
	v_lshl_add_u64 v[4:5], v[40:41], 2, s[26:27]
	global_load_b128 v[4:7], v[4:5], off offset:128
	s_wait_loadcnt 0x0
	ds_store_b128 v63, v[4:7]
.LBB56_18:                              ;   in Loop: Header=BB56_16 Depth=1
	s_or_b32 exec_lo, exec_lo, s40
	v_lshl_add_u64 v[4:5], v[44:45], 2, s[26:27]
	v_dual_mov_b32 v22, 0 :: v_dual_mov_b32 v29, 0
	s_and_not1_b32 vcc_lo, exec_lo, s35
	v_mov_b32_e32 v18, 0
	s_delay_alu instid0(VALU_DEP_3)
	v_add_nc_u64_e32 v[4:5], v[4:5], v[38:39]
	global_load_b128 v[4:7], v[4:5], off
	s_wait_loadcnt 0x0
	ds_store_b128 v66, v[4:7]
	s_wait_dscnt 0x0
	s_barrier_signal -1
	s_barrier_wait -1
	ds_load_b128 v[8:11], v60
	ds_load_b128 v[72:75], v64
	ds_load_b128 v[76:79], v64 offset:144
	ds_load_b128 v[80:83], v64 offset:288
	;; [unrolled: 1-line block ×3, first 2 shown]
	v_dual_mov_b32 v6, 0 :: v_dual_add_nc_u32 v4, s24, v48
	v_mov_b32_e32 v5, 0
	s_wait_dscnt 0x3
	;;#ASMSTART
	v_dot2_f32_f16 v6, v8, v72, v6
	;;#ASMEND
	;;#ASMSTART
	v_dot2_f32_f16 v6, v9, v73, v6
	;;#ASMEND
	;;#ASMSTART
	v_dot2_f32_f16 v6, v10, v74, v6
	;;#ASMEND
	;;#ASMSTART
	v_dot2_f32_f16 v6, v11, v75, v6
	;;#ASMEND
	s_wait_dscnt 0x2
	;;#ASMSTART
	v_dot2_f32_f16 v18, v8, v76, v18
	;;#ASMEND
	;;#ASMSTART
	v_dot2_f32_f16 v18, v9, v77, v18
	;;#ASMEND
	;;#ASMSTART
	v_dot2_f32_f16 v18, v10, v78, v18
	;;#ASMEND
	;;#ASMSTART
	v_dot2_f32_f16 v18, v11, v79, v18
	;;#ASMEND
	s_wait_dscnt 0x1
	;;#ASMSTART
	v_dot2_f32_f16 v22, v8, v80, v22
	;;#ASMEND
	;;#ASMSTART
	v_dot2_f32_f16 v22, v9, v81, v22
	;;#ASMEND
	;;#ASMSTART
	v_dot2_f32_f16 v22, v10, v82, v22
	;;#ASMEND
	;;#ASMSTART
	v_dot2_f32_f16 v22, v11, v83, v22
	;;#ASMEND
	s_wait_dscnt 0x0
	;;#ASMSTART
	v_dot2_f32_f16 v29, v8, v84, v29
	;;#ASMEND
	;;#ASMSTART
	v_dot2_f32_f16 v29, v9, v85, v29
	;;#ASMEND
	;;#ASMSTART
	v_dot2_f32_f16 v29, v10, v86, v29
	;;#ASMEND
	;;#ASMSTART
	v_dot2_f32_f16 v29, v11, v87, v29
	;;#ASMEND
	ds_load_b128 v[8:11], v60 offset:16
	ds_load_b128 v[72:75], v64 offset:16
	ds_load_b128 v[76:79], v64 offset:160
	ds_load_b128 v[80:83], v64 offset:304
	ds_load_b128 v[84:87], v64 offset:448
	s_wait_dscnt 0x3
	;;#ASMSTART
	v_dot2_f32_f16 v6, v8, v72, v6
	;;#ASMEND
	;;#ASMSTART
	v_dot2_f32_f16 v6, v9, v73, v6
	;;#ASMEND
	;;#ASMSTART
	v_dot2_f32_f16 v6, v10, v74, v6
	;;#ASMEND
	;;#ASMSTART
	v_dot2_f32_f16 v6, v11, v75, v6
	;;#ASMEND
	s_wait_dscnt 0x2
	;;#ASMSTART
	v_dot2_f32_f16 v18, v8, v76, v18
	;;#ASMEND
	;;#ASMSTART
	v_dot2_f32_f16 v18, v9, v77, v18
	;;#ASMEND
	;;#ASMSTART
	v_dot2_f32_f16 v18, v10, v78, v18
	;;#ASMEND
	;;#ASMSTART
	v_dot2_f32_f16 v18, v11, v79, v18
	;;#ASMEND
	s_wait_dscnt 0x1
	;;#ASMSTART
	v_dot2_f32_f16 v22, v8, v80, v22
	;;#ASMEND
	;;#ASMSTART
	v_dot2_f32_f16 v22, v9, v81, v22
	;;#ASMEND
	;;#ASMSTART
	v_dot2_f32_f16 v22, v10, v82, v22
	;;#ASMEND
	;;#ASMSTART
	v_dot2_f32_f16 v22, v11, v83, v22
	;;#ASMEND
	s_wait_dscnt 0x0
	;;#ASMSTART
	v_dot2_f32_f16 v29, v8, v84, v29
	;;#ASMEND
	;;#ASMSTART
	v_dot2_f32_f16 v29, v9, v85, v29
	;;#ASMEND
	;;#ASMSTART
	v_dot2_f32_f16 v29, v10, v86, v29
	;;#ASMEND
	;;#ASMSTART
	v_dot2_f32_f16 v29, v11, v87, v29
	;;#ASMEND
	ds_load_b128 v[8:11], v60 offset:32
	ds_load_b128 v[72:75], v64 offset:32
	ds_load_b128 v[76:79], v64 offset:176
	ds_load_b128 v[80:83], v64 offset:320
	ds_load_b128 v[84:87], v64 offset:464
	;; [unrolled: 57-line block ×8, first 2 shown]
	s_wait_dscnt 0x3
	;;#ASMSTART
	v_dot2_f32_f16 v6, v72, v76, v6
	;;#ASMEND
	;;#ASMSTART
	v_dot2_f32_f16 v6, v73, v77, v6
	;;#ASMEND
	;; [unrolled: 3-line block ×4, first 2 shown]
	s_wait_dscnt 0x2
	;;#ASMSTART
	v_dot2_f32_f16 v18, v72, v80, v18
	;;#ASMEND
	;;#ASMSTART
	v_dot2_f32_f16 v18, v73, v81, v18
	;;#ASMEND
	;; [unrolled: 3-line block ×4, first 2 shown]
	s_wait_dscnt 0x1
	;;#ASMSTART
	v_dot2_f32_f16 v22, v72, v84, v22
	;;#ASMEND
	v_mov_b32_e32 v8, 0
	;;#ASMSTART
	v_dot2_f32_f16 v22, v73, v85, v22
	;;#ASMEND
	;;#ASMSTART
	v_dot2_f32_f16 v22, v74, v86, v22
	;;#ASMEND
	;; [unrolled: 3-line block ×3, first 2 shown]
	s_wait_dscnt 0x0
	;;#ASMSTART
	v_dot2_f32_f16 v29, v72, v88, v29
	;;#ASMEND
	;;#ASMSTART
	v_dot2_f32_f16 v29, v73, v89, v29
	;;#ASMEND
	;; [unrolled: 3-line block ×4, first 2 shown]
	s_cbranch_vccnz .LBB56_20
; %bb.19:                               ;   in Loop: Header=BB56_16 Depth=1
	v_add_nc_u32_e32 v5, v4, v69
	global_load_u16 v5, v5, s[36:37] scale_offset
	s_wait_loadcnt 0x0
	v_cvt_f32_f16_e32 v5, v5
	s_delay_alu instid0(VALU_DEP_1)
	v_mul_f32_e32 v5, v58, v5
.LBB56_20:                              ;   in Loop: Header=BB56_16 Depth=1
	s_delay_alu instid0(VALU_DEP_1) | instskip(SKIP_1) | instid1(VALU_DEP_2)
	v_dual_add_f32 v7, v6, v5 :: v_dual_bitop2_b32 v9, 16, v35 bitop3:0x14
	v_xor_b32_e32 v10, 8, v35
	v_cmp_gt_i32_e32 vcc_lo, 32, v9
	v_dual_max_num_f32 v6, v12, v12 :: v_dual_cndmask_b32 v5, v35, v9
	s_delay_alu instid0(VALU_DEP_3) | instskip(SKIP_1) | instid1(VALU_DEP_3)
	v_cmp_gt_i32_e32 vcc_lo, 32, v10
	v_add_f32_e32 v9, 0x40051340, v7
	v_dual_cndmask_b32 v10, v35, v10 :: v_dual_lshlrev_b32 v5, 2, v5
	s_delay_alu instid0(VALU_DEP_2) | instskip(SKIP_3) | instid1(VALU_DEP_1)
	v_max_num_f32_e32 v9, v6, v9
	ds_bpermute_b32 v6, v5, v9
	s_wait_dscnt 0x0
	v_max_num_f32_e32 v11, v6, v6
	v_dual_lshlrev_b32 v6, 2, v10 :: v_dual_max_num_f32 v10, v9, v11
	ds_bpermute_b32 v9, v6, v10
	s_wait_dscnt 0x0
	v_dual_max_num_f32 v16, v9, v9 :: v_dual_bitop2_b32 v11, 4, v35 bitop3:0x14
	s_delay_alu instid0(VALU_DEP_1) | instskip(SKIP_1) | instid1(VALU_DEP_1)
	v_cmp_gt_i32_e32 vcc_lo, 32, v11
	v_cndmask_b32_e32 v11, v35, v11, vcc_lo
	v_dual_lshlrev_b32 v9, 2, v11 :: v_dual_max_num_f32 v11, v10, v16
	ds_bpermute_b32 v10, v9, v11
	s_wait_dscnt 0x0
	v_dual_max_num_f32 v17, v10, v10 :: v_dual_bitop2_b32 v16, 2, v35 bitop3:0x14
	s_delay_alu instid0(VALU_DEP_1) | instskip(NEXT) | instid1(VALU_DEP_2)
	v_cmp_gt_i32_e32 vcc_lo, 32, v16
	v_max_num_f32_e32 v11, v11, v17
	v_cndmask_b32_e32 v16, v35, v16, vcc_lo
	s_delay_alu instid0(VALU_DEP_1) | instskip(SKIP_3) | instid1(VALU_DEP_1)
	v_lshlrev_b32_e32 v10, 2, v16
	ds_bpermute_b32 v16, v10, v11
	s_wait_dscnt 0x0
	v_dual_max_num_f32 v19, v16, v16 :: v_dual_bitop2_b32 v17, 1, v35 bitop3:0x14
	v_cmp_gt_i32_e32 vcc_lo, 32, v17
	s_delay_alu instid0(VALU_DEP_2) | instskip(SKIP_2) | instid1(VALU_DEP_1)
	v_max_num_f32_e32 v11, v11, v19
	v_cndmask_b32_e32 v17, v35, v17, vcc_lo
	s_and_not1_b32 vcc_lo, exec_lo, s35
	v_lshlrev_b32_e32 v16, 2, v17
	ds_bpermute_b32 v17, v16, v11
	s_cbranch_vccnz .LBB56_22
; %bb.21:                               ;   in Loop: Header=BB56_16 Depth=1
	v_add_nc_u32_e32 v8, v4, v68
	global_load_u16 v8, v8, s[36:37] scale_offset
	s_wait_loadcnt 0x0
	v_cvt_f32_f16_e32 v8, v8
	s_delay_alu instid0(VALU_DEP_1)
	v_mul_f32_e32 v8, v58, v8
.LBB56_22:                              ;   in Loop: Header=BB56_16 Depth=1
	s_delay_alu instid0(VALU_DEP_1) | instskip(SKIP_1) | instid1(VALU_DEP_1)
	v_dual_add_f32 v8, v18, v8 :: v_dual_max_num_f32 v19, v13, v13
	s_and_not1_b32 vcc_lo, exec_lo, s35
	v_dual_mov_b32 v21, 0 :: v_dual_add_f32 v18, 0x40051340, v8
	s_delay_alu instid0(VALU_DEP_1) | instskip(SKIP_3) | instid1(VALU_DEP_1)
	v_max_num_f32_e32 v18, v19, v18
	ds_bpermute_b32 v19, v5, v18
	s_wait_dscnt 0x0
	v_max_num_f32_e32 v19, v19, v19
	v_max_num_f32_e32 v18, v18, v19
	ds_bpermute_b32 v19, v6, v18
	s_wait_dscnt 0x0
	v_max_num_f32_e32 v19, v19, v19
	s_delay_alu instid0(VALU_DEP_1) | instskip(SKIP_3) | instid1(VALU_DEP_1)
	v_max_num_f32_e32 v18, v18, v19
	ds_bpermute_b32 v19, v9, v18
	s_wait_dscnt 0x0
	v_max_num_f32_e32 v19, v19, v19
	v_max_num_f32_e32 v18, v18, v19
	ds_bpermute_b32 v19, v10, v18
	s_wait_dscnt 0x0
	v_max_num_f32_e32 v19, v19, v19
	s_delay_alu instid0(VALU_DEP_1)
	v_dual_max_num_f32 v19, v18, v19 :: v_dual_mov_b32 v18, 0
	ds_bpermute_b32 v20, v16, v19
	s_cbranch_vccnz .LBB56_24
; %bb.23:                               ;   in Loop: Header=BB56_16 Depth=1
	v_add_nc_u32_e32 v18, v4, v70
	global_load_u16 v18, v18, s[36:37] scale_offset
	s_wait_loadcnt 0x0
	v_cvt_f32_f16_e32 v18, v18
	s_delay_alu instid0(VALU_DEP_1)
	v_mul_f32_e32 v18, v58, v18
.LBB56_24:                              ;   in Loop: Header=BB56_16 Depth=1
	s_delay_alu instid0(VALU_DEP_1) | instskip(SKIP_2) | instid1(VALU_DEP_2)
	v_add_f32_e32 v18, v22, v18
	v_max_num_f32_e32 v28, v14, v14
	s_and_not1_b32 vcc_lo, exec_lo, s35
	v_add_f32_e32 v22, 0x40051340, v18
	s_delay_alu instid0(VALU_DEP_1) | instskip(SKIP_3) | instid1(VALU_DEP_1)
	v_max_num_f32_e32 v22, v28, v22
	ds_bpermute_b32 v28, v5, v22
	s_wait_dscnt 0x0
	v_max_num_f32_e32 v28, v28, v28
	v_max_num_f32_e32 v22, v22, v28
	ds_bpermute_b32 v28, v6, v22
	s_wait_dscnt 0x0
	v_max_num_f32_e32 v28, v28, v28
	s_delay_alu instid0(VALU_DEP_1) | instskip(SKIP_3) | instid1(VALU_DEP_1)
	v_max_num_f32_e32 v22, v22, v28
	ds_bpermute_b32 v28, v9, v22
	s_wait_dscnt 0x0
	v_max_num_f32_e32 v28, v28, v28
	v_max_num_f32_e32 v22, v22, v28
	ds_bpermute_b32 v28, v10, v22
	s_wait_dscnt 0x0
	v_max_num_f32_e32 v28, v28, v28
	s_delay_alu instid0(VALU_DEP_1)
	v_max_num_f32_e32 v22, v22, v28
	ds_bpermute_b32 v28, v16, v22
	s_cbranch_vccnz .LBB56_26
; %bb.25:                               ;   in Loop: Header=BB56_16 Depth=1
	v_add_nc_u32_e32 v4, v4, v71
	global_load_u16 v4, v4, s[36:37] scale_offset
	s_wait_loadcnt 0x0
	v_cvt_f32_f16_e32 v4, v4
	s_delay_alu instid0(VALU_DEP_1)
	v_mul_f32_e32 v21, v58, v4
.LBB56_26:                              ;   in Loop: Header=BB56_16 Depth=1
	s_delay_alu instid0(VALU_DEP_1) | instskip(SKIP_3) | instid1(VALU_DEP_1)
	v_dual_add_f32 v21, v29, v21 :: v_dual_max_num_f32 v4, v15, v15
	s_mul_u64 s[26:27], s[24:25], s[14:15]
	s_wait_dscnt 0x0
	s_lshl_b64 s[26:27], s[26:27], 2
	v_add_f32_e32 v29, 0x40051340, v21
	s_add_nc_u64 s[26:27], s[8:9], s[26:27]
	s_barrier_signal -1
	s_barrier_wait -1
	s_delay_alu instid0(VALU_DEP_1) | instskip(SKIP_3) | instid1(VALU_DEP_1)
	v_max_num_f32_e32 v4, v4, v29
	ds_bpermute_b32 v5, v5, v4
	s_wait_dscnt 0x0
	v_max_num_f32_e32 v5, v5, v5
	v_max_num_f32_e32 v4, v4, v5
	ds_bpermute_b32 v5, v6, v4
	s_wait_dscnt 0x0
	v_dual_max_num_f32 v6, v28, v28 :: v_dual_max_num_f32 v5, v5, v5
	s_delay_alu instid0(VALU_DEP_1) | instskip(SKIP_3) | instid1(VALU_DEP_1)
	v_max_num_f32_e32 v4, v4, v5
	ds_bpermute_b32 v5, v9, v4
	s_wait_dscnt 0x0
	v_max_num_f32_e32 v5, v5, v5
	v_max_num_f32_e32 v4, v4, v5
	ds_bpermute_b32 v5, v10, v4
	s_wait_dscnt 0x0
	v_max_num_f32_e32 v5, v5, v5
	s_delay_alu instid0(VALU_DEP_1) | instskip(SKIP_4) | instid1(VALU_DEP_1)
	v_max_num_f32_e32 v9, v4, v5
	v_dual_max_num_f32 v4, v17, v17 :: v_dual_max_num_f32 v17, v22, v22
	v_dual_max_num_f32 v5, v11, v11 :: v_dual_max_num_f32 v11, v20, v20
	ds_bpermute_b32 v10, v16, v9
	v_dual_max_num_f32 v16, v19, v19 :: v_dual_max_num_f32 v4, v5, v4
	v_dual_max_num_f32 v6, v17, v6 :: v_dual_max_num_f32 v5, v16, v11
	s_delay_alu instid0(VALU_DEP_1) | instskip(NEXT) | instid1(VALU_DEP_2)
	v_dual_sub_f32 v11, v7, v4 :: v_dual_sub_f32 v17, v18, v6
	v_sub_f32_e32 v16, v8, v5
	s_delay_alu instid0(VALU_DEP_2) | instskip(SKIP_2) | instid1(VALU_DEP_3)
	v_mul_f32_e32 v8, 0x3fb8aa3b, v11
	v_cmp_ngt_f32_e32 vcc_lo, 0xc2ce8ed0, v11
	s_wait_dscnt 0x0
	v_dual_max_num_f32 v7, v10, v10 :: v_dual_mul_f32 v10, 0x3fb8aa3b, v16
	s_delay_alu instid0(VALU_DEP_3) | instskip(NEXT) | instid1(VALU_DEP_2)
	v_fma_f32 v19, 0x3fb8aa3b, v11, -v8
	v_max_num_f32_e32 v7, v9, v7
	v_rndne_f32_e32 v9, v8
	s_delay_alu instid0(VALU_DEP_4) | instskip(NEXT) | instid1(VALU_DEP_4)
	v_rndne_f32_e32 v22, v10
	v_fmac_f32_e32 v19, 0x32a5705f, v11
	v_fma_f32 v20, 0x3fb8aa3b, v16, -v10
	v_dual_mul_f32 v18, 0x3fb8aa3b, v17 :: v_dual_sub_f32 v21, v21, v7
	s_delay_alu instid0(VALU_DEP_4) | instskip(SKIP_1) | instid1(VALU_DEP_3)
	v_dual_sub_f32 v8, v8, v9 :: v_dual_sub_f32 v10, v10, v22
	v_cvt_i32_f32_e32 v9, v9
	v_rndne_f32_e32 v29, v18
	s_delay_alu instid0(VALU_DEP_4) | instskip(NEXT) | instid1(VALU_DEP_4)
	v_mul_f32_e32 v30, 0x3fb8aa3b, v21
	v_add_f32_e32 v8, v8, v19
	v_fma_f32 v28, 0x3fb8aa3b, v17, -v18
	s_delay_alu instid0(VALU_DEP_3) | instskip(NEXT) | instid1(VALU_DEP_3)
	v_fma_f32 v31, 0x3fb8aa3b, v21, -v30
	v_exp_f32_e32 v8, v8
	v_fmac_f32_e32 v20, 0x32a5705f, v16
	v_rndne_f32_e32 v72, v30
	v_fmac_f32_e32 v28, 0x32a5705f, v17
	v_fmac_f32_e32 v31, 0x32a5705f, v21
	s_delay_alu instid0(TRANS32_DEP_1) | instskip(SKIP_2) | instid1(VALU_DEP_3)
	v_ldexp_f32 v8, v8, v9
	v_sub_f32_e32 v18, v18, v29
	v_sub_f32_e32 v19, v30, v72
	v_cndmask_b32_e32 v8, 0, v8, vcc_lo
	v_cmp_ngt_f32_e32 vcc_lo, 0xc2ce8ed0, v16
	v_add_f32_e32 v10, v10, v20
	v_cvt_i32_f32_e32 v20, v22
	v_add_f32_e32 v19, v19, v31
	v_cvt_i32_f32_e32 v22, v29
	s_delay_alu instid0(VALU_DEP_4) | instskip(SKIP_1) | instid1(TRANS32_DEP_1)
	v_exp_f32_e32 v10, v10
	v_nop
	v_ldexp_f32 v9, v10, v20
	v_exp_f32_e32 v10, v19
	v_nop
	v_cvt_i32_f32_e32 v19, v72
	s_delay_alu instid0(VALU_DEP_3)
	v_cndmask_b32_e32 v9, 0, v9, vcc_lo
	v_cmp_ngt_f32_e32 vcc_lo, 0xc2ce8ed0, v17
	s_delay_alu instid0(TRANS32_DEP_1) | instid1(VALU_DEP_3)
	v_ldexp_f32 v10, v10, v19
	v_add_f32_e32 v18, v18, v28
	s_delay_alu instid0(VALU_DEP_1) | instskip(SKIP_1) | instid1(TRANS32_DEP_1)
	v_exp_f32_e32 v18, v18
	v_nop
	v_ldexp_f32 v18, v18, v22
	s_delay_alu instid0(VALU_DEP_1)
	v_cndmask_b32_e32 v18, 0, v18, vcc_lo
	v_cmp_nlt_f32_e32 vcc_lo, 0x42b17218, v11
	v_cndmask_b32_e32 v8, 0x7f800000, v8, vcc_lo
	v_cmp_ngt_f32_e32 vcc_lo, 0xc2ce8ed0, v21
	v_cndmask_b32_e32 v11, 0, v10, vcc_lo
	v_cmp_nlt_f32_e32 vcc_lo, 0x42b17218, v16
	v_cndmask_b32_e32 v9, 0x7f800000, v9, vcc_lo
	v_cmp_nlt_f32_e32 vcc_lo, 0x42b17218, v17
	;; [unrolled: 2-line block ×3, first 2 shown]
	v_add_nc_u32_e32 v18, v54, v52
	v_cvt_pk_f16_f32 v16, v8, v9
	v_cndmask_b32_e32 v11, 0x7f800000, v11, vcc_lo
	s_delay_alu instid0(VALU_DEP_1)
	v_cvt_pk_f16_f32 v17, v10, v11
	ds_store_b64 v18, v[16:17]
	s_and_saveexec_b32 s25, s3
	s_cbranch_execz .LBB56_28
; %bb.27:                               ;   in Loop: Header=BB56_16 Depth=1
	v_lshl_add_u64 v[16:17], v[42:43], 2, s[26:27]
	global_load_b128 v[16:19], v[16:17], off offset:128
	s_wait_loadcnt 0x0
	ds_store_b128 v65, v[16:19]
.LBB56_28:                              ;   in Loop: Header=BB56_16 Depth=1
	s_or_b32 exec_lo, exec_lo, s25
	v_lshl_add_u64 v[16:17], v[46:47], 2, s[26:27]
	v_dual_sub_f32 v12, v12, v4 :: v_dual_sub_f32 v13, v13, v5
	v_dual_sub_f32 v14, v14, v6 :: v_dual_sub_f32 v15, v15, v7
	s_delay_alu instid0(VALU_DEP_3) | instskip(NEXT) | instid1(VALU_DEP_3)
	v_add_nc_u64_e32 v[16:17], v[16:17], v[38:39]
	v_dual_mul_f32 v20, 0x3fb8aa3b, v12 :: v_dual_mul_f32 v21, 0x3fb8aa3b, v13
	v_cmp_ngt_f32_e32 vcc_lo, 0xc2ce8ed0, v12
	v_add_nc_u32_e32 v112, 0x400, v52
	v_add_nc_u32_e32 v120, 0x800, v52
	s_delay_alu instid0(VALU_DEP_4)
	v_fma_f32 v29, 0x3fb8aa3b, v12, -v20
	global_load_b128 v[16:19], v[16:17], off
	v_rndne_f32_e32 v30, v20
	v_rndne_f32_e32 v72, v21
	v_mul_f32_e32 v22, 0x3fb8aa3b, v14
	v_fma_f32 v31, 0x3fb8aa3b, v13, -v21
	s_delay_alu instid0(VALU_DEP_4) | instskip(NEXT) | instid1(VALU_DEP_4)
	v_dual_fmac_f32 v29, 0x32a5705f, v12 :: v_dual_sub_f32 v20, v20, v30
	v_sub_f32_e32 v21, v21, v72
	s_delay_alu instid0(VALU_DEP_4) | instskip(SKIP_3) | instid1(VALU_DEP_4)
	v_rndne_f32_e32 v74, v22
	v_fma_f32 v73, 0x3fb8aa3b, v14, -v22
	v_fmac_f32_e32 v31, 0x32a5705f, v13
	v_cvt_i32_f32_e32 v30, v30
	v_dual_sub_f32 v22, v22, v74 :: v_dual_add_f32 v20, v20, v29
	s_delay_alu instid0(VALU_DEP_3) | instskip(SKIP_2) | instid1(VALU_DEP_4)
	v_add_f32_e32 v21, v21, v31
	v_cvt_i32_f32_e32 v29, v72
	v_cvt_i32_f32_e32 v31, v74
	v_exp_f32_e32 v20, v20
	s_delay_alu instid0(VALU_DEP_3) | instskip(NEXT) | instid1(TRANS32_DEP_2)
	v_exp_f32_e32 v21, v21
	v_ldexp_f32 v20, v20, v30
	s_delay_alu instid0(TRANS32_DEP_1) | instskip(NEXT) | instid1(VALU_DEP_2)
	v_ldexp_f32 v21, v21, v29
	v_cndmask_b32_e32 v20, 0, v20, vcc_lo
	v_cmp_ngt_f32_e32 vcc_lo, 0xc2ce8ed0, v13
	s_delay_alu instid0(VALU_DEP_3) | instskip(NEXT) | instid1(VALU_DEP_1)
	v_dual_mul_f32 v28, 0x3fb8aa3b, v15 :: v_dual_cndmask_b32 v21, 0, v21
	v_fma_f32 v75, 0x3fb8aa3b, v15, -v28
	v_rndne_f32_e32 v76, v28
	v_fmac_f32_e32 v73, 0x32a5705f, v14
	v_cmp_ngt_f32_e32 vcc_lo, 0xc2ce8ed0, v14
	s_delay_alu instid0(VALU_DEP_3) | instskip(NEXT) | instid1(VALU_DEP_3)
	v_dual_sub_f32 v28, v28, v76 :: v_dual_fmac_f32 v75, 0x32a5705f, v15
	v_add_f32_e32 v22, v22, v73
	v_cvt_i32_f32_e32 v72, v76
	s_delay_alu instid0(VALU_DEP_2) | instskip(SKIP_1) | instid1(TRANS32_DEP_1)
	v_exp_f32_e32 v22, v22
	v_nop
	v_ldexp_f32 v22, v22, v31
	s_delay_alu instid0(VALU_DEP_1) | instskip(NEXT) | instid1(VALU_DEP_1)
	v_dual_add_f32 v28, v28, v75 :: v_dual_cndmask_b32 v22, 0, v22, vcc_lo
	v_exp_f32_e32 v28, v28
	v_cmp_ngt_f32_e32 vcc_lo, 0xc2ce8ed0, v15
	s_delay_alu instid0(TRANS32_DEP_1)
	v_ldexp_f32 v28, v28, v72
	s_wait_loadcnt 0x0
	ds_store_b128 v67, v[16:19]
	s_wait_dscnt 0x0
	s_barrier_signal -1
	s_barrier_wait -1
	ds_load_b128 v[72:75], v54
	v_cndmask_b32_e32 v28, 0, v28, vcc_lo
	v_cmp_nlt_f32_e32 vcc_lo, 0x42b17218, v12
	s_wait_dscnt 0x0
	v_lshrrev_b32_e32 v130, 16, v73
	v_dual_cndmask_b32 v12, 0x7f800000, v20 :: v_dual_lshrrev_b32 v133, 16, v75
	v_cmp_nlt_f32_e32 vcc_lo, 0x42b17218, v13
	v_dual_lshrrev_b32 v132, 16, v74 :: v_dual_lshrrev_b32 v129, 16, v72
	s_delay_alu instid0(VALU_DEP_3)
	v_cvt_f16_f32_e32 v20, v12
	v_and_b32_e32 v72, 0xffff, v72
	v_cndmask_b32_e32 v13, 0x7f800000, v21, vcc_lo
	v_cmp_nlt_f32_e32 vcc_lo, 0x42b17218, v14
	v_and_b32_e32 v131, 0xffff, v73
	v_and_b32_e32 v20, 0xffff, v20
	;; [unrolled: 1-line block ×3, first 2 shown]
	v_cvt_f16_f32_e32 v21, v13
	v_cndmask_b32_e32 v14, 0x7f800000, v22, vcc_lo
	v_cmp_nlt_f32_e32 vcc_lo, 0x42b17218, v15
	v_mul_u32_u24_e32 v121, 0x10001, v20
	v_pk_fma_f32 v[0:1], v[0:1], v[12:13], v[8:9]
	v_and_b32_e32 v21, 0xffff, v21
	v_cvt_f16_f32_e32 v22, v14
	v_cndmask_b32_e32 v15, 0x7f800000, v28, vcc_lo
	v_pk_mul_f16 v124, v27, v121
	v_and_b32_e32 v135, 0xffff, v75
	v_mul_u32_u24_e32 v122, 0x10001, v21
	v_and_b32_e32 v22, 0xffff, v22
	v_cvt_f16_f32_e32 v28, v15
	v_pk_fma_f32 v[2:3], v[2:3], v[14:15], v[10:11]
	s_delay_alu instid0(VALU_DEP_4) | instskip(NEXT) | instid1(VALU_DEP_4)
	v_pk_mul_f16 v125, v26, v122
	v_mul_u32_u24_e32 v123, 0x10001, v22
	s_delay_alu instid0(VALU_DEP_4) | instskip(NEXT) | instid1(VALU_DEP_2)
	v_and_b32_e32 v10, 0xffff, v28
	v_pk_mul_f16 v126, v25, v123
	s_delay_alu instid0(VALU_DEP_2) | instskip(NEXT) | instid1(VALU_DEP_1)
	v_mul_u32_u24_e32 v8, 0x10001, v10
	v_pk_mul_f16 v127, v23, v8
	v_pk_mul_f16 v128, v24, v8
	ds_load_b128 v[76:79], v54 offset:16
	ds_load_2addr_b64 v[80:83], v52 offset1:18
	ds_load_b128 v[84:87], v54 offset:32
	ds_load_b128 v[88:91], v54 offset:48
	ds_load_2addr_b64 v[92:95], v52 offset0:36 offset1:54
	ds_load_2addr_b64 v[28:31], v52 offset0:72 offset1:90
	;; [unrolled: 1-line block ×3, first 2 shown]
	ds_load_b128 v[96:99], v54 offset:64
	ds_load_b128 v[100:103], v54 offset:80
	ds_load_2addr_b64 v[16:19], v52 offset0:144 offset1:162
	ds_load_2addr_b64 v[12:15], v52 offset0:180 offset1:198
	;; [unrolled: 1-line block ×3, first 2 shown]
	ds_load_b128 v[104:107], v54 offset:96
	ds_load_b128 v[108:111], v54 offset:112
	ds_load_2addr_b64 v[24:27], v112 offset0:124 offset1:142
	ds_load_b128 v[112:115], v54 offset:128
	ds_load_b128 v[116:119], v54 offset:144
	s_wait_dscnt 0x10
	v_dual_lshrrev_b32 v136, 16, v76 :: v_dual_lshrrev_b32 v137, 16, v77
	v_lshrrev_b32_e32 v141, 16, v79
	v_and_b32_e32 v138, 0xffff, v76
	v_and_b32_e32 v139, 0xffff, v77
	v_lshrrev_b32_e32 v140, 16, v78
	v_and_b32_e32 v142, 0xffff, v78
	v_and_b32_e32 v143, 0xffff, v79
	v_mul_u32_u24_e32 v76, 0x10001, v72
	v_mul_u32_u24_e32 v77, 0x10001, v129
	;; [unrolled: 1-line block ×4, first 2 shown]
	s_wait_dscnt 0xe
	v_dual_lshrrev_b32 v144, 16, v84 :: v_dual_lshrrev_b32 v145, 16, v85
	v_and_b32_e32 v146, 0xffff, v84
	s_wait_dscnt 0xd
	v_dual_lshrrev_b32 v152, 16, v88 :: v_dual_lshrrev_b32 v153, 16, v89
	v_and_b32_e32 v154, 0xffff, v88
	v_dual_lshrrev_b32 v156, 16, v90 :: v_dual_lshrrev_b32 v157, 16, v91
	v_and_b32_e32 v158, 0xffff, v90
	v_pk_fma_f16 v88, v81, v76, v124
	v_pk_mul_f16 v76, v80, v76
	v_pk_mul_f16 v84, v80, v77
	v_pk_fma_f16 v90, v80, v79, v127
	v_pk_mul_f16 v80, v80, v78
	v_and_b32_e32 v155, 0xffff, v89
	v_and_b32_e32 v159, 0xffff, v91
	v_pk_fma_f16 v89, v81, v77, v125
	v_pk_fma_f16 v91, v81, v79, v128
	;; [unrolled: 1-line block ×3, first 2 shown]
	v_mul_u32_u24_e32 v121, 0x10001, v133
	v_pk_fma_f16 v56, v56, v122, v84
	v_pk_fma_f16 v55, v55, v123, v80
	v_mul_u32_u24_e32 v80, 0x10001, v134
	v_mul_u32_u24_e32 v122, 0x10001, v132
	v_pk_fma_f16 v81, v81, v78, v126
	v_pk_fma_f16 v90, v82, v121, v90
	;; [unrolled: 1-line block ×3, first 2 shown]
	v_mul_u32_u24_e32 v123, 0x10001, v135
	v_pk_fma_f16 v88, v83, v80, v88
	v_pk_fma_f16 v89, v83, v122, v89
	v_mul_u32_u24_e32 v126, 0x10001, v137
	v_mul_u32_u24_e32 v127, 0x10001, v138
	;; [unrolled: 1-line block ×3, first 2 shown]
	v_and_b32_e32 v147, 0xffff, v85
	v_dual_lshrrev_b32 v148, 16, v86 :: v_dual_lshrrev_b32 v149, 16, v87
	v_and_b32_e32 v150, 0xffff, v86
	v_and_b32_e32 v151, 0xffff, v87
	ds_load_b128 v[84:87], v54 offset:160
	v_pk_fma_f16 v57, v82, v80, v57
	v_pk_fma_f16 v56, v82, v122, v56
	;; [unrolled: 1-line block ×4, first 2 shown]
	v_mul_u32_u24_e32 v129, 0x10001, v139
	s_wait_dscnt 0xd
	v_pk_fma_f16 v131, v92, v126, v90
	v_pk_fma_f16 v126, v93, v126, v91
	;; [unrolled: 1-line block ×4, first 2 shown]
	ds_load_b128 v[88:91], v54 offset:176
	v_mul_u32_u24_e32 v130, 0x10001, v141
	v_pk_fma_f16 v93, v93, v129, v122
	v_pk_fma_f16 v57, v92, v127, v57
	;; [unrolled: 1-line block ×4, first 2 shown]
	v_mul_u32_u24_e32 v92, 0x10001, v142
	v_mul_u32_u24_e32 v128, 0x10001, v140
	;; [unrolled: 1-line block ×3, first 2 shown]
	v_pk_fma_f16 v122, v94, v130, v131
	v_pk_fma_f16 v126, v95, v130, v126
	;; [unrolled: 1-line block ×8, first 2 shown]
	v_mul_u32_u24_e32 v94, 0x10001, v145
	v_mul_u32_u24_e32 v95, 0x10001, v146
	;; [unrolled: 1-line block ×5, first 2 shown]
	s_wait_dscnt 0xd
	v_pk_fma_f16 v122, v28, v94, v122
	v_pk_fma_f16 v130, v29, v95, v130
	;; [unrolled: 1-line block ×8, first 2 shown]
	v_mul_u32_u24_e32 v55, 0x10001, v150
	v_mul_u32_u24_e32 v136, 0x10001, v148
	;; [unrolled: 1-line block ×3, first 2 shown]
	v_pk_fma_f16 v122, v30, v138, v122
	v_pk_fma_f16 v29, v31, v138, v29
	s_wait_dscnt 0x0
	v_lshrrev_b32_e32 v126, 16, v88
	v_pk_fma_f16 v130, v31, v55, v130
	v_pk_fma_f16 v55, v30, v55, v57
	v_lshrrev_b32_e32 v57, 16, v89
	v_pk_fma_f16 v138, v31, v136, v139
	v_pk_fma_f16 v56, v30, v136, v56
	;; [unrolled: 1-line block ×4, first 2 shown]
	v_and_b32_e32 v30, 0xffff, v89
	v_mul_u32_u24_e32 v89, 0x10001, v153
	v_mul_u32_u24_e32 v136, 0x10001, v154
	v_mul_u32_u24_e32 v137, 0x10001, v152
	v_mul_u32_u24_e32 v139, 0x10001, v155
	v_dual_lshrrev_b32 v160, 16, v96 :: v_dual_lshrrev_b32 v161, 16, v97
	v_and_b32_e32 v96, 0xffff, v96
	v_and_b32_e32 v97, 0xffff, v97
	v_mul_u32_u24_e32 v140, 0x10001, v157
	v_mul_u32_u24_e32 v141, 0x10001, v158
	v_mul_u32_u24_e32 v142, 0x10001, v156
	v_mul_u32_u24_e32 v143, 0x10001, v159
	v_pk_fma_f16 v122, v8, v89, v122
	v_pk_fma_f16 v130, v9, v136, v130
	;; [unrolled: 1-line block ×8, first 2 shown]
	v_dual_lshrrev_b32 v162, 16, v98 :: v_dual_lshrrev_b32 v163, 16, v99
	v_and_b32_e32 v98, 0xffff, v98
	v_and_b32_e32 v99, 0xffff, v99
	v_mul_u32_u24_e32 v144, 0x10001, v161
	v_mul_u32_u24_e32 v96, 0x10001, v96
	;; [unrolled: 1-line block ×4, first 2 shown]
	v_pk_fma_f16 v28, v10, v140, v122
	v_pk_fma_f16 v9, v11, v140, v9
	;; [unrolled: 1-line block ×7, first 2 shown]
	v_dual_lshrrev_b32 v164, 16, v100 :: v_dual_lshrrev_b32 v165, 16, v101
	v_and_b32_e32 v100, 0xffff, v100
	v_and_b32_e32 v101, 0xffff, v101
	v_mul_u32_u24_e32 v146, 0x10001, v163
	v_mul_u32_u24_e32 v98, 0x10001, v98
	;; [unrolled: 1-line block ×4, first 2 shown]
	v_pk_fma_f16 v31, v10, v142, v55
	v_pk_fma_f16 v10, v16, v144, v28
	;; [unrolled: 1-line block ×8, first 2 shown]
	v_dual_lshrrev_b32 v166, 16, v102 :: v_dual_lshrrev_b32 v167, 16, v103
	v_and_b32_e32 v102, 0xffff, v102
	v_and_b32_e32 v103, 0xffff, v103
	v_mul_u32_u24_e32 v148, 0x10001, v165
	v_mul_u32_u24_e32 v100, 0x10001, v100
	;; [unrolled: 1-line block ×4, first 2 shown]
	v_pk_fma_f16 v29, v16, v145, v31
	v_pk_fma_f16 v10, v18, v146, v10
	;; [unrolled: 1-line block ×8, first 2 shown]
	v_dual_lshrrev_b32 v168, 16, v104 :: v_dual_lshrrev_b32 v169, 16, v105
	v_and_b32_e32 v104, 0xffff, v104
	v_and_b32_e32 v105, 0xffff, v105
	v_mul_u32_u24_e32 v150, 0x10001, v167
	v_mul_u32_u24_e32 v102, 0x10001, v102
	;; [unrolled: 1-line block ×3, first 2 shown]
	v_pk_fma_f16 v19, v18, v147, v29
	v_pk_fma_f16 v10, v12, v148, v10
	;; [unrolled: 1-line block ×8, first 2 shown]
	v_dual_lshrrev_b32 v170, 16, v106 :: v_dual_lshrrev_b32 v171, 16, v107
	v_and_b32_e32 v106, 0xffff, v106
	v_and_b32_e32 v107, 0xffff, v107
	v_mul_u32_u24_e32 v151, 0x10001, v166
	v_mul_u32_u24_e32 v152, 0x10001, v169
	;; [unrolled: 1-line block ×4, first 2 shown]
	v_pk_fma_f16 v17, v12, v149, v19
	v_pk_fma_f16 v10, v14, v150, v10
	v_pk_fma_f16 v9, v15, v150, v9
	v_pk_fma_f16 v13, v14, v102, v13
	v_pk_fma_f16 v8, v14, v103, v8
	v_dual_lshrrev_b32 v172, 16, v108 :: v_dual_lshrrev_b32 v173, 16, v109
	v_and_b32_e32 v108, 0xffff, v108
	v_and_b32_e32 v109, 0xffff, v109
	ds_load_2addr_b64 v[72:75], v120 offset0:32 offset1:50
	v_mul_u32_u24_e32 v153, 0x10001, v168
	v_mul_u32_u24_e32 v154, 0x10001, v171
	;; [unrolled: 1-line block ×4, first 2 shown]
	v_pk_fma_f16 v12, v15, v102, v16
	v_pk_fma_f16 v16, v15, v151, v18
	;; [unrolled: 1-line block ×8, first 2 shown]
	v_dual_lshrrev_b32 v174, 16, v110 :: v_dual_lshrrev_b32 v175, 16, v111
	v_and_b32_e32 v110, 0xffff, v110
	v_and_b32_e32 v111, 0xffff, v111
	v_mul_u32_u24_e32 v155, 0x10001, v170
	v_mul_u32_u24_e32 v108, 0x10001, v108
	;; [unrolled: 1-line block ×4, first 2 shown]
	v_pk_fma_f16 v11, v21, v105, v11
	v_pk_fma_f16 v15, v20, v153, v15
	;; [unrolled: 1-line block ×6, first 2 shown]
	v_dual_lshrrev_b32 v176, 16, v112 :: v_dual_lshrrev_b32 v177, 16, v113
	v_and_b32_e32 v112, 0xffff, v112
	v_and_b32_e32 v113, 0xffff, v113
	ds_load_2addr_b64 v[76:79], v120 offset0:68 offset1:86
	v_mul_u32_u24_e32 v156, 0x10001, v172
	v_mul_u32_u24_e32 v110, 0x10001, v110
	v_mul_u32_u24_e32 v111, 0x10001, v111
	v_mul_u32_u24_e32 v159, 0x10001, v175
	v_pk_fma_f16 v12, v21, v104, v12
	v_pk_fma_f16 v14, v21, v153, v16
	;; [unrolled: 1-line block ×8, first 2 shown]
	v_dual_lshrrev_b32 v178, 16, v114 :: v_dual_lshrrev_b32 v179, 16, v115
	v_and_b32_e32 v114, 0xffff, v114
	v_and_b32_e32 v115, 0xffff, v115
	v_mul_u32_u24_e32 v158, 0x10001, v174
	v_mul_u32_u24_e32 v112, 0x10001, v112
	;; [unrolled: 1-line block ×4, first 2 shown]
	v_pk_fma_f16 v12, v23, v106, v12
	v_pk_fma_f16 v14, v23, v155, v14
	;; [unrolled: 1-line block ×8, first 2 shown]
	v_dual_lshrrev_b32 v121, 16, v116 :: v_dual_lshrrev_b32 v124, 16, v117
	v_and_b32_e32 v116, 0xffff, v116
	v_and_b32_e32 v117, 0xffff, v117
	ds_load_2addr_b64 v[80:83], v120 offset0:104 offset1:122
	v_mul_u32_u24_e32 v160, 0x10001, v176
	v_mul_u32_u24_e32 v114, 0x10001, v114
	;; [unrolled: 1-line block ×4, first 2 shown]
	v_pk_fma_f16 v12, v25, v108, v12
	v_pk_fma_f16 v14, v25, v156, v14
	;; [unrolled: 1-line block ×4, first 2 shown]
	s_wait_dscnt 0x2
	v_pk_fma_f16 v10, v72, v161, v10
	v_pk_fma_f16 v9, v73, v161, v9
	;; [unrolled: 1-line block ×4, first 2 shown]
	v_dual_lshrrev_b32 v123, 16, v118 :: v_dual_lshrrev_b32 v125, 16, v119
	v_and_b32_e32 v118, 0xffff, v118
	v_and_b32_e32 v119, 0xffff, v119
	v_mul_u32_u24_e32 v162, 0x10001, v178
	v_mul_u32_u24_e32 v116, 0x10001, v116
	;; [unrolled: 1-line block ×4, first 2 shown]
	v_pk_fma_f16 v12, v27, v110, v12
	v_pk_fma_f16 v14, v27, v158, v14
	v_pk_fma_f16 v11, v73, v113, v11
	v_pk_fma_f16 v15, v72, v160, v15
	v_pk_fma_f16 v10, v74, v163, v10
	v_pk_fma_f16 v9, v75, v163, v9
	v_pk_fma_f16 v13, v74, v114, v13
	v_pk_fma_f16 v8, v74, v115, v8
	v_dual_lshrrev_b32 v127, 16, v84 :: v_dual_lshrrev_b32 v131, 16, v85
	v_and_b32_e32 v128, 0xffff, v84
	v_and_b32_e32 v129, 0xffff, v85
	v_dual_lshrrev_b32 v132, 16, v86 :: v_dual_lshrrev_b32 v133, 16, v87
	v_and_b32_e32 v134, 0xffff, v86
	v_and_b32_e32 v135, 0xffff, v87
	ds_load_2addr_b64 v[84:87], v120 offset0:140 offset1:158
	v_mul_u32_u24_e32 v121, 0x10001, v121
	v_mul_u32_u24_e32 v118, 0x10001, v118
	;; [unrolled: 1-line block ×4, first 2 shown]
	v_pk_fma_f16 v12, v73, v112, v12
	v_pk_fma_f16 v14, v73, v160, v14
	;; [unrolled: 1-line block ×4, first 2 shown]
	s_wait_dscnt 0x2
	v_pk_fma_f16 v10, v76, v124, v10
	v_pk_fma_f16 v9, v77, v124, v9
	;; [unrolled: 1-line block ×4, first 2 shown]
	v_mul_u32_u24_e32 v123, 0x10001, v123
	v_mul_u32_u24_e32 v128, 0x10001, v128
	v_mul_u32_u24_e32 v129, 0x10001, v129
	v_mul_u32_u24_e32 v131, 0x10001, v131
	v_pk_fma_f16 v12, v75, v114, v12
	v_pk_fma_f16 v14, v75, v162, v14
	;; [unrolled: 1-line block ×8, first 2 shown]
	v_and_b32_e32 v88, 0xffff, v88
	v_mul_u32_u24_e32 v127, 0x10001, v127
	v_mul_u32_u24_e32 v134, 0x10001, v134
	;; [unrolled: 1-line block ×4, first 2 shown]
	v_pk_fma_f16 v12, v77, v116, v12
	v_pk_fma_f16 v14, v77, v121, v14
	;; [unrolled: 1-line block ×4, first 2 shown]
	s_wait_dscnt 0x1
	v_pk_fma_f16 v10, v80, v131, v10
	v_pk_fma_f16 v9, v81, v131, v9
	;; [unrolled: 1-line block ×4, first 2 shown]
	ds_load_b128 v[92:95], v54 offset:192
	v_mul_u32_u24_e32 v132, 0x10001, v132
	v_mul_u32_u24_e32 v88, 0x10001, v88
	;; [unrolled: 1-line block ×4, first 2 shown]
	v_pk_fma_f16 v12, v79, v118, v12
	v_pk_fma_f16 v14, v79, v123, v14
	;; [unrolled: 1-line block ×12, first 2 shown]
	s_wait_dscnt 0x1
	v_pk_fma_f16 v15, v84, v57, v10
	v_pk_fma_f16 v17, v84, v88, v9
	;; [unrolled: 1-line block ×3, first 2 shown]
	v_and_b32_e32 v8, 0xffff, v90
	v_dual_lshrrev_b32 v9, 16, v90 :: v_dual_lshrrev_b32 v20, 16, v91
	v_and_b32_e32 v10, 0xffff, v91
	v_mul_u32_u24_e32 v126, 0x10001, v126
	v_pk_fma_f16 v12, v83, v134, v12
	v_pk_fma_f16 v14, v83, v132, v14
	;; [unrolled: 1-line block ×3, first 2 shown]
	v_mul_u32_u24_e32 v21, 0x10001, v8
	v_mul_u32_u24_e32 v22, 0x10001, v9
	;; [unrolled: 1-line block ×3, first 2 shown]
	ds_load_2addr_b64 v[8:11], v120 offset0:176 offset1:194
	v_pk_fma_f16 v12, v85, v88, v12
	v_pk_fma_f16 v13, v84, v126, v13
	v_pk_fma_f16 v14, v85, v126, v14
	v_mul_u32_u24_e32 v20, 0x10001, v20
	v_pk_fma_f16 v17, v86, v21, v17
	v_pk_fma_f16 v21, v87, v21, v12
	v_pk_fma_f16 v24, v86, v22, v13
	v_pk_fma_f16 v22, v87, v22, v14
	v_pk_fma_f16 v25, v86, v20, v15
	ds_load_b128 v[12:15], v54 offset:208
	s_wait_dscnt 0x2
	v_and_b32_e32 v26, 0xffff, v92
	v_pk_fma_f16 v16, v85, v57, v16
	v_pk_fma_f16 v18, v86, v23, v18
	v_dual_lshrrev_b32 v27, 16, v92 :: v_dual_lshrrev_b32 v29, 16, v93
	v_and_b32_e32 v28, 0xffff, v93
	v_pk_fma_f16 v19, v87, v23, v19
	v_mul_u32_u24_e32 v23, 0x10001, v26
	s_delay_alu instid0(VALU_DEP_4)
	v_mul_u32_u24_e32 v26, 0x10001, v27
	v_pk_fma_f16 v20, v87, v20, v16
	v_mul_u32_u24_e32 v27, 0x10001, v28
	v_mul_u32_u24_e32 v28, 0x10001, v29
	s_wait_dscnt 0x1
	v_pk_fma_f16 v29, v8, v23, v17
	v_and_b32_e32 v16, 0xffff, v94
	v_lshrrev_b32_e32 v17, 16, v94
	v_pk_fma_f16 v24, v8, v26, v24
	v_pk_fma_f16 v30, v8, v27, v18
	;; [unrolled: 1-line block ×6, first 2 shown]
	v_and_b32_e32 v25, 0xffff, v95
	v_lshrrev_b32_e32 v26, 16, v95
	v_mul_u32_u24_e32 v27, 0x10001, v16
	v_mul_u32_u24_e32 v31, 0x10001, v17
	ds_load_2addr_b64 v[16:19], v120 offset0:212 offset1:230
	v_mul_u32_u24_e32 v25, 0x10001, v25
	v_mul_u32_u24_e32 v26, 0x10001, v26
	v_pk_fma_f16 v9, v9, v28, v20
	v_pk_fma_f16 v20, v10, v27, v29
	;; [unrolled: 1-line block ×7, first 2 shown]
	s_wait_dscnt 0x1
	v_and_b32_e32 v22, 0xffff, v12
	v_lshrrev_b32_e32 v12, 16, v12
	v_and_b32_e32 v27, 0xffff, v13
	v_lshrrev_b32_e32 v13, 16, v13
	v_pk_fma_f16 v23, v11, v25, v23
	v_mul_u32_u24_e32 v22, 0x10001, v22
	v_mul_u32_u24_e32 v12, 0x10001, v12
	v_mul_u32_u24_e32 v25, 0x10001, v27
	v_mul_u32_u24_e32 v27, 0x10001, v13
	v_pk_fma_f16 v26, v11, v26, v9
	s_wait_dscnt 0x0
	v_pk_fma_f16 v20, v16, v22, v20
	v_pk_fma_f16 v24, v16, v12, v24
	;; [unrolled: 1-line block ×5, first 2 shown]
	ds_load_b128 v[8:11], v54 offset:224
	v_pk_fma_f16 v21, v17, v12, v21
	v_pk_fma_f16 v25, v17, v25, v23
	v_and_b32_e32 v12, 0xffff, v14
	v_dual_lshrrev_b32 v13, 16, v14 :: v_dual_lshrrev_b32 v29, 16, v15
	v_and_b32_e32 v14, 0xffff, v15
	v_add_nc_u32_e32 v23, 0xc00, v52
	s_delay_alu instid0(VALU_DEP_4) | instskip(NEXT) | instid1(VALU_DEP_4)
	v_mul_u32_u24_e32 v30, 0x10001, v12
	v_mul_u32_u24_e32 v31, 0x10001, v13
	;; [unrolled: 1-line block ×4, first 2 shown]
	ds_load_2addr_b64 v[12:15], v23 offset0:120 offset1:138
	v_pk_fma_f16 v17, v17, v27, v26
	v_pk_fma_f16 v26, v18, v30, v20
	;; [unrolled: 1-line block ×7, first 2 shown]
	ds_load_b128 v[20:23], v54 offset:240
	s_wait_dscnt 0x2
	v_and_b32_e32 v30, 0xffff, v8
	v_lshrrev_b32_e32 v8, 16, v8
	v_and_b32_e32 v31, 0xffff, v9
	v_lshrrev_b32_e32 v9, 16, v9
	v_pk_fma_f16 v25, v19, v55, v25
	v_mul_u32_u24_e32 v30, 0x10001, v30
	v_mul_u32_u24_e32 v8, 0x10001, v8
	;; [unrolled: 1-line block ×4, first 2 shown]
	v_pk_fma_f16 v17, v19, v29, v17
	v_lshrrev_b32_e32 v9, 16, v10
	s_wait_dscnt 0x1
	v_pk_fma_f16 v19, v12, v30, v26
	v_pk_fma_f16 v24, v12, v8, v24
	;; [unrolled: 1-line block ×6, first 2 shown]
	v_and_b32_e32 v8, 0xffff, v10
	v_add_nc_u32_e32 v10, 0x1000, v52
	v_and_b32_e32 v27, 0xffff, v11
	v_lshrrev_b32_e32 v28, 16, v11
	v_mul_u32_u24_e32 v30, 0x10001, v9
	v_mul_u32_u24_e32 v29, 0x10001, v8
	ds_load_2addr_b64 v[8:11], v10 offset0:28 offset1:46
	v_mul_u32_u24_e32 v27, 0x10001, v27
	v_mul_u32_u24_e32 v28, 0x10001, v28
	s_wait_dscnt 0x0
	s_barrier_signal -1
	s_barrier_wait -1
	s_load_b32 s25, s[4:5], 0x4
	v_pk_fma_f16 v25, v13, v31, v25
	v_pk_fma_f16 v13, v13, v55, v17
	;; [unrolled: 1-line block ×8, first 2 shown]
	v_and_b32_e32 v18, 0xffff, v20
	v_lshrrev_b32_e32 v20, 16, v20
	v_and_b32_e32 v26, 0xffff, v21
	v_lshrrev_b32_e32 v21, 16, v21
	v_pk_fma_f16 v25, v15, v27, v25
	v_mul_u32_u24_e32 v18, 0x10001, v18
	v_mul_u32_u24_e32 v20, 0x10001, v20
	;; [unrolled: 1-line block ×4, first 2 shown]
	v_pk_fma_f16 v13, v15, v28, v13
	v_pk_fma_f16 v15, v8, v18, v17
	v_pk_fma_f16 v17, v8, v20, v19
	v_pk_fma_f16 v19, v8, v26, v24
	v_pk_fma_f16 v8, v8, v21, v12
	v_pk_fma_f16 v12, v9, v18, v14
	v_pk_fma_f16 v14, v9, v20, v16
	v_and_b32_e32 v16, 0xffff, v22
	v_dual_lshrrev_b32 v18, 16, v22 :: v_dual_lshrrev_b32 v22, 16, v23
	v_and_b32_e32 v20, 0xffff, v23
	v_pk_fma_f16 v24, v9, v26, v25
	s_delay_alu instid0(VALU_DEP_4) | instskip(NEXT) | instid1(VALU_DEP_4)
	v_mul_u32_u24_e32 v16, 0x10001, v16
	v_mul_u32_u24_e32 v18, 0x10001, v18
	;; [unrolled: 1-line block ×4, first 2 shown]
	v_pk_fma_f16 v9, v9, v21, v13
	s_wait_kmcnt 0x0
	s_lshl_b32 s25, s25, 5
	v_pk_fma_f16 v57, v10, v16, v15
	v_pk_fma_f16 v56, v10, v18, v17
	;; [unrolled: 1-line block ×8, first 2 shown]
	s_add_co_i32 s24, s25, s24
	s_delay_alu instid0(SALU_CYCLE_1)
	s_cmp_lt_i32 s24, s30
	s_cbranch_scc0 .LBB56_31
; %bb.29:                               ;   in Loop: Header=BB56_16 Depth=1
	v_dual_mov_b32 v12, v4 :: v_dual_mov_b32 v13, v5
	v_dual_mov_b32 v14, v6 :: v_dual_mov_b32 v15, v7
	s_branch .LBB56_16
.LBB56_30:
	v_dual_mov_b32 v4, 0xfeffffff :: v_dual_mov_b32 v3, 0
	v_dual_mov_b32 v57, 0 :: v_dual_mov_b32 v56, 0
	s_delay_alu instid0(VALU_DEP_2) | instskip(SKIP_1) | instid1(VALU_DEP_4)
	v_dual_mov_b32 v26, 0 :: v_dual_mov_b32 v5, v4
	v_dual_mov_b32 v6, v4 :: v_dual_mov_b32 v7, v4
	;; [unrolled: 1-line block ×6, first 2 shown]
.LBB56_31:
	s_cmp_gt_i32 s38, s24
	s_cbranch_scc1 .LBB56_34
; %bb.32:
	v_mbcnt_lo_u32_b32 v8, -1, 0
	v_mov_b64_e32 v[14:15], v[2:3]
	v_mov_b64_e32 v[12:13], v[0:1]
	v_mov_b32_e32 v28, 32
	s_delay_alu instid0(VALU_DEP_4)
	v_xor_b32_e32 v38, 16, v8
	v_xor_b32_e32 v35, 8, v8
	;; [unrolled: 1-line block ×5, first 2 shown]
	s_cbranch_execz .LBB56_35
; %bb.33:
	v_mov_b32_e32 v53, v8
	s_branch .LBB56_59
.LBB56_34:
                                        ; implicit-def: $vgpr8
                                        ; implicit-def: $vgpr28
                                        ; implicit-def: $vgpr38
                                        ; implicit-def: $vgpr35
                                        ; implicit-def: $vgpr31
                                        ; implicit-def: $vgpr30
                                        ; implicit-def: $vgpr29
                                        ; implicit-def: $vgpr12_vgpr13_vgpr14_vgpr15
.LBB56_35:
	s_ashr_i32 s25, s24, 31
	s_ashr_i32 s29, s28, 31
	s_sub_co_i32 s15, s38, s24
	s_mul_u64 s[26:27], s[24:25], s[28:29]
	v_cmp_gt_u32_e64 s5, 32, v59
	v_cmp_gt_i32_e64 s4, s15, v59
	s_lshl_b64 s[26:27], s[26:27], 2
	s_delay_alu instid0(SALU_CYCLE_1)
	s_add_nc_u64 s[6:7], s[6:7], s[26:27]
	s_and_saveexec_b32 s3, s5
	s_cbranch_execz .LBB56_37
; %bb.36:
	v_mul_lo_u32 v8, s28, v59
	v_mbcnt_lo_u32_b32 v11, -1, 0
	s_delay_alu instid0(VALU_DEP_1) | instskip(NEXT) | instid1(VALU_DEP_3)
	v_dual_mov_b32 v10, 0 :: v_dual_lshlrev_b32 v11, 20, v11
	v_ashrrev_i32_e32 v9, 31, v8
	s_delay_alu instid0(VALU_DEP_1) | instskip(NEXT) | instid1(VALU_DEP_1)
	v_lshl_add_u64 v[8:9], v[8:9], 2, s[6:7]
	v_add_nc_u64_e32 v[14:15], 0x80, v[8:9]
	v_mov_b32_e32 v8, 0
	v_add_nc_u64_e32 v[12:13], src_flat_scratch_base_lo, v[10:11]
	s_delay_alu instid0(VALU_DEP_2)
	v_dual_mov_b32 v9, v8 :: v_dual_mov_b32 v10, v8
	s_clause 0x1
	scratch_store_b32 off, v8, off
	scratch_store_b96 off, v[8:10], off offset:4
	v_dual_cndmask_b32 v13, v13, v15, s4 :: v_dual_cndmask_b32 v12, v12, v14, s4
	flat_load_b128 v[8:11], v[12:13]
	s_wait_xcnt 0x0
	v_mul_u32_u24_e32 v12, 0xa0, v59
	s_wait_loadcnt_dscnt 0x0
	ds_store_b128 v12, v[8:11] offset:128
.LBB56_37:
	s_or_b32 exec_lo, exec_lo, s3
	v_dual_add_nc_u32 v22, v62, v51 :: v_dual_mov_b32 v8, 0
	v_dual_mov_b32 v12, 0 :: v_dual_lshlrev_b32 v20, 2, v36
	s_cmp_lg_u64 s[36:37], 0
	s_delay_alu instid0(VALU_DEP_2) | instskip(NEXT) | instid1(VALU_DEP_3)
	v_mul_lo_u32 v10, s28, v22
	v_dual_mov_b32 v21, v8 :: v_dual_mov_b32 v9, v8
	v_cmp_gt_i32_e64 s3, s15, v22
	s_cselect_b32 s26, -1, 0
	v_lshlrev_b32_e32 v13, 20, v53
	s_delay_alu instid0(VALU_DEP_1) | instskip(SKIP_1) | instid1(VALU_DEP_1)
	v_add_nc_u64_e32 v[12:13], src_flat_scratch_base_lo, v[12:13]
	v_ashrrev_i32_e32 v11, 31, v10
	v_lshl_add_u64 v[10:11], v[10:11], 2, s[6:7]
	v_cmp_gt_i32_e64 s6, s15, v48
	s_delay_alu instid0(VALU_DEP_2) | instskip(SKIP_2) | instid1(VALU_DEP_3)
	v_add_nc_u64_e32 v[14:15], v[10:11], v[20:21]
	v_mov_b32_e32 v10, v8
	v_cndmask_b32_e64 v21, 0, 1, s26
	v_dual_cndmask_b32 v13, v13, v15, s3 :: v_dual_cndmask_b32 v12, v12, v14, s3
	s_clause 0x1
	scratch_store_b32 off, v8, off
	scratch_store_b96 off, v[8:10], off offset:4
	s_wait_xcnt 0x0
	v_mad_u32_u24 v9, 0xa0, v22, v20
	v_mul_u32_u24_e32 v15, 0x240, v61
	v_mov_b32_e32 v14, v8
	flat_load_b128 v[10:13], v[12:13]
	s_wait_loadcnt_dscnt 0x0
	ds_store_b128 v9, v[10:13]
	s_wait_storecnt_dscnt 0x0
	s_barrier_signal -1
	s_barrier_wait -1
	ds_load_b128 v[16:19], v60
	ds_load_b128 v[28:31], v15 offset:5344
	ds_load_b128 v[38:41], v15 offset:5488
	;; [unrolled: 1-line block ×4, first 2 shown]
	s_wait_xcnt 0x0
	v_dual_mov_b32 v11, v8 :: v_dual_mov_b32 v12, v8
	v_dual_mov_b32 v13, v8 :: v_dual_mov_b32 v9, v4
	s_wait_dscnt 0x3
	;;#ASMSTART
	v_dot2_f32_f16 v14, v16, v28, v14
	;;#ASMEND
	;;#ASMSTART
	v_dot2_f32_f16 v14, v17, v29, v14
	;;#ASMEND
	;;#ASMSTART
	v_dot2_f32_f16 v14, v18, v30, v14
	;;#ASMEND
	;;#ASMSTART
	v_dot2_f32_f16 v14, v19, v31, v14
	;;#ASMEND
	s_wait_dscnt 0x2
	;;#ASMSTART
	v_dot2_f32_f16 v11, v16, v38, v11
	;;#ASMEND
	;;#ASMSTART
	v_dot2_f32_f16 v11, v17, v39, v11
	;;#ASMEND
	;;#ASMSTART
	v_dot2_f32_f16 v11, v18, v40, v11
	;;#ASMEND
	;;#ASMSTART
	v_dot2_f32_f16 v11, v19, v41, v11
	;;#ASMEND
	s_wait_dscnt 0x1
	;;#ASMSTART
	v_dot2_f32_f16 v12, v16, v42, v12
	;;#ASMEND
	;;#ASMSTART
	v_dot2_f32_f16 v12, v17, v43, v12
	;;#ASMEND
	;;#ASMSTART
	v_dot2_f32_f16 v12, v18, v44, v12
	;;#ASMEND
	;;#ASMSTART
	v_dot2_f32_f16 v12, v19, v45, v12
	;;#ASMEND
	s_wait_dscnt 0x0
	;;#ASMSTART
	v_dot2_f32_f16 v13, v16, v62, v13
	;;#ASMEND
	;;#ASMSTART
	v_dot2_f32_f16 v13, v17, v63, v13
	;;#ASMEND
	;;#ASMSTART
	v_dot2_f32_f16 v13, v18, v64, v13
	;;#ASMEND
	;;#ASMSTART
	v_dot2_f32_f16 v13, v19, v65, v13
	;;#ASMEND
	ds_load_b128 v[16:19], v60 offset:16
	ds_load_b128 v[28:31], v15 offset:5360
	ds_load_b128 v[38:41], v15 offset:5504
	ds_load_b128 v[42:45], v15 offset:5648
	ds_load_b128 v[62:65], v15 offset:5792
	s_wait_dscnt 0x3
	;;#ASMSTART
	v_dot2_f32_f16 v14, v16, v28, v14
	;;#ASMEND
	;;#ASMSTART
	v_dot2_f32_f16 v14, v17, v29, v14
	;;#ASMEND
	;;#ASMSTART
	v_dot2_f32_f16 v14, v18, v30, v14
	;;#ASMEND
	;;#ASMSTART
	v_dot2_f32_f16 v14, v19, v31, v14
	;;#ASMEND
	s_wait_dscnt 0x2
	;;#ASMSTART
	v_dot2_f32_f16 v11, v16, v38, v11
	;;#ASMEND
	;;#ASMSTART
	v_dot2_f32_f16 v11, v17, v39, v11
	;;#ASMEND
	;;#ASMSTART
	v_dot2_f32_f16 v11, v18, v40, v11
	;;#ASMEND
	;;#ASMSTART
	v_dot2_f32_f16 v11, v19, v41, v11
	;;#ASMEND
	s_wait_dscnt 0x1
	;;#ASMSTART
	v_dot2_f32_f16 v12, v16, v42, v12
	;;#ASMEND
	;;#ASMSTART
	v_dot2_f32_f16 v12, v17, v43, v12
	;;#ASMEND
	;;#ASMSTART
	v_dot2_f32_f16 v12, v18, v44, v12
	;;#ASMEND
	;;#ASMSTART
	v_dot2_f32_f16 v12, v19, v45, v12
	;;#ASMEND
	s_wait_dscnt 0x0
	;;#ASMSTART
	v_dot2_f32_f16 v13, v16, v62, v13
	;;#ASMEND
	;;#ASMSTART
	v_dot2_f32_f16 v13, v17, v63, v13
	;;#ASMEND
	;;#ASMSTART
	v_dot2_f32_f16 v13, v18, v64, v13
	;;#ASMEND
	;;#ASMSTART
	v_dot2_f32_f16 v13, v19, v65, v13
	;;#ASMEND
	ds_load_b128 v[16:19], v60 offset:32
	ds_load_b128 v[28:31], v15 offset:5376
	ds_load_b128 v[38:41], v15 offset:5520
	ds_load_b128 v[42:45], v15 offset:5664
	ds_load_b128 v[62:65], v15 offset:5808
	;; [unrolled: 57-line block ×8, first 2 shown]
	s_wait_dscnt 0x3
	;;#ASMSTART
	v_dot2_f32_f16 v14, v28, v38, v14
	;;#ASMEND
	;;#ASMSTART
	v_dot2_f32_f16 v14, v29, v39, v14
	;;#ASMEND
	;; [unrolled: 3-line block ×4, first 2 shown]
	s_wait_dscnt 0x2
	;;#ASMSTART
	v_dot2_f32_f16 v11, v28, v42, v11
	;;#ASMEND
	v_mov_b64_e32 v[18:19], v[6:7]
	;;#ASMSTART
	v_dot2_f32_f16 v11, v29, v43, v11
	;;#ASMEND
	v_mov_b64_e32 v[16:17], v[4:5]
	;;#ASMSTART
	v_dot2_f32_f16 v11, v30, v44, v11
	;;#ASMEND
	;;#ASMSTART
	v_dot2_f32_f16 v11, v31, v45, v11
	;;#ASMEND
	s_wait_dscnt 0x1
	;;#ASMSTART
	v_dot2_f32_f16 v12, v28, v60, v12
	;;#ASMEND
	v_add_nc_u32_e32 v15, s24, v48
	;;#ASMSTART
	v_dot2_f32_f16 v12, v29, v61, v12
	;;#ASMEND
	;;#ASMSTART
	v_dot2_f32_f16 v12, v30, v62, v12
	;;#ASMEND
	;; [unrolled: 3-line block ×3, first 2 shown]
	s_wait_dscnt 0x0
	;;#ASMSTART
	v_dot2_f32_f16 v13, v28, v64, v13
	;;#ASMEND
	;;#ASMSTART
	v_dot2_f32_f16 v13, v29, v65, v13
	;;#ASMEND
	;; [unrolled: 3-line block ×4, first 2 shown]
	s_and_saveexec_b32 s7, s6
	s_cbranch_execz .LBB56_41
; %bb.38:
	s_and_not1_b32 vcc_lo, exec_lo, s26
	s_cbranch_vccnz .LBB56_40
; %bb.39:
	v_mov_b32_e32 v35, 0
	s_delay_alu instid0(VALU_DEP_1) | instskip(NEXT) | instid1(VALU_DEP_1)
	v_mul_u64_e32 v[8:9], s[10:11], v[34:35]
	v_add_nc_u32_e32 v8, v34, v9
	s_delay_alu instid0(VALU_DEP_1) | instskip(NEXT) | instid1(VALU_DEP_1)
	v_lshrrev_b32_e32 v8, s21, v8
	v_mul_lo_u32 v8, v8, s22
	s_delay_alu instid0(VALU_DEP_1) | instskip(NEXT) | instid1(VALU_DEP_1)
	v_sub_nc_u32_e32 v8, v34, v8
	v_mad_u32 v8, v8, s31, v15
	global_load_u16 v8, v8, s[36:37] scale_offset
	s_wait_loadcnt 0x0
	v_cvt_f32_f16_e32 v8, v8
	s_delay_alu instid0(VALU_DEP_1)
	v_mul_f32_e32 v8, v58, v8
.LBB56_40:
	s_delay_alu instid0(VALU_DEP_1) | instskip(SKIP_3) | instid1(VALU_DEP_4)
	v_add_f32_e32 v14, v14, v8
	v_max_num_f32_e32 v8, v4, v4
	v_mov_b64_e32 v[18:19], v[6:7]
	v_mov_b64_e32 v[16:17], v[4:5]
	v_add_f32_e32 v9, 0x40051340, v14
	s_delay_alu instid0(VALU_DEP_1)
	v_max_num_f32_e32 v9, v8, v9
.LBB56_41:
	s_or_b32 exec_lo, exec_lo, s7
	v_xor_b32_e32 v38, 16, v53
	v_xor_b32_e32 v30, 2, v53
	v_dual_mov_b32 v28, 32 :: v_dual_bitop2_b32 v29, 1, v53 bitop3:0x14
	v_xor_b32_e32 v35, 8, v53
	s_delay_alu instid0(VALU_DEP_4) | instskip(SKIP_1) | instid1(VALU_DEP_3)
	v_cmp_gt_i32_e32 vcc_lo, 32, v38
	v_dual_cndmask_b32 v8, v53, v38, vcc_lo :: v_dual_bitop2_b32 v31, 4, v53 bitop3:0x14
	v_cmp_gt_i32_e32 vcc_lo, 32, v35
	s_delay_alu instid0(VALU_DEP_2)
	v_lshlrev_b32_e32 v16, 2, v8
	ds_bpermute_b32 v8, v16, v9
	v_cndmask_b32_e32 v10, v53, v35, vcc_lo
	v_cmp_gt_i32_e32 vcc_lo, 32, v31
	s_wait_dscnt 0x0
	v_dual_max_num_f32 v8, v8, v8 :: v_dual_max_num_f32 v9, v9, v9
	s_delay_alu instid0(VALU_DEP_1)
	v_dual_lshlrev_b32 v36, 2, v10 :: v_dual_max_num_f32 v8, v9, v8
	ds_bpermute_b32 v9, v36, v8
	s_wait_dscnt 0x0
	v_max_num_f32_e32 v9, v9, v9
	v_cndmask_b32_e32 v10, v53, v31, vcc_lo
	v_cmp_gt_i32_e32 vcc_lo, 32, v30
	s_delay_alu instid0(VALU_DEP_2)
	v_dual_max_num_f32 v8, v8, v9 :: v_dual_lshlrev_b32 v39, 2, v10
	ds_bpermute_b32 v9, v39, v8
	s_wait_dscnt 0x0
	v_max_num_f32_e32 v9, v9, v9
	v_cndmask_b32_e32 v10, v53, v30, vcc_lo
	v_cmp_gt_i32_e32 vcc_lo, 32, v29
	s_delay_alu instid0(VALU_DEP_2) | instskip(SKIP_4) | instid1(VALU_DEP_1)
	v_dual_max_num_f32 v8, v8, v9 :: v_dual_lshlrev_b32 v40, 2, v10
	v_cndmask_b32_e32 v10, v53, v29, vcc_lo
	ds_bpermute_b32 v9, v40, v8
	s_wait_dscnt 0x0
	v_dual_lshlrev_b32 v41, 2, v10 :: v_dual_max_num_f32 v9, v9, v9
	v_max_num_f32_e32 v8, v8, v9
	ds_bpermute_b32 v9, v41, v8
	s_wait_dscnt 0x0
	v_max_num_f32_e32 v9, v9, v9
	s_delay_alu instid0(VALU_DEP_1)
	v_max_num_f32_e32 v8, v8, v9
	s_and_saveexec_b32 s7, s6
	s_cbranch_execz .LBB56_46
; %bb.42:
	v_cmp_ne_u32_e32 vcc_lo, 1, v21
	s_cbranch_vccnz .LBB56_44
; %bb.43:
	v_dual_mov_b32 v43, 0 :: v_dual_bitop2_b32 v42, 1, v34 bitop3:0x54
	s_delay_alu instid0(VALU_DEP_1) | instskip(NEXT) | instid1(VALU_DEP_1)
	v_mul_u64_e32 v[44:45], s[10:11], v[42:43]
	v_add_nc_u32_e32 v9, v42, v45
	s_delay_alu instid0(VALU_DEP_1) | instskip(NEXT) | instid1(VALU_DEP_1)
	v_lshrrev_b32_e32 v9, s21, v9
	v_mul_lo_u32 v9, v9, s22
	s_delay_alu instid0(VALU_DEP_1) | instskip(NEXT) | instid1(VALU_DEP_1)
	v_sub_nc_u32_e32 v9, v42, v9
	v_mad_u32 v9, v9, s31, v15
	global_load_u16 v9, v9, s[36:37] scale_offset
	s_wait_loadcnt 0x0
	v_cvt_f32_f16_e32 v9, v9
	s_delay_alu instid0(VALU_DEP_1)
	v_mul_f32_e32 v9, v58, v9
	s_branch .LBB56_45
.LBB56_44:
	v_mov_b32_e32 v9, 0
.LBB56_45:
	v_max_num_f32_e32 v10, v17, v17
	s_delay_alu instid0(VALU_DEP_2) | instskip(NEXT) | instid1(VALU_DEP_1)
	v_add_f32_e32 v11, v11, v9
	v_add_f32_e32 v9, 0x40051340, v11
	s_delay_alu instid0(VALU_DEP_1)
	v_max_num_f32_e32 v17, v10, v9
.LBB56_46:
	s_or_b32 exec_lo, exec_lo, s7
	ds_bpermute_b32 v9, v16, v17
	v_max_num_f32_e32 v10, v17, v17
	s_wait_dscnt 0x0
	v_max_num_f32_e32 v9, v9, v9
	s_delay_alu instid0(VALU_DEP_1) | instskip(SKIP_3) | instid1(VALU_DEP_1)
	v_max_num_f32_e32 v9, v10, v9
	ds_bpermute_b32 v10, v36, v9
	s_wait_dscnt 0x0
	v_max_num_f32_e32 v10, v10, v10
	v_max_num_f32_e32 v9, v9, v10
	ds_bpermute_b32 v10, v39, v9
	s_wait_dscnt 0x0
	v_max_num_f32_e32 v10, v10, v10
	s_delay_alu instid0(VALU_DEP_1) | instskip(SKIP_3) | instid1(VALU_DEP_1)
	v_max_num_f32_e32 v9, v9, v10
	ds_bpermute_b32 v10, v40, v9
	s_wait_dscnt 0x0
	v_max_num_f32_e32 v10, v10, v10
	v_max_num_f32_e32 v9, v9, v10
	ds_bpermute_b32 v10, v41, v9
	s_wait_dscnt 0x0
	v_max_num_f32_e32 v10, v10, v10
	s_delay_alu instid0(VALU_DEP_1)
	v_max_num_f32_e32 v9, v9, v10
	s_and_saveexec_b32 s7, s6
	s_cbranch_execz .LBB56_51
; %bb.47:
	v_cmp_ne_u32_e32 vcc_lo, 1, v21
	s_cbranch_vccnz .LBB56_49
; %bb.48:
	v_dual_mov_b32 v43, 0 :: v_dual_bitop2_b32 v42, 2, v34 bitop3:0x54
	s_delay_alu instid0(VALU_DEP_1) | instskip(NEXT) | instid1(VALU_DEP_1)
	v_mul_u64_e32 v[44:45], s[10:11], v[42:43]
	v_add_nc_u32_e32 v10, v42, v45
	s_delay_alu instid0(VALU_DEP_1) | instskip(NEXT) | instid1(VALU_DEP_1)
	v_lshrrev_b32_e32 v10, s21, v10
	v_mul_lo_u32 v10, v10, s22
	s_delay_alu instid0(VALU_DEP_1) | instskip(NEXT) | instid1(VALU_DEP_1)
	v_sub_nc_u32_e32 v10, v42, v10
	v_mad_u32 v10, v10, s31, v15
	global_load_u16 v10, v10, s[36:37] scale_offset
	s_wait_loadcnt 0x0
	v_cvt_f32_f16_e32 v10, v10
	s_delay_alu instid0(VALU_DEP_1)
	v_mul_f32_e32 v10, v58, v10
	s_branch .LBB56_50
.LBB56_49:
	v_mov_b32_e32 v10, 0
.LBB56_50:
	v_max_num_f32_e32 v17, v18, v18
	s_delay_alu instid0(VALU_DEP_2) | instskip(NEXT) | instid1(VALU_DEP_1)
	v_add_f32_e32 v12, v12, v10
	v_add_f32_e32 v10, 0x40051340, v12
	s_delay_alu instid0(VALU_DEP_1)
	v_max_num_f32_e32 v18, v17, v10
.LBB56_51:
	s_or_b32 exec_lo, exec_lo, s7
	ds_bpermute_b32 v10, v16, v18
	v_max_num_f32_e32 v17, v18, v18
	s_wait_dscnt 0x0
	v_max_num_f32_e32 v10, v10, v10
	s_delay_alu instid0(VALU_DEP_1) | instskip(SKIP_3) | instid1(VALU_DEP_1)
	v_max_num_f32_e32 v10, v17, v10
	ds_bpermute_b32 v17, v36, v10
	s_wait_dscnt 0x0
	v_max_num_f32_e32 v17, v17, v17
	v_max_num_f32_e32 v10, v10, v17
	ds_bpermute_b32 v17, v39, v10
	s_wait_dscnt 0x0
	v_max_num_f32_e32 v17, v17, v17
	s_delay_alu instid0(VALU_DEP_1) | instskip(SKIP_3) | instid1(VALU_DEP_1)
	v_max_num_f32_e32 v10, v10, v17
	ds_bpermute_b32 v17, v40, v10
	s_wait_dscnt 0x0
	v_max_num_f32_e32 v17, v17, v17
	v_max_num_f32_e32 v10, v10, v17
	ds_bpermute_b32 v17, v41, v10
	s_wait_dscnt 0x0
	v_max_num_f32_e32 v17, v17, v17
	s_delay_alu instid0(VALU_DEP_1)
	v_max_num_f32_e32 v10, v10, v17
	s_and_saveexec_b32 s7, s6
	s_cbranch_execz .LBB56_56
; %bb.52:
	v_cmp_ne_u32_e32 vcc_lo, 1, v21
	s_cbranch_vccnz .LBB56_54
; %bb.53:
	v_dual_mov_b32 v43, 0 :: v_dual_bitop2_b32 v42, 3, v34 bitop3:0x54
	s_delay_alu instid0(VALU_DEP_1) | instskip(NEXT) | instid1(VALU_DEP_1)
	v_mul_u64_e32 v[44:45], s[10:11], v[42:43]
	v_add_nc_u32_e32 v17, v42, v45
	s_delay_alu instid0(VALU_DEP_1) | instskip(NEXT) | instid1(VALU_DEP_1)
	v_lshrrev_b32_e32 v17, s21, v17
	v_mul_lo_u32 v17, v17, s22
	s_delay_alu instid0(VALU_DEP_1) | instskip(NEXT) | instid1(VALU_DEP_1)
	v_sub_nc_u32_e32 v17, v42, v17
	v_mad_u32 v15, v17, s31, v15
	global_load_u16 v15, v15, s[36:37] scale_offset
	s_wait_loadcnt 0x0
	v_cvt_f32_f16_e32 v15, v15
	s_delay_alu instid0(VALU_DEP_1)
	v_mul_f32_e32 v15, v58, v15
	s_branch .LBB56_55
.LBB56_54:
	v_mov_b32_e32 v15, 0
.LBB56_55:
	s_delay_alu instid0(VALU_DEP_1) | instskip(SKIP_1) | instid1(VALU_DEP_2)
	v_add_f32_e32 v13, v13, v15
	v_max_num_f32_e32 v17, v19, v19
	v_add_f32_e32 v15, 0x40051340, v13
	s_delay_alu instid0(VALU_DEP_1)
	v_max_num_f32_e32 v19, v17, v15
.LBB56_56:
	s_or_b32 exec_lo, exec_lo, s7
	ds_bpermute_b32 v15, v16, v19
	v_dual_max_num_f32 v16, v19, v19 :: v_dual_sub_f32 v14, v14, v8
	s_wait_dscnt 0x0
	s_barrier_signal -1
	s_barrier_wait -1
	s_delay_alu instid0(VALU_DEP_1) | instskip(SKIP_1) | instid1(VALU_DEP_1)
	v_cmp_ngt_f32_e32 vcc_lo, 0xc2ce8ed0, v14
	v_sub_f32_e32 v12, v12, v10
	v_dual_mul_f32 v18, 0x3fb8aa3b, v14 :: v_dual_mul_f32 v19, 0x3fb8aa3b, v12
	s_delay_alu instid0(VALU_DEP_1) | instskip(SKIP_1) | instid1(VALU_DEP_1)
	v_fma_f32 v21, 0x3fb8aa3b, v14, -v18
	v_max_num_f32_e32 v15, v15, v15
	v_max_num_f32_e32 v15, v16, v15
	ds_bpermute_b32 v16, v36, v15
	v_rndne_f32_e32 v36, v18
	s_delay_alu instid0(VALU_DEP_1) | instskip(SKIP_3) | instid1(VALU_DEP_1)
	v_sub_f32_e32 v18, v18, v36
	v_cvt_i32_f32_e32 v36, v36
	s_wait_dscnt 0x0
	v_max_num_f32_e32 v16, v16, v16
	v_max_num_f32_e32 v15, v15, v16
	ds_bpermute_b32 v16, v39, v15
	s_wait_dscnt 0x0
	v_max_num_f32_e32 v16, v16, v16
	s_delay_alu instid0(VALU_DEP_1) | instskip(SKIP_2) | instid1(VALU_DEP_1)
	v_max_num_f32_e32 v15, v15, v16
	ds_bpermute_b32 v16, v40, v15
	v_fma_f32 v40, 0x3fb8aa3b, v12, -v19
	v_fmac_f32_e32 v40, 0x32a5705f, v12
	s_wait_dscnt 0x0
	v_max_num_f32_e32 v16, v16, v16
	s_delay_alu instid0(VALU_DEP_1) | instskip(SKIP_4) | instid1(VALU_DEP_2)
	v_max_num_f32_e32 v15, v15, v16
	ds_bpermute_b32 v16, v41, v15
	v_sub_f32_e32 v17, v11, v9
	v_rndne_f32_e32 v41, v19
	s_wait_dscnt 0x0
	v_dual_max_num_f32 v11, v16, v16 :: v_dual_mul_f32 v16, 0x3fb8aa3b, v17
	s_delay_alu instid0(VALU_DEP_1) | instskip(NEXT) | instid1(VALU_DEP_2)
	v_max_num_f32_e32 v11, v15, v11
	v_rndne_f32_e32 v39, v16
	v_fmac_f32_e32 v21, 0x32a5705f, v14
	v_fma_f32 v15, 0x3fb8aa3b, v17, -v16
	s_delay_alu instid0(VALU_DEP_4) | instskip(NEXT) | instid1(VALU_DEP_3)
	v_sub_f32_e32 v13, v13, v11
	v_dual_sub_f32 v16, v16, v39 :: v_dual_add_f32 v18, v18, v21
	v_cvt_i32_f32_e32 v39, v39
	s_delay_alu instid0(VALU_DEP_3) | instskip(NEXT) | instid1(VALU_DEP_3)
	v_cmp_ngt_f32_e64 s6, 0xc2ce8ed0, v13
	v_exp_f32_e32 v18, v18
	v_nop
	s_delay_alu instid0(TRANS32_DEP_1) | instskip(NEXT) | instid1(VALU_DEP_1)
	v_ldexp_f32 v18, v18, v36
	v_dual_sub_f32 v19, v19, v41 :: v_dual_cndmask_b32 v18, 0, v18
	v_fmac_f32_e32 v15, 0x32a5705f, v17
	v_mul_f32_e32 v42, 0x3fb8aa3b, v13
	v_cmp_ngt_f32_e32 vcc_lo, 0xc2ce8ed0, v17
	s_delay_alu instid0(VALU_DEP_3) | instskip(SKIP_1) | instid1(VALU_DEP_4)
	v_dual_add_f32 v15, v16, v15 :: v_dual_add_f32 v16, v19, v40
	v_cvt_i32_f32_e32 v40, v41
	v_fma_f32 v21, 0x3fb8aa3b, v13, -v42
	v_rndne_f32_e32 v43, v42
	s_delay_alu instid0(VALU_DEP_4) | instskip(SKIP_1) | instid1(TRANS32_DEP_2)
	v_exp_f32_e32 v15, v15
	v_exp_f32_e32 v16, v16
	v_ldexp_f32 v15, v15, v39
	s_delay_alu instid0(TRANS32_DEP_1) | instskip(NEXT) | instid1(VALU_DEP_2)
	v_ldexp_f32 v16, v16, v40
	v_cndmask_b32_e32 v15, 0, v15, vcc_lo
	v_cmp_ngt_f32_e32 vcc_lo, 0xc2ce8ed0, v12
	s_delay_alu instid0(VALU_DEP_3) | instskip(SKIP_2) | instid1(VALU_DEP_1)
	v_dual_fmac_f32 v21, 0x32a5705f, v13 :: v_dual_cndmask_b32 v16, 0, v16
	v_cmp_nlt_f32_e32 vcc_lo, 0x42b17218, v14
	v_dual_sub_f32 v19, v42, v43 :: v_dual_cndmask_b32 v14, 0x7f800000, v18
	v_add_f32_e32 v19, v19, v21
	v_cvt_i32_f32_e32 v21, v43
	v_cmp_gt_u32_e32 vcc_lo, s15, v48
	s_ashr_i32 s15, s14, 31
	s_delay_alu instid0(VALU_DEP_3) | instskip(SKIP_1) | instid1(TRANS32_DEP_1)
	v_exp_f32_e32 v19, v19
	v_nop
	v_ldexp_f32 v19, v19, v21
	s_delay_alu instid0(VALU_DEP_1) | instskip(SKIP_1) | instid1(VALU_DEP_1)
	v_cndmask_b32_e64 v18, 0, v19, s6
	v_cmp_nlt_f32_e64 s6, 0x42b17218, v17
	v_cndmask_b32_e64 v15, 0x7f800000, v15, s6
	v_cmp_nlt_f32_e64 s6, 0x42b17218, v12
	v_cndmask_b32_e32 v12, 0, v14, vcc_lo
	s_delay_alu instid0(VALU_DEP_2) | instskip(SKIP_1) | instid1(VALU_DEP_2)
	v_cndmask_b32_e64 v16, 0x7f800000, v16, s6
	v_cmp_nlt_f32_e64 s6, 0x42b17218, v13
	v_cndmask_b32_e32 v14, 0, v16, vcc_lo
	s_delay_alu instid0(VALU_DEP_2)
	v_cndmask_b32_e64 v17, 0x7f800000, v18, s6
	v_cndmask_b32_e32 v13, 0, v15, vcc_lo
	s_mul_u64 s[6:7], s[24:25], s[14:15]
	v_add_nc_u32_e32 v18, v54, v52
	s_lshl_b64 s[6:7], s[6:7], 2
	v_cndmask_b32_e32 v15, 0, v17, vcc_lo
	v_cvt_pk_f16_f32 v16, v12, v13
	s_add_nc_u64 s[6:7], s[8:9], s[6:7]
	s_delay_alu instid0(VALU_DEP_2)
	v_cvt_pk_f16_f32 v17, v14, v15
	ds_store_b64 v18, v[16:17]
	s_and_saveexec_b32 s8, s5
	s_cbranch_execz .LBB56_58
; %bb.57:
	v_mul_lo_u32 v16, s14, v59
	v_mbcnt_lo_u32_b32 v19, -1, 0
	v_mul_u32_u24_e32 v21, 0x90, v59
	s_delay_alu instid0(VALU_DEP_2) | instskip(NEXT) | instid1(VALU_DEP_4)
	v_dual_mov_b32 v18, 0 :: v_dual_lshlrev_b32 v19, 20, v19
	v_ashrrev_i32_e32 v17, 31, v16
	s_delay_alu instid0(VALU_DEP_1) | instskip(NEXT) | instid1(VALU_DEP_1)
	v_lshl_add_u64 v[16:17], v[16:17], 2, s[6:7]
	v_add_nc_u64_e32 v[42:43], 0x80, v[16:17]
	v_mov_b32_e32 v16, 0
	v_add_nc_u64_e32 v[40:41], src_flat_scratch_base_lo, v[18:19]
	s_delay_alu instid0(VALU_DEP_2)
	v_dual_mov_b32 v17, v16 :: v_dual_mov_b32 v18, v16
	s_clause 0x1
	scratch_store_b32 off, v16, off
	scratch_store_b96 off, v[16:18], off offset:4
	v_dual_cndmask_b32 v41, v41, v43, s4 :: v_dual_cndmask_b32 v40, v40, v42, s4
	flat_load_b128 v[16:19], v[40:41]
	s_wait_loadcnt_dscnt 0x0
	ds_store_b128 v21, v[16:19] offset:128
.LBB56_58:
	s_wait_xcnt 0x0
	s_or_b32 exec_lo, exec_lo, s8
	v_mul_lo_u32 v16, s14, v22
	v_mbcnt_lo_u32_b32 v19, -1, 0
	v_mov_b32_e32 v18, 0
	v_mad_u32_u24 v36, 0x90, v22, v20
	v_dual_sub_f32 v4, v4, v8 :: v_dual_sub_f32 v5, v5, v9
	s_delay_alu instid0(VALU_DEP_4) | instskip(SKIP_1) | instid1(VALU_DEP_3)
	v_dual_sub_f32 v6, v6, v10 :: v_dual_lshlrev_b32 v19, 20, v19
	v_sub_f32_e32 v7, v7, v11
	v_cmp_ngt_f32_e32 vcc_lo, 0xc2ce8ed0, v4
	v_dual_mov_b32 v21, 0 :: v_dual_ashrrev_i32 v17, 31, v16
	s_delay_alu instid0(VALU_DEP_4) | instskip(NEXT) | instid1(VALU_DEP_2)
	v_add_nc_u64_e32 v[18:19], src_flat_scratch_base_lo, v[18:19]
	v_dual_mul_f32 v39, 0x3fb8aa3b, v6 :: v_dual_mov_b32 v22, v21
	s_delay_alu instid0(VALU_DEP_3) | instskip(NEXT) | instid1(VALU_DEP_2)
	v_lshl_add_u64 v[16:17], v[16:17], 2, s[6:7]
	v_fma_f32 v45, 0x3fb8aa3b, v6, -v39
	v_rndne_f32_e32 v46, v39
	s_delay_alu instid0(VALU_DEP_3)
	v_add_nc_u64_e32 v[16:17], v[16:17], v[20:21]
	v_mov_b32_e32 v20, v21
	s_clause 0x1
	scratch_store_b32 off, v21, off
	scratch_store_b96 off, v[20:22], off offset:4
	v_dual_cndmask_b32 v17, v19, v17, s3 :: v_dual_cndmask_b32 v16, v18, v16, s3
	s_wait_xcnt 0x0
	v_mul_f32_e32 v20, 0x3fb8aa3b, v4
	v_dual_mul_f32 v22, 0x3fb8aa3b, v5 :: v_dual_sub_f32 v39, v39, v46
	flat_load_b128 v[16:19], v[16:17]
	v_rndne_f32_e32 v42, v20
	v_add_nc_u32_e32 v21, 0x400, v52
	v_fma_f32 v41, 0x3fb8aa3b, v4, -v20
	v_fma_f32 v43, 0x3fb8aa3b, v5, -v22
	v_rndne_f32_e32 v44, v22
	v_sub_f32_e32 v20, v20, v42
	v_fmac_f32_e32 v45, 0x32a5705f, v6
	v_mul_f32_e32 v40, 0x3fb8aa3b, v7
	v_cvt_i32_f32_e32 v42, v42
	v_dual_fmac_f32 v43, 0x32a5705f, v5 :: v_dual_sub_f32 v22, v22, v44
	s_delay_alu instid0(VALU_DEP_4) | instskip(NEXT) | instid1(VALU_DEP_4)
	v_add_f32_e32 v39, v39, v45
	v_rndne_f32_e32 v58, v40
	v_fmac_f32_e32 v41, 0x32a5705f, v4
	v_fma_f32 v47, 0x3fb8aa3b, v7, -v40
	s_delay_alu instid0(VALU_DEP_4) | instskip(NEXT) | instid1(VALU_DEP_3)
	v_exp_f32_e32 v39, v39
	v_sub_f32_e32 v40, v40, v58
	s_delay_alu instid0(VALU_DEP_3) | instskip(SKIP_2) | instid1(VALU_DEP_3)
	v_add_f32_e32 v20, v20, v41
	v_cvt_i32_f32_e32 v41, v44
	v_cvt_i32_f32_e32 v44, v58
	v_exp_f32_e32 v20, v20
	v_nop
	s_delay_alu instid0(TRANS32_DEP_1) | instskip(NEXT) | instid1(VALU_DEP_1)
	v_ldexp_f32 v20, v20, v42
	v_dual_fmac_f32 v47, 0x32a5705f, v7 :: v_dual_cndmask_b32 v20, 0, v20
	v_cmp_ngt_f32_e32 vcc_lo, 0xc2ce8ed0, v5
	s_delay_alu instid0(VALU_DEP_2) | instskip(NEXT) | instid1(VALU_DEP_1)
	v_add_f32_e32 v40, v40, v47
	v_exp_f32_e32 v40, v40
	v_nop
	s_delay_alu instid0(TRANS32_DEP_1) | instskip(SKIP_2) | instid1(VALU_DEP_2)
	v_ldexp_f32 v40, v40, v44
	v_add_f32_e32 v22, v22, v43
	v_cvt_i32_f32_e32 v43, v46
	v_exp_f32_e32 v22, v22
	s_delay_alu instid0(VALU_DEP_1) | instskip(NEXT) | instid1(TRANS32_DEP_1)
	v_ldexp_f32 v39, v39, v43
	v_ldexp_f32 v22, v22, v41
	s_delay_alu instid0(VALU_DEP_1) | instskip(SKIP_1) | instid1(VALU_DEP_4)
	v_cndmask_b32_e32 v22, 0, v22, vcc_lo
	v_cmp_ngt_f32_e32 vcc_lo, 0xc2ce8ed0, v6
	v_dual_cndmask_b32 v39, 0, v39 :: v_dual_add_nc_u32 v130, 0x800, v52
	v_cmp_ngt_f32_e32 vcc_lo, 0xc2ce8ed0, v7
	v_cndmask_b32_e32 v40, 0, v40, vcc_lo
	v_cmp_nlt_f32_e32 vcc_lo, 0x42b17218, v4
	v_cndmask_b32_e32 v4, 0x7f800000, v20, vcc_lo
	v_cmp_nlt_f32_e32 vcc_lo, 0x42b17218, v5
	;; [unrolled: 2-line block ×3, first 2 shown]
	s_delay_alu instid0(VALU_DEP_2)
	v_dual_fmac_f32 v13, v1, v5 :: v_dual_cndmask_b32 v6, 0x7f800000, v39
	v_cmp_nlt_f32_e32 vcc_lo, 0x42b17218, v7
	v_fmac_f32_e32 v12, v0, v4
	v_cvt_f16_f32_e32 v0, v4
	v_cvt_f16_f32_e32 v4, v5
	;; [unrolled: 1-line block ×3, first 2 shown]
	v_dual_cndmask_b32 v7, 0x7f800000, v40 :: v_dual_fmac_f32 v14, v2, v6
	s_delay_alu instid0(VALU_DEP_4) | instskip(NEXT) | instid1(VALU_DEP_4)
	v_and_b32_e32 v0, 0xffff, v0
	v_and_b32_e32 v1, 0xffff, v4
	s_delay_alu instid0(VALU_DEP_4) | instskip(NEXT) | instid1(VALU_DEP_4)
	v_and_b32_e32 v4, 0xffff, v20
	v_cvt_f16_f32_e32 v22, v7
	v_fmac_f32_e32 v15, v3, v7
	v_mul_u32_u24_e32 v39, 0x10001, v0
	v_mul_u32_u24_e32 v131, 0x10001, v1
	;; [unrolled: 1-line block ×3, first 2 shown]
	v_and_b32_e32 v5, 0xffff, v22
	s_delay_alu instid0(VALU_DEP_4) | instskip(NEXT) | instid1(VALU_DEP_4)
	v_pk_mul_f16 v133, v27, v39
	v_pk_mul_f16 v134, v26, v131
	s_delay_alu instid0(VALU_DEP_4) | instskip(NEXT) | instid1(VALU_DEP_4)
	v_pk_mul_f16 v135, v25, v132
	v_mul_u32_u24_e32 v0, 0x10001, v5
	s_delay_alu instid0(VALU_DEP_1)
	v_pk_mul_f16 v136, v23, v0
	v_pk_mul_f16 v137, v24, v0
	s_wait_loadcnt_dscnt 0x0
	ds_store_b128 v36, v[16:19]
	s_wait_storecnt_dscnt 0x0
	s_barrier_signal -1
	s_barrier_wait -1
	ds_load_b128 v[24:27], v54
	ds_load_b128 v[40:43], v54 offset:16
	ds_load_2addr_b64 v[44:47], v52 offset1:18
	ds_load_b128 v[58:61], v54 offset:32
	ds_load_b128 v[62:65], v54 offset:48
	;; [unrolled: 1-line block ×8, first 2 shown]
	ds_load_2addr_b64 v[90:93], v52 offset0:36 offset1:54
	ds_load_2addr_b64 v[94:97], v52 offset0:72 offset1:90
	;; [unrolled: 1-line block ×4, first 2 shown]
	ds_load_b128 v[106:109], v54 offset:160
	ds_load_b128 v[0:3], v54 offset:176
	ds_load_2addr_b64 v[110:113], v52 offset0:180 offset1:198
	ds_load_2addr_b64 v[114:117], v52 offset0:216 offset1:234
	;; [unrolled: 1-line block ×7, first 2 shown]
	s_wait_xcnt 0x0
	ds_load_b128 v[16:19], v54 offset:192
	s_wait_dscnt 0x18
	v_dual_lshrrev_b32 v36, 16, v24 :: v_dual_lshrrev_b32 v138, 16, v25
	v_lshrrev_b32_e32 v140, 16, v27
	v_and_b32_e32 v24, 0xffff, v24
	v_and_b32_e32 v25, 0xffff, v25
	s_delay_alu instid0(VALU_DEP_4)
	v_mul_u32_u24_e32 v36, 0x10001, v36
	v_lshrrev_b32_e32 v139, 16, v26
	v_and_b32_e32 v26, 0xffff, v26
	v_mul_u32_u24_e32 v24, 0x10001, v24
	v_mul_u32_u24_e32 v25, 0x10001, v25
	v_and_b32_e32 v27, 0xffff, v27
	v_mul_u32_u24_e32 v138, 0x10001, v138
	s_wait_dscnt 0x17
	v_dual_lshrrev_b32 v141, 16, v40 :: v_dual_lshrrev_b32 v142, 16, v41
	s_wait_dscnt 0x16
	v_pk_mul_f16 v185, v44, v24
	v_pk_fma_f16 v24, v45, v24, v133
	v_pk_mul_f16 v133, v44, v36
	v_pk_fma_f16 v36, v45, v36, v134
	v_pk_mul_f16 v134, v44, v25
	v_and_b32_e32 v40, 0xffff, v40
	v_and_b32_e32 v41, 0xffff, v41
	v_mul_u32_u24_e32 v140, 0x10001, v140
	v_mul_u32_u24_e32 v26, 0x10001, v26
	;; [unrolled: 1-line block ×4, first 2 shown]
	v_pk_fma_f16 v44, v44, v138, v136
	v_pk_fma_f16 v136, v45, v138, v137
	;; [unrolled: 1-line block ×6, first 2 shown]
	v_dual_lshrrev_b32 v143, 16, v42 :: v_dual_lshrrev_b32 v144, 16, v43
	v_and_b32_e32 v42, 0xffff, v42
	v_and_b32_e32 v43, 0xffff, v43
	v_mul_u32_u24_e32 v40, 0x10001, v40
	v_mul_u32_u24_e32 v142, 0x10001, v142
	;; [unrolled: 1-line block ×4, first 2 shown]
	v_pk_fma_f16 v44, v46, v140, v44
	v_pk_fma_f16 v56, v47, v140, v136
	;; [unrolled: 1-line block ×8, first 2 shown]
	s_wait_dscnt 0x15
	v_dual_lshrrev_b32 v145, 16, v58 :: v_dual_lshrrev_b32 v146, 16, v59
	v_and_b32_e32 v58, 0xffff, v58
	v_and_b32_e32 v59, 0xffff, v59
	v_mul_u32_u24_e32 v42, 0x10001, v42
	v_mul_u32_u24_e32 v144, 0x10001, v144
	v_mul_u32_u24_e32 v143, 0x10001, v143
	v_mul_u32_u24_e32 v43, 0x10001, v43
	s_wait_dscnt 0xd
	v_pk_fma_f16 v44, v90, v142, v44
	v_pk_fma_f16 v24, v91, v40, v24
	v_pk_fma_f16 v36, v91, v141, v36
	v_pk_fma_f16 v45, v91, v142, v56
	v_pk_fma_f16 v25, v91, v41, v25
	v_pk_fma_f16 v26, v90, v40, v26
	v_pk_fma_f16 v39, v90, v141, v39
	v_pk_fma_f16 v27, v90, v41, v27
	v_dual_lshrrev_b32 v147, 16, v60 :: v_dual_lshrrev_b32 v148, 16, v61
	v_and_b32_e32 v60, 0xffff, v60
	v_and_b32_e32 v61, 0xffff, v61
	v_mul_u32_u24_e32 v146, 0x10001, v146
	v_mul_u32_u24_e32 v58, 0x10001, v58
	v_mul_u32_u24_e32 v145, 0x10001, v145
	v_mul_u32_u24_e32 v59, 0x10001, v59
	v_pk_fma_f16 v40, v92, v144, v44
	v_pk_fma_f16 v24, v93, v42, v24
	v_pk_fma_f16 v36, v93, v143, v36
	v_pk_fma_f16 v41, v93, v144, v45
	v_pk_fma_f16 v25, v93, v43, v25
	v_pk_fma_f16 v26, v92, v42, v26
	v_pk_fma_f16 v39, v92, v143, v39
	v_pk_fma_f16 v27, v92, v43, v27
	v_dual_lshrrev_b32 v149, 16, v62 :: v_dual_lshrrev_b32 v150, 16, v63
	v_and_b32_e32 v62, 0xffff, v62
	v_and_b32_e32 v63, 0xffff, v63
	v_mul_u32_u24_e32 v60, 0x10001, v60
	v_mul_u32_u24_e32 v148, 0x10001, v148
	v_mul_u32_u24_e32 v147, 0x10001, v147
	v_mul_u32_u24_e32 v61, 0x10001, v61
	s_wait_dscnt 0xc
	v_pk_fma_f16 v40, v94, v146, v40
	v_pk_fma_f16 v24, v95, v58, v24
	v_pk_fma_f16 v41, v95, v146, v41
	v_pk_fma_f16 v36, v95, v145, v36
	v_pk_fma_f16 v25, v95, v59, v25
	v_pk_fma_f16 v26, v94, v58, v26
	v_pk_fma_f16 v39, v94, v145, v39
	v_pk_fma_f16 v27, v94, v59, v27
	v_dual_lshrrev_b32 v151, 16, v64 :: v_dual_lshrrev_b32 v152, 16, v65
	v_and_b32_e32 v64, 0xffff, v64
	v_and_b32_e32 v65, 0xffff, v65
	v_mul_u32_u24_e32 v62, 0x10001, v62
	v_mul_u32_u24_e32 v150, 0x10001, v150
	v_mul_u32_u24_e32 v149, 0x10001, v149
	v_mul_u32_u24_e32 v63, 0x10001, v63
	v_pk_fma_f16 v40, v96, v148, v40
	v_pk_fma_f16 v24, v97, v60, v24
	v_pk_fma_f16 v41, v97, v148, v41
	v_pk_fma_f16 v36, v97, v147, v36
	v_pk_fma_f16 v25, v97, v61, v25
	v_pk_fma_f16 v26, v96, v60, v26
	v_pk_fma_f16 v39, v96, v147, v39
	v_pk_fma_f16 v27, v96, v61, v27
	v_dual_lshrrev_b32 v153, 16, v66 :: v_dual_lshrrev_b32 v154, 16, v67
	v_and_b32_e32 v66, 0xffff, v66
	v_and_b32_e32 v67, 0xffff, v67
	v_mul_u32_u24_e32 v152, 0x10001, v152
	v_mul_u32_u24_e32 v64, 0x10001, v64
	v_mul_u32_u24_e32 v151, 0x10001, v151
	v_mul_u32_u24_e32 v65, 0x10001, v65
	s_wait_dscnt 0xb
	v_pk_fma_f16 v40, v98, v150, v40
	v_pk_fma_f16 v24, v99, v62, v24
	v_pk_fma_f16 v41, v99, v150, v41
	v_pk_fma_f16 v36, v99, v149, v36
	v_pk_fma_f16 v25, v99, v63, v25
	v_pk_fma_f16 v26, v98, v62, v26
	v_pk_fma_f16 v39, v98, v149, v39
	v_pk_fma_f16 v27, v98, v63, v27
	v_dual_lshrrev_b32 v155, 16, v68 :: v_dual_lshrrev_b32 v156, 16, v69
	v_and_b32_e32 v68, 0xffff, v68
	v_and_b32_e32 v69, 0xffff, v69
	v_mul_u32_u24_e32 v154, 0x10001, v154
	v_mul_u32_u24_e32 v66, 0x10001, v66
	v_mul_u32_u24_e32 v153, 0x10001, v153
	v_mul_u32_u24_e32 v67, 0x10001, v67
	v_pk_fma_f16 v40, v100, v152, v40
	v_pk_fma_f16 v41, v101, v152, v41
	v_pk_fma_f16 v24, v101, v64, v24
	v_pk_fma_f16 v36, v101, v151, v36
	v_pk_fma_f16 v25, v101, v65, v25
	v_pk_fma_f16 v26, v100, v64, v26
	v_pk_fma_f16 v39, v100, v151, v39
	v_pk_fma_f16 v27, v100, v65, v27
	v_dual_lshrrev_b32 v157, 16, v70 :: v_dual_lshrrev_b32 v158, 16, v71
	v_and_b32_e32 v70, 0xffff, v70
	v_and_b32_e32 v71, 0xffff, v71
	v_mul_u32_u24_e32 v156, 0x10001, v156
	v_mul_u32_u24_e32 v68, 0x10001, v68
	v_mul_u32_u24_e32 v155, 0x10001, v155
	v_mul_u32_u24_e32 v69, 0x10001, v69
	s_wait_dscnt 0xa
	v_pk_fma_f16 v40, v102, v154, v40
	v_pk_fma_f16 v41, v103, v154, v41
	v_pk_fma_f16 v24, v103, v66, v24
	v_pk_fma_f16 v36, v103, v153, v36
	v_pk_fma_f16 v25, v103, v67, v25
	v_pk_fma_f16 v26, v102, v66, v26
	v_pk_fma_f16 v39, v102, v153, v39
	v_pk_fma_f16 v27, v102, v67, v27
	v_dual_lshrrev_b32 v159, 16, v72 :: v_dual_lshrrev_b32 v160, 16, v73
	v_and_b32_e32 v72, 0xffff, v72
	v_and_b32_e32 v73, 0xffff, v73
	v_mul_u32_u24_e32 v70, 0x10001, v70
	v_mul_u32_u24_e32 v157, 0x10001, v157
	v_mul_u32_u24_e32 v71, 0x10001, v71
	v_mul_u32_u24_e32 v158, 0x10001, v158
	v_pk_fma_f16 v40, v104, v156, v40
	v_pk_fma_f16 v41, v105, v156, v41
	v_pk_fma_f16 v24, v105, v68, v24
	v_pk_fma_f16 v36, v105, v155, v36
	v_pk_fma_f16 v25, v105, v69, v25
	v_pk_fma_f16 v26, v104, v68, v26
	v_pk_fma_f16 v39, v104, v155, v39
	v_pk_fma_f16 v27, v104, v69, v27
	v_dual_lshrrev_b32 v161, 16, v74 :: v_dual_lshrrev_b32 v162, 16, v75
	v_and_b32_e32 v74, 0xffff, v74
	v_and_b32_e32 v75, 0xffff, v75
	v_mul_u32_u24_e32 v72, 0x10001, v72
	v_mul_u32_u24_e32 v159, 0x10001, v159
	v_mul_u32_u24_e32 v73, 0x10001, v73
	v_mul_u32_u24_e32 v160, 0x10001, v160
	s_wait_dscnt 0x7
	v_pk_fma_f16 v40, v110, v158, v40
	v_pk_fma_f16 v24, v111, v70, v24
	v_pk_fma_f16 v36, v111, v157, v36
	v_pk_fma_f16 v25, v111, v71, v25
	v_pk_fma_f16 v41, v111, v158, v41
	v_pk_fma_f16 v26, v110, v70, v26
	v_pk_fma_f16 v39, v110, v157, v39
	v_pk_fma_f16 v27, v110, v71, v27
	v_dual_lshrrev_b32 v163, 16, v76 :: v_dual_lshrrev_b32 v164, 16, v77
	v_and_b32_e32 v76, 0xffff, v76
	v_and_b32_e32 v77, 0xffff, v77
	v_mul_u32_u24_e32 v74, 0x10001, v74
	v_mul_u32_u24_e32 v161, 0x10001, v161
	v_mul_u32_u24_e32 v75, 0x10001, v75
	v_mul_u32_u24_e32 v162, 0x10001, v162
	v_pk_fma_f16 v40, v112, v160, v40
	v_pk_fma_f16 v24, v113, v72, v24
	v_pk_fma_f16 v36, v113, v159, v36
	v_pk_fma_f16 v25, v113, v73, v25
	v_pk_fma_f16 v41, v113, v160, v41
	v_pk_fma_f16 v26, v112, v72, v26
	v_pk_fma_f16 v39, v112, v159, v39
	v_pk_fma_f16 v27, v112, v73, v27
	v_dual_lshrrev_b32 v165, 16, v78 :: v_dual_lshrrev_b32 v166, 16, v79
	v_and_b32_e32 v78, 0xffff, v78
	v_and_b32_e32 v79, 0xffff, v79
	v_mul_u32_u24_e32 v76, 0x10001, v76
	v_mul_u32_u24_e32 v163, 0x10001, v163
	v_mul_u32_u24_e32 v77, 0x10001, v77
	v_mul_u32_u24_e32 v164, 0x10001, v164
	s_wait_dscnt 0x6
	v_pk_fma_f16 v40, v114, v162, v40
	v_pk_fma_f16 v24, v115, v74, v24
	v_pk_fma_f16 v36, v115, v161, v36
	v_pk_fma_f16 v25, v115, v75, v25
	v_pk_fma_f16 v41, v115, v162, v41
	v_pk_fma_f16 v26, v114, v74, v26
	v_pk_fma_f16 v39, v114, v161, v39
	v_pk_fma_f16 v27, v114, v75, v27
	v_dual_lshrrev_b32 v167, 16, v80 :: v_dual_lshrrev_b32 v168, 16, v81
	v_and_b32_e32 v80, 0xffff, v80
	v_and_b32_e32 v81, 0xffff, v81
	v_mul_u32_u24_e32 v78, 0x10001, v78
	v_mul_u32_u24_e32 v165, 0x10001, v165
	v_mul_u32_u24_e32 v79, 0x10001, v79
	v_mul_u32_u24_e32 v166, 0x10001, v166
	v_pk_fma_f16 v40, v116, v164, v40
	v_pk_fma_f16 v24, v117, v76, v24
	v_pk_fma_f16 v36, v117, v163, v36
	v_pk_fma_f16 v25, v117, v77, v25
	v_pk_fma_f16 v41, v117, v164, v41
	v_pk_fma_f16 v26, v116, v76, v26
	v_pk_fma_f16 v39, v116, v163, v39
	v_pk_fma_f16 v27, v116, v77, v27
	v_dual_lshrrev_b32 v169, 16, v82 :: v_dual_lshrrev_b32 v170, 16, v83
	v_and_b32_e32 v82, 0xffff, v82
	v_and_b32_e32 v83, 0xffff, v83
	v_mul_u32_u24_e32 v80, 0x10001, v80
	v_mul_u32_u24_e32 v167, 0x10001, v167
	v_mul_u32_u24_e32 v81, 0x10001, v81
	v_mul_u32_u24_e32 v168, 0x10001, v168
	s_wait_dscnt 0x5
	v_pk_fma_f16 v40, v118, v166, v40
	v_pk_fma_f16 v24, v119, v78, v24
	v_pk_fma_f16 v36, v119, v165, v36
	v_pk_fma_f16 v25, v119, v79, v25
	v_pk_fma_f16 v41, v119, v166, v41
	v_pk_fma_f16 v26, v118, v78, v26
	v_pk_fma_f16 v39, v118, v165, v39
	v_pk_fma_f16 v27, v118, v79, v27
	v_dual_lshrrev_b32 v171, 16, v84 :: v_dual_lshrrev_b32 v172, 16, v85
	v_and_b32_e32 v84, 0xffff, v84
	v_and_b32_e32 v85, 0xffff, v85
	v_mul_u32_u24_e32 v82, 0x10001, v82
	v_mul_u32_u24_e32 v169, 0x10001, v169
	v_mul_u32_u24_e32 v83, 0x10001, v83
	v_mul_u32_u24_e32 v170, 0x10001, v170
	v_pk_fma_f16 v40, v120, v168, v40
	v_pk_fma_f16 v24, v121, v80, v24
	v_pk_fma_f16 v36, v121, v167, v36
	v_pk_fma_f16 v25, v121, v81, v25
	v_pk_fma_f16 v41, v121, v168, v41
	v_pk_fma_f16 v26, v120, v80, v26
	v_pk_fma_f16 v39, v120, v167, v39
	v_pk_fma_f16 v27, v120, v81, v27
	v_dual_lshrrev_b32 v173, 16, v86 :: v_dual_lshrrev_b32 v174, 16, v87
	v_and_b32_e32 v86, 0xffff, v86
	v_and_b32_e32 v87, 0xffff, v87
	v_mul_u32_u24_e32 v84, 0x10001, v84
	v_mul_u32_u24_e32 v171, 0x10001, v171
	v_mul_u32_u24_e32 v85, 0x10001, v85
	v_mul_u32_u24_e32 v172, 0x10001, v172
	s_wait_dscnt 0x4
	v_pk_fma_f16 v40, v122, v170, v40
	v_pk_fma_f16 v24, v123, v82, v24
	v_pk_fma_f16 v36, v123, v169, v36
	v_pk_fma_f16 v25, v123, v83, v25
	v_pk_fma_f16 v41, v123, v170, v41
	v_pk_fma_f16 v26, v122, v82, v26
	v_pk_fma_f16 v39, v122, v169, v39
	v_pk_fma_f16 v27, v122, v83, v27
	v_dual_lshrrev_b32 v175, 16, v88 :: v_dual_lshrrev_b32 v176, 16, v89
	v_and_b32_e32 v88, 0xffff, v88
	v_and_b32_e32 v89, 0xffff, v89
	v_mul_u32_u24_e32 v86, 0x10001, v86
	v_mul_u32_u24_e32 v173, 0x10001, v173
	v_mul_u32_u24_e32 v87, 0x10001, v87
	v_mul_u32_u24_e32 v174, 0x10001, v174
	v_pk_fma_f16 v40, v124, v172, v40
	v_pk_fma_f16 v24, v125, v84, v24
	v_pk_fma_f16 v36, v125, v171, v36
	v_pk_fma_f16 v25, v125, v85, v25
	v_pk_fma_f16 v41, v125, v172, v41
	v_pk_fma_f16 v26, v124, v84, v26
	v_pk_fma_f16 v39, v124, v171, v39
	v_pk_fma_f16 v27, v124, v85, v27
	v_dual_lshrrev_b32 v177, 16, v106 :: v_dual_lshrrev_b32 v178, 16, v107
	v_and_b32_e32 v106, 0xffff, v106
	v_and_b32_e32 v107, 0xffff, v107
	v_mul_u32_u24_e32 v88, 0x10001, v88
	v_mul_u32_u24_e32 v175, 0x10001, v175
	v_mul_u32_u24_e32 v89, 0x10001, v89
	v_mul_u32_u24_e32 v176, 0x10001, v176
	s_wait_dscnt 0x3
	v_pk_fma_f16 v40, v126, v174, v40
	v_pk_fma_f16 v24, v127, v86, v24
	v_pk_fma_f16 v36, v127, v173, v36
	v_pk_fma_f16 v25, v127, v87, v25
	v_pk_fma_f16 v41, v127, v174, v41
	v_pk_fma_f16 v26, v126, v86, v26
	v_pk_fma_f16 v39, v126, v173, v39
	v_pk_fma_f16 v27, v126, v87, v27
	v_dual_lshrrev_b32 v179, 16, v108 :: v_dual_lshrrev_b32 v180, 16, v109
	v_and_b32_e32 v108, 0xffff, v108
	v_and_b32_e32 v109, 0xffff, v109
	v_mul_u32_u24_e32 v106, 0x10001, v106
	v_mul_u32_u24_e32 v177, 0x10001, v177
	v_mul_u32_u24_e32 v107, 0x10001, v107
	v_mul_u32_u24_e32 v178, 0x10001, v178
	v_pk_fma_f16 v40, v128, v176, v40
	v_pk_fma_f16 v24, v129, v88, v24
	v_pk_fma_f16 v36, v129, v175, v36
	v_pk_fma_f16 v25, v129, v89, v25
	v_pk_fma_f16 v41, v129, v176, v41
	v_pk_fma_f16 v26, v128, v88, v26
	v_pk_fma_f16 v39, v128, v175, v39
	v_pk_fma_f16 v27, v128, v89, v27
	v_dual_lshrrev_b32 v181, 16, v0 :: v_dual_lshrrev_b32 v182, 16, v1
	v_and_b32_e32 v0, 0xffff, v0
	v_and_b32_e32 v1, 0xffff, v1
	v_mul_u32_u24_e32 v108, 0x10001, v108
	v_mul_u32_u24_e32 v179, 0x10001, v179
	;; [unrolled: 1-line block ×4, first 2 shown]
	s_wait_dscnt 0x2
	v_pk_fma_f16 v40, v20, v178, v40
	v_pk_fma_f16 v24, v21, v106, v24
	;; [unrolled: 1-line block ×8, first 2 shown]
	v_lshrrev_b32_e32 v183, 16, v2
	v_and_b32_e32 v2, 0xffff, v2
	v_mul_u32_u24_e32 v0, 0x10001, v0
	v_mul_u32_u24_e32 v181, 0x10001, v181
	;; [unrolled: 1-line block ×4, first 2 shown]
	v_pk_fma_f16 v27, v22, v180, v40
	v_pk_fma_f16 v24, v23, v108, v24
	;; [unrolled: 1-line block ×8, first 2 shown]
	v_and_b32_e32 v184, 0xffff, v3
	s_wait_dscnt 0x1
	v_pk_fma_f16 v22, v4, v182, v27
	v_pk_fma_f16 v24, v5, v0, v24
	;; [unrolled: 1-line block ×7, first 2 shown]
	v_lshrrev_b32_e32 v20, 16, v3
	v_mul_u32_u24_e32 v36, 0x10001, v2
	ds_load_2addr_b64 v[0:3], v130 offset0:176 offset1:194
	v_mul_u32_u24_e32 v39, 0x10001, v183
	v_mul_u32_u24_e32 v40, 0x10001, v184
	;; [unrolled: 1-line block ×3, first 2 shown]
	v_pk_fma_f16 v42, v6, v36, v23
	v_pk_fma_f16 v24, v7, v36, v24
	;; [unrolled: 1-line block ×4, first 2 shown]
	s_wait_dscnt 0x1
	v_and_b32_e32 v36, 0xffff, v16
	v_and_b32_e32 v39, 0xffff, v17
	v_pk_fma_f16 v5, v5, v182, v21
	v_pk_fma_f16 v4, v6, v40, v4
	;; [unrolled: 1-line block ×3, first 2 shown]
	ds_load_b128 v[20:23], v54 offset:208
	v_dual_lshrrev_b32 v16, 16, v16 :: v_dual_lshrrev_b32 v17, 16, v17
	v_mul_u32_u24_e32 v36, 0x10001, v36
	v_mul_u32_u24_e32 v39, 0x10001, v39
	v_pk_fma_f16 v25, v7, v40, v25
	s_delay_alu instid0(VALU_DEP_4)
	v_mul_u32_u24_e32 v16, 0x10001, v16
	v_mul_u32_u24_e32 v17, 0x10001, v17
	v_pk_fma_f16 v40, v7, v41, v5
	s_wait_dscnt 0x1
	v_pk_fma_f16 v41, v0, v36, v42
	v_pk_fma_f16 v42, v0, v39, v4
	v_and_b32_e32 v4, 0xffff, v18
	v_lshrrev_b32_e32 v5, 16, v18
	v_pk_fma_f16 v26, v0, v16, v26
	v_pk_fma_f16 v0, v0, v17, v6
	;; [unrolled: 1-line block ×5, first 2 shown]
	v_and_b32_e32 v25, 0xffff, v19
	v_lshrrev_b32_e32 v19, 16, v19
	v_mul_u32_u24_e32 v27, 0x10001, v4
	v_mul_u32_u24_e32 v36, 0x10001, v5
	ds_load_2addr_b64 v[4:7], v130 offset0:212 offset1:230
	v_mul_u32_u24_e32 v25, 0x10001, v25
	v_mul_u32_u24_e32 v19, 0x10001, v19
	v_pk_fma_f16 v1, v1, v17, v40
	v_pk_fma_f16 v17, v2, v27, v41
	;; [unrolled: 1-line block ×6, first 2 shown]
	s_wait_dscnt 0x1
	v_and_b32_e32 v24, 0xffff, v20
	v_lshrrev_b32_e32 v20, 16, v20
	v_and_b32_e32 v27, 0xffff, v21
	v_lshrrev_b32_e32 v21, 16, v21
	v_pk_fma_f16 v18, v3, v25, v18
	v_mul_u32_u24_e32 v24, 0x10001, v24
	v_mul_u32_u24_e32 v20, 0x10001, v20
	;; [unrolled: 1-line block ×4, first 2 shown]
	v_pk_fma_f16 v16, v3, v36, v16
	v_pk_fma_f16 v27, v3, v19, v1
	s_wait_dscnt 0x0
	v_pk_fma_f16 v36, v4, v24, v17
	v_pk_fma_f16 v26, v4, v20, v26
	;; [unrolled: 1-line block ×5, first 2 shown]
	ds_load_b128 v[0:3], v54 offset:224
	v_pk_fma_f16 v20, v5, v20, v16
	v_pk_fma_f16 v25, v5, v25, v18
	v_and_b32_e32 v16, 0xffff, v22
	v_dual_lshrrev_b32 v17, 16, v22 :: v_dual_lshrrev_b32 v22, 16, v23
	v_and_b32_e32 v18, 0xffff, v23
	v_add_nc_u32_e32 v19, 0xc00, v52
	s_delay_alu instid0(VALU_DEP_4) | instskip(NEXT) | instid1(VALU_DEP_4)
	v_mul_u32_u24_e32 v23, 0x10001, v16
	v_mul_u32_u24_e32 v40, 0x10001, v17
	;; [unrolled: 1-line block ×4, first 2 shown]
	ds_load_2addr_b64 v[16:19], v19 offset0:120 offset1:138
	v_pk_fma_f16 v5, v5, v21, v27
	v_pk_fma_f16 v27, v6, v23, v36
	;; [unrolled: 1-line block ×7, first 2 shown]
	ds_load_b128 v[20:23], v54 offset:240
	s_wait_dscnt 0x2
	v_and_b32_e32 v39, 0xffff, v0
	v_lshrrev_b32_e32 v0, 16, v0
	v_and_b32_e32 v40, 0xffff, v1
	v_lshrrev_b32_e32 v1, 16, v1
	v_pk_fma_f16 v25, v7, v41, v25
	v_mul_u32_u24_e32 v39, 0x10001, v39
	v_mul_u32_u24_e32 v0, 0x10001, v0
	;; [unrolled: 1-line block ×4, first 2 shown]
	v_pk_fma_f16 v5, v7, v42, v5
	v_lshrrev_b32_e32 v1, 16, v2
	s_wait_dscnt 0x1
	v_pk_fma_f16 v7, v16, v39, v27
	v_pk_fma_f16 v26, v16, v0, v26
	;; [unrolled: 1-line block ×5, first 2 shown]
	v_and_b32_e32 v0, 0xffff, v2
	v_add_nc_u32_e32 v2, 0x1000, v52
	v_pk_fma_f16 v6, v17, v39, v6
	v_pk_fma_f16 v24, v17, v40, v25
	v_and_b32_e32 v25, 0xffff, v3
	v_lshrrev_b32_e32 v36, 16, v3
	v_mul_u32_u24_e32 v39, 0x10001, v0
	v_mul_u32_u24_e32 v40, 0x10001, v1
	ds_load_2addr_b64 v[0:3], v2 offset0:28 offset1:46
	v_mul_u32_u24_e32 v25, 0x10001, v25
	v_mul_u32_u24_e32 v36, 0x10001, v36
	v_pk_fma_f16 v5, v17, v41, v5
	v_pk_fma_f16 v7, v18, v39, v7
	;; [unrolled: 1-line block ×5, first 2 shown]
	s_wait_dscnt 0x1
	v_and_b32_e32 v18, 0xffff, v20
	v_lshrrev_b32_e32 v20, 16, v20
	v_and_b32_e32 v27, 0xffff, v21
	v_lshrrev_b32_e32 v21, 16, v21
	v_pk_fma_f16 v6, v19, v39, v6
	v_pk_fma_f16 v16, v19, v40, v16
	;; [unrolled: 1-line block ×3, first 2 shown]
	v_mul_u32_u24_e32 v18, 0x10001, v18
	v_mul_u32_u24_e32 v20, 0x10001, v20
	;; [unrolled: 1-line block ×4, first 2 shown]
	v_pk_fma_f16 v5, v19, v36, v5
	s_wait_dscnt 0x0
	v_pk_fma_f16 v7, v0, v18, v7
	v_pk_fma_f16 v17, v0, v20, v17
	;; [unrolled: 1-line block ×6, first 2 shown]
	v_and_b32_e32 v16, 0xffff, v22
	v_dual_lshrrev_b32 v18, 16, v22 :: v_dual_lshrrev_b32 v22, 16, v23
	v_and_b32_e32 v20, 0xffff, v23
	v_pk_fma_f16 v24, v1, v25, v24
	s_delay_alu instid0(VALU_DEP_4) | instskip(NEXT) | instid1(VALU_DEP_4)
	v_mul_u32_u24_e32 v16, 0x10001, v16
	v_mul_u32_u24_e32 v18, 0x10001, v18
	;; [unrolled: 1-line block ×4, first 2 shown]
	v_pk_fma_f16 v1, v1, v21, v5
	v_pk_fma_f16 v57, v2, v16, v7
	;; [unrolled: 1-line block ×4, first 2 shown]
	v_mov_b64_e32 v[4:5], v[8:9]
	v_mov_b64_e32 v[6:7], v[10:11]
	v_pk_fma_f16 v56, v2, v18, v17
	v_pk_fma_f16 v55, v2, v20, v19
	;; [unrolled: 1-line block ×5, first 2 shown]
	s_barrier_signal -1
	s_barrier_wait -1
.LBB56_59:
	v_cmp_lt_i32_e32 vcc_lo, v38, v28
	s_cmp_eq_u64 s[12:13], 0
	s_cselect_b32 s3, -1, 0
	s_cmp_lg_u32 s20, 0
	v_cndmask_b32_e32 v0, v53, v38, vcc_lo
	v_cmp_lt_i32_e32 vcc_lo, v35, v28
	s_cselect_b32 s4, -1, 0
	s_delay_alu instid0(SALU_CYCLE_1)
	s_or_b32 s3, s4, s3
	v_cndmask_b32_e32 v8, v53, v35, vcc_lo
	v_cmp_lt_i32_e32 vcc_lo, v31, v28
	v_lshlrev_b32_e32 v3, 2, v0
	ds_bpermute_b32 v0, v3, v12
	ds_bpermute_b32 v1, v3, v13
	s_wait_dscnt 0x0
	v_pk_add_f32 v[0:1], v[12:13], v[0:1]
	v_cndmask_b32_e32 v12, v53, v31, vcc_lo
	ds_bpermute_b32 v2, v3, v14
	ds_bpermute_b32 v3, v3, v15
	v_cmp_lt_i32_e32 vcc_lo, v30, v28
	v_lshlrev_b32_e32 v11, 2, v8
	v_lshlrev_b32_e32 v12, 2, v12
	ds_bpermute_b32 v8, v11, v0
	ds_bpermute_b32 v9, v11, v1
	s_wait_dscnt 0x2
	v_pk_add_f32 v[2:3], v[14:15], v[2:3]
	ds_bpermute_b32 v10, v11, v2
	ds_bpermute_b32 v11, v11, v3
	s_wait_dscnt 0x2
	v_pk_add_f32 v[0:1], v[0:1], v[8:9]
	;; [unrolled: 4-line block ×3, first 2 shown]
	ds_bpermute_b32 v10, v12, v2
	ds_bpermute_b32 v11, v12, v3
	v_cndmask_b32_e32 v12, v53, v30, vcc_lo
	s_wait_dscnt 0x2
	v_pk_add_f32 v[0:1], v[0:1], v[8:9]
	v_cmp_lt_i32_e32 vcc_lo, v29, v28
	s_delay_alu instid0(VALU_DEP_3)
	v_lshlrev_b32_e32 v12, 2, v12
	ds_bpermute_b32 v8, v12, v0
	ds_bpermute_b32 v9, v12, v1
	s_wait_dscnt 0x2
	v_pk_add_f32 v[2:3], v[2:3], v[10:11]
	ds_bpermute_b32 v10, v12, v2
	ds_bpermute_b32 v11, v12, v3
	v_cndmask_b32_e32 v12, v53, v29, vcc_lo
	s_and_b32 vcc_lo, exec_lo, s3
	s_delay_alu instid0(VALU_DEP_1)
	v_lshlrev_b32_e32 v12, 2, v12
	s_wait_dscnt 0x2
	v_pk_add_f32 v[0:1], v[0:1], v[8:9]
	s_wait_dscnt 0x0
	v_pk_add_f32 v[8:9], v[2:3], v[10:11]
	ds_bpermute_b32 v2, v12, v0
	ds_bpermute_b32 v3, v12, v1
	;; [unrolled: 1-line block ×4, first 2 shown]
	s_wait_dscnt 0x2
	v_pk_add_f32 v[2:3], v[0:1], v[2:3]
	s_wait_dscnt 0x0
	v_pk_add_f32 v[0:1], v[8:9], v[10:11]
	s_cbranch_vccnz .LBB56_61
; %bb.60:
	v_dual_mov_b32 v8, s33 :: v_dual_max_num_f32 v10, v6, v6
	v_dual_max_num_f32 v13, v7, v7 :: v_dual_max_num_f32 v9, v5, v5
	global_load_b32 v12, v8, s[12:13] scale_offset
	s_wait_xcnt 0x0
	v_max_num_f32_e32 v8, v4, v4
	s_wait_loadcnt 0x0
	v_max_num_f32_e32 v11, v12, v12
	s_delay_alu instid0(VALU_DEP_1) | instskip(SKIP_1) | instid1(VALU_DEP_2)
	v_dual_max_num_f32 v8, v8, v11 :: v_dual_max_num_f32 v9, v9, v11
	v_dual_max_num_f32 v10, v10, v11 :: v_dual_max_num_f32 v11, v13, v11
	v_dual_sub_f32 v4, v4, v8 :: v_dual_sub_f32 v5, v5, v9
	v_dual_sub_f32 v13, v12, v8 :: v_dual_sub_f32 v14, v12, v9
	s_delay_alu instid0(VALU_DEP_3) | instskip(NEXT) | instid1(VALU_DEP_3)
	v_dual_sub_f32 v15, v6, v10 :: v_dual_sub_f32 v16, v12, v10
	v_dual_mul_f32 v6, 0x3fb8aa3b, v4 :: v_dual_sub_f32 v17, v7, v11
	s_delay_alu instid0(VALU_DEP_3) | instskip(NEXT) | instid1(VALU_DEP_3)
	v_dual_sub_f32 v18, v12, v11 :: v_dual_mul_f32 v7, 0x3fb8aa3b, v13
	v_dual_mul_f32 v20, 0x3fb8aa3b, v15 :: v_dual_mul_f32 v21, 0x3fb8aa3b, v16
	s_delay_alu instid0(VALU_DEP_3)
	v_fma_f32 v29, 0x3fb8aa3b, v4, -v6
	v_rndne_f32_e32 v30, v6
	v_dual_mul_f32 v12, 0x3fb8aa3b, v5 :: v_dual_mul_f32 v19, 0x3fb8aa3b, v14
	v_fma_f32 v31, 0x3fb8aa3b, v13, -v7
	v_rndne_f32_e32 v35, v7
	v_rndne_f32_e32 v44, v21
	v_dual_fmac_f32 v29, 0x32a5705f, v4 :: v_dual_sub_f32 v6, v6, v30
	s_delay_alu instid0(VALU_DEP_3)
	v_dual_mul_f32 v22, 0x3fb8aa3b, v17 :: v_dual_sub_f32 v7, v7, v35
	v_fma_f32 v36, 0x3fb8aa3b, v5, -v12
	v_rndne_f32_e32 v38, v12
	v_rndne_f32_e32 v40, v19
	v_mul_f32_e32 v28, 0x3fb8aa3b, v18
	v_fma_f32 v41, 0x3fb8aa3b, v15, -v20
	v_rndne_f32_e32 v42, v20
	v_fma_f32 v43, 0x3fb8aa3b, v16, -v21
	v_dual_fmac_f32 v31, 0x32a5705f, v13 :: v_dual_sub_f32 v12, v12, v38
	v_dual_sub_f32 v21, v21, v44 :: v_dual_add_f32 v6, v6, v29
	v_fma_f32 v39, 0x3fb8aa3b, v14, -v19
	v_dual_fmac_f32 v36, 0x32a5705f, v5 :: v_dual_sub_f32 v19, v19, v40
	v_fma_f32 v47, 0x3fb8aa3b, v18, -v28
	v_dual_fmac_f32 v41, 0x32a5705f, v15 :: v_dual_sub_f32 v20, v20, v42
	v_add_f32_e32 v7, v7, v31
	v_exp_f32_e32 v6, v6
	v_cvt_i32_f32_e32 v30, v30
	v_fma_f32 v45, 0x3fb8aa3b, v17, -v22
	v_rndne_f32_e32 v46, v22
	v_rndne_f32_e32 v52, v28
	v_fmac_f32_e32 v39, 0x32a5705f, v14
	v_dual_fmac_f32 v47, 0x32a5705f, v18 :: v_dual_add_f32 v12, v12, v36
	v_add_f32_e32 v20, v20, v41
	v_exp_f32_e32 v7, v7
	v_cvt_i32_f32_e32 v35, v35
	v_dual_fmac_f32 v43, 0x32a5705f, v16 :: v_dual_sub_f32 v22, v22, v46
	v_ldexp_f32 v6, v6, v30
	v_cmp_ngt_f32_e32 vcc_lo, 0xc2ce8ed0, v4
	v_dual_fmac_f32 v45, 0x32a5705f, v17 :: v_dual_sub_f32 v28, v28, v52
	v_add_f32_e32 v19, v19, v39
	v_exp_f32_e32 v12, v12
	v_exp_f32_e32 v20, v20
	v_cvt_i32_f32_e32 v38, v38
	v_cvt_i32_f32_e32 v42, v42
	v_dual_add_f32 v21, v21, v43 :: v_dual_cndmask_b32 v6, 0, v6
	v_ldexp_f32 v7, v7, v35
	v_cmp_ngt_f32_e32 vcc_lo, 0xc2ce8ed0, v13
	v_add_f32_e32 v22, v22, v45
	v_exp_f32_e32 v19, v19
	v_cvt_i32_f32_e32 v40, v40
	v_ldexp_f32 v12, v12, v38
	v_ldexp_f32 v20, v20, v42
	v_cndmask_b32_e32 v7, 0, v7, vcc_lo
	v_cmp_ngt_f32_e32 vcc_lo, 0xc2ce8ed0, v5
	v_exp_f32_e32 v21, v21
	v_cvt_i32_f32_e32 v44, v44
	v_add_f32_e32 v28, v28, v47
	v_ldexp_f32 v19, v19, v40
	v_cndmask_b32_e32 v12, 0, v12, vcc_lo
	v_cmp_ngt_f32_e32 vcc_lo, 0xc2ce8ed0, v14
	v_exp_f32_e32 v22, v22
	v_ldexp_f32 v21, v21, v44
	v_cvt_i32_f32_e32 v46, v46
	v_exp_f32_e32 v28, v28
	v_cndmask_b32_e32 v19, 0, v19, vcc_lo
	v_cmp_ngt_f32_e32 vcc_lo, 0xc2ce8ed0, v15
	v_cvt_i32_f32_e32 v52, v52
	v_ldexp_f32 v22, v22, v46
	v_cndmask_b32_e32 v20, 0, v20, vcc_lo
	v_cmp_ngt_f32_e32 vcc_lo, 0xc2ce8ed0, v16
	s_delay_alu instid0(VALU_DEP_4)
	v_ldexp_f32 v28, v28, v52
	v_cndmask_b32_e32 v21, 0, v21, vcc_lo
	v_cmp_ngt_f32_e32 vcc_lo, 0xc2ce8ed0, v17
	v_cndmask_b32_e32 v22, 0, v22, vcc_lo
	v_cmp_ngt_f32_e32 vcc_lo, 0xc2ce8ed0, v18
	v_cndmask_b32_e32 v28, 0, v28, vcc_lo
	v_cmp_nlt_f32_e32 vcc_lo, 0x42b17218, v4
	v_cndmask_b32_e32 v4, 0x7f800000, v6, vcc_lo
	v_cmp_nlt_f32_e32 vcc_lo, 0x42b17218, v13
	;; [unrolled: 2-line block ×5, first 2 shown]
	s_delay_alu instid0(VALU_DEP_2)
	v_pk_fma_f32 v[2:3], v[2:3], v[4:5], v[6:7]
	v_cndmask_b32_e32 v12, 0x7f800000, v20, vcc_lo
	v_cmp_nlt_f32_e32 vcc_lo, 0x42b17218, v16
	v_cvt_f16_f32_e32 v16, v4
	v_cndmask_b32_e32 v14, 0x7f800000, v21, vcc_lo
	v_cmp_nlt_f32_e32 vcc_lo, 0x42b17218, v17
	v_cvt_f16_f32_e32 v17, v5
	s_delay_alu instid0(VALU_DEP_4)
	v_and_b32_e32 v16, 0xffff, v16
	v_cndmask_b32_e32 v13, 0x7f800000, v22, vcc_lo
	v_cmp_nlt_f32_e32 vcc_lo, 0x42b17218, v18
	v_cvt_f16_f32_e32 v18, v12
	v_and_b32_e32 v4, 0xffff, v17
	v_mul_u32_u24_e32 v7, 0x10001, v16
	v_cvt_f16_f32_e32 v19, v13
	v_cndmask_b32_e32 v15, 0x7f800000, v28, vcc_lo
	v_and_b32_e32 v5, 0xffff, v18
	v_mul_u32_u24_e32 v4, 0x10001, v4
	v_pk_mul_f16 v57, v57, v7
	v_and_b32_e32 v6, 0xffff, v19
	v_pk_mul_f16 v27, v27, v7
	v_mul_u32_u24_e32 v5, 0x10001, v5
	v_pk_mul_f16 v56, v56, v4
	v_pk_mul_f16 v26, v26, v4
	v_mul_u32_u24_e32 v6, 0x10001, v6
	v_pk_fma_f32 v[0:1], v[0:1], v[12:13], v[14:15]
	v_pk_mul_f16 v55, v55, v5
	v_pk_mul_f16 v25, v25, v5
	s_delay_alu instid0(VALU_DEP_4)
	v_pk_mul_f16 v23, v23, v6
	v_pk_mul_f16 v24, v24, v6
	v_mov_b64_e32 v[4:5], v[8:9]
	v_mov_b64_e32 v[6:7], v[10:11]
.LBB56_61:
	s_mov_b32 s3, exec_lo
	v_cmpx_gt_i32_e64 s22, v34
	s_cbranch_execz .LBB56_89
; %bb.62:
	s_load_b32 s0, s[0:1], 0xd4
	v_mov_b32_e32 v8, 1.0
	s_wait_kmcnt 0x0
	s_cmp_lg_u32 s0, 1
	s_cselect_b32 s3, -1, 0
	s_cmp_eq_u32 s0, 1
	s_cselect_b32 s4, -1, 0
	s_and_b32 vcc_lo, exec_lo, s3
	s_cbranch_vccnz .LBB56_64
; %bb.63:
	v_div_scale_f32 v8, null, v2, v2, 1.0
	s_delay_alu instid0(VALU_DEP_1) | instskip(SKIP_1) | instid1(TRANS32_DEP_1)
	v_rcp_f32_e32 v9, v8
	v_nop
	v_fma_f32 v10, -v8, v9, 1.0
	s_delay_alu instid0(VALU_DEP_1) | instskip(SKIP_1) | instid1(VALU_DEP_1)
	v_fmac_f32_e32 v9, v10, v9
	v_div_scale_f32 v10, vcc_lo, 1.0, v2, 1.0
	v_mul_f32_e32 v11, v10, v9
	s_delay_alu instid0(VALU_DEP_1) | instskip(NEXT) | instid1(VALU_DEP_1)
	v_fma_f32 v12, -v8, v11, v10
	v_fmac_f32_e32 v11, v12, v9
	s_delay_alu instid0(VALU_DEP_1) | instskip(NEXT) | instid1(VALU_DEP_1)
	v_fma_f32 v8, -v8, v11, v10
	v_div_fmas_f32 v8, v8, v9, v11
	s_delay_alu instid0(VALU_DEP_1)
	v_div_fixup_f32 v8, v8, v2, 1.0
.LBB56_64:
	s_mul_i32 s1, s34, s22
	s_delay_alu instid0(SALU_CYCLE_1) | instskip(NEXT) | instid1(SALU_CYCLE_1)
	s_add_co_i32 s1, s1, s39
	v_add_nc_u32_e32 v9, s1, v51
	s_delay_alu instid0(VALU_DEP_1) | instskip(NEXT) | instid1(VALU_DEP_1)
	v_mad_u32 v9, v9, s23, s33
	v_mad_u32 v9, s0, v9, s20
	s_and_saveexec_b32 s5, s2
	s_cbranch_execz .LBB56_66
; %bb.65:
	s_delay_alu instid0(VALU_DEP_1) | instskip(SKIP_4) | instid1(VALU_DEP_4)
	v_mad_u32 v12, 0x48, v9, v50
	v_dual_lshrrev_b32 v11, 16, v57 :: v_dual_lshrrev_b32 v15, 16, v27
	v_mov_b32_e32 v13, 0
	v_cvt_f32_f16_e32 v10, v57
	v_cvt_f32_f16_e32 v14, v27
	;; [unrolled: 1-line block ×4, first 2 shown]
	s_delay_alu instid0(VALU_DEP_2) | instskip(SKIP_1) | instid1(VALU_DEP_3)
	v_pk_mul_f32 v[10:11], v[8:9], v[10:11] op_sel_hi:[0,1]
	v_lshl_add_u64 v[16:17], v[12:13], 2, s[16:17]
	v_pk_mul_f32 v[12:13], v[8:9], v[14:15] op_sel_hi:[0,1]
	global_store_b128 v[16:17], v[10:13], off
.LBB56_66:
	s_wait_xcnt 0x0
	s_or_b32 exec_lo, exec_lo, s5
	v_cmp_eq_u32_e32 vcc_lo, 0, v48
	s_and_b32 s3, vcc_lo, s3
	s_delay_alu instid0(SALU_CYCLE_1)
	s_and_saveexec_b32 s5, s3
	s_cbranch_execz .LBB56_68
; %bb.67:
	v_dual_mov_b32 v10, v4 :: v_dual_mov_b32 v11, v2
	global_store_b64 v9, v[10:11], s[18:19] scale_offset
.LBB56_68:
	s_wait_xcnt 0x0
	s_or_b32 exec_lo, exec_lo, s5
	v_cmp_gt_i32_e32 vcc_lo, s22, v32
	s_and_b32 exec_lo, exec_lo, vcc_lo
	s_cbranch_execz .LBB56_89
; %bb.69:
	v_cndmask_b32_e64 v4, 0, 1, s4
	v_mov_b32_e32 v2, 1.0
	s_and_not1_b32 vcc_lo, exec_lo, s4
	s_cbranch_vccnz .LBB56_71
; %bb.70:
	v_div_scale_f32 v2, null, v3, v3, 1.0
	s_delay_alu instid0(VALU_DEP_1) | instskip(SKIP_1) | instid1(TRANS32_DEP_1)
	v_rcp_f32_e32 v8, v2
	v_nop
	v_fma_f32 v9, -v2, v8, 1.0
	s_delay_alu instid0(VALU_DEP_1) | instskip(SKIP_1) | instid1(VALU_DEP_1)
	v_fmac_f32_e32 v8, v9, v8
	v_div_scale_f32 v9, vcc_lo, 1.0, v3, 1.0
	v_mul_f32_e32 v10, v9, v8
	s_delay_alu instid0(VALU_DEP_1) | instskip(NEXT) | instid1(VALU_DEP_1)
	v_fma_f32 v11, -v2, v10, v9
	v_fmac_f32_e32 v10, v11, v8
	s_delay_alu instid0(VALU_DEP_1) | instskip(NEXT) | instid1(VALU_DEP_1)
	v_fma_f32 v2, -v2, v10, v9
	v_div_fmas_f32 v2, v2, v8, v10
	s_delay_alu instid0(VALU_DEP_1)
	v_div_fixup_f32 v2, v2, v3, 1.0
.LBB56_71:
	v_add_nc_u32_e32 v8, s1, v49
	s_delay_alu instid0(VALU_DEP_1) | instskip(NEXT) | instid1(VALU_DEP_1)
	v_mad_u32 v8, v8, s23, s33
	v_mad_u32 v8, s0, v8, s20
	s_and_saveexec_b32 s4, s2
	s_cbranch_execz .LBB56_73
; %bb.72:
	s_delay_alu instid0(VALU_DEP_1) | instskip(SKIP_4) | instid1(VALU_DEP_4)
	v_mad_u32 v12, 0x48, v8, v50
	v_dual_lshrrev_b32 v9, 16, v56 :: v_dual_lshrrev_b32 v15, 16, v26
	v_mov_b32_e32 v13, 0
	v_cvt_f32_f16_e32 v10, v56
	v_cvt_f32_f16_e32 v14, v26
	;; [unrolled: 1-line block ×4, first 2 shown]
	s_delay_alu instid0(VALU_DEP_2) | instskip(SKIP_1) | instid1(VALU_DEP_3)
	v_pk_mul_f32 v[10:11], v[2:3], v[10:11] op_sel_hi:[0,1]
	v_lshl_add_u64 v[16:17], v[12:13], 2, s[16:17]
	v_pk_mul_f32 v[12:13], v[2:3], v[14:15] op_sel_hi:[0,1]
	global_store_b128 v[16:17], v[10:13], off
.LBB56_73:
	s_wait_xcnt 0x0
	s_or_b32 exec_lo, exec_lo, s4
	s_and_saveexec_b32 s4, s3
	s_cbranch_execz .LBB56_75
; %bb.74:
	v_mov_b32_e32 v2, v5
	global_store_b64 v8, v[2:3], s[18:19] scale_offset
.LBB56_75:
	s_wait_xcnt 0x0
	s_or_b32 exec_lo, exec_lo, s4
	v_add_nc_u32_e32 v2, s39, v37
	s_delay_alu instid0(VALU_DEP_1)
	v_cmp_gt_i32_e32 vcc_lo, s22, v2
	s_and_b32 exec_lo, exec_lo, vcc_lo
	s_cbranch_execz .LBB56_89
; %bb.76:
	v_cmp_ne_u32_e32 vcc_lo, 1, v4
	v_mov_b32_e32 v2, 1.0
	s_cbranch_vccnz .LBB56_78
; %bb.77:
	v_div_scale_f32 v2, null, v0, v0, 1.0
	s_delay_alu instid0(VALU_DEP_1) | instskip(SKIP_1) | instid1(TRANS32_DEP_1)
	v_rcp_f32_e32 v3, v2
	v_nop
	v_fma_f32 v5, -v2, v3, 1.0
	s_delay_alu instid0(VALU_DEP_1) | instskip(SKIP_1) | instid1(VALU_DEP_1)
	v_fmac_f32_e32 v3, v5, v3
	v_div_scale_f32 v5, vcc_lo, 1.0, v0, 1.0
	v_mul_f32_e32 v8, v5, v3
	s_delay_alu instid0(VALU_DEP_1) | instskip(NEXT) | instid1(VALU_DEP_1)
	v_fma_f32 v9, -v2, v8, v5
	v_fmac_f32_e32 v8, v9, v3
	s_delay_alu instid0(VALU_DEP_1) | instskip(NEXT) | instid1(VALU_DEP_1)
	v_fma_f32 v2, -v2, v8, v5
	v_div_fmas_f32 v2, v2, v3, v8
	s_delay_alu instid0(VALU_DEP_1)
	v_div_fixup_f32 v2, v2, v0, 1.0
.LBB56_78:
	v_add_nc_u32_e32 v3, s1, v37
	s_delay_alu instid0(VALU_DEP_1) | instskip(NEXT) | instid1(VALU_DEP_1)
	v_mad_u32 v3, v3, s23, s33
	v_mad_u32 v3, s0, v3, s20
	s_and_saveexec_b32 s4, s2
	s_cbranch_execz .LBB56_80
; %bb.79:
	s_delay_alu instid0(VALU_DEP_1) | instskip(SKIP_4) | instid1(VALU_DEP_4)
	v_mad_u32 v10, 0x48, v3, v50
	v_dual_lshrrev_b32 v5, 16, v55 :: v_dual_lshrrev_b32 v13, 16, v25
	v_mov_b32_e32 v11, 0
	v_cvt_f32_f16_e32 v8, v55
	v_cvt_f32_f16_e32 v12, v25
	v_cvt_f32_f16_e32 v9, v5
	v_cvt_f32_f16_e32 v13, v13
	s_delay_alu instid0(VALU_DEP_2) | instskip(SKIP_1) | instid1(VALU_DEP_3)
	v_pk_mul_f32 v[8:9], v[2:3], v[8:9] op_sel_hi:[0,1]
	v_lshl_add_u64 v[14:15], v[10:11], 2, s[16:17]
	v_pk_mul_f32 v[10:11], v[2:3], v[12:13] op_sel_hi:[0,1]
	global_store_b128 v[14:15], v[8:11], off
.LBB56_80:
	s_wait_xcnt 0x0
	s_or_b32 exec_lo, exec_lo, s4
	s_and_saveexec_b32 s4, s3
	s_cbranch_execz .LBB56_82
; %bb.81:
	v_dual_mov_b32 v8, v6 :: v_dual_mov_b32 v9, v0
	global_store_b64 v3, v[8:9], s[18:19] scale_offset
.LBB56_82:
	s_wait_xcnt 0x0
	s_or_b32 exec_lo, exec_lo, s4
	v_add_nc_u32_e32 v0, s39, v33
	s_delay_alu instid0(VALU_DEP_1)
	v_cmp_gt_i32_e32 vcc_lo, s22, v0
	s_and_b32 exec_lo, exec_lo, vcc_lo
	s_cbranch_execz .LBB56_89
; %bb.83:
	v_cmp_ne_u32_e32 vcc_lo, 1, v4
	v_mov_b32_e32 v0, 1.0
	s_cbranch_vccnz .LBB56_85
; %bb.84:
	v_div_scale_f32 v0, null, v1, v1, 1.0
	s_delay_alu instid0(VALU_DEP_1) | instskip(SKIP_1) | instid1(TRANS32_DEP_1)
	v_rcp_f32_e32 v2, v0
	v_nop
	v_fma_f32 v3, -v0, v2, 1.0
	s_delay_alu instid0(VALU_DEP_1) | instskip(SKIP_1) | instid1(VALU_DEP_1)
	v_fmac_f32_e32 v2, v3, v2
	v_div_scale_f32 v3, vcc_lo, 1.0, v1, 1.0
	v_mul_f32_e32 v4, v3, v2
	s_delay_alu instid0(VALU_DEP_1) | instskip(NEXT) | instid1(VALU_DEP_1)
	v_fma_f32 v5, -v0, v4, v3
	v_fmac_f32_e32 v4, v5, v2
	s_delay_alu instid0(VALU_DEP_1) | instskip(NEXT) | instid1(VALU_DEP_1)
	v_fma_f32 v0, -v0, v4, v3
	v_div_fmas_f32 v0, v0, v2, v4
	s_delay_alu instid0(VALU_DEP_1)
	v_div_fixup_f32 v0, v0, v1, 1.0
.LBB56_85:
	v_add_nc_u32_e32 v2, s1, v33
	s_delay_alu instid0(VALU_DEP_1) | instskip(NEXT) | instid1(VALU_DEP_1)
	v_mad_u32 v2, v2, s23, s33
	v_mad_u32 v2, s0, v2, s20
	s_and_saveexec_b32 s0, s2
	s_cbranch_execz .LBB56_87
; %bb.86:
	s_delay_alu instid0(VALU_DEP_1) | instskip(SKIP_4) | instid1(VALU_DEP_4)
	v_mad_u32 v4, 0x48, v2, v50
	v_dual_lshrrev_b32 v3, 16, v23 :: v_dual_lshrrev_b32 v6, 16, v24
	v_mov_b32_e32 v5, 0
	v_cvt_f32_f16_e32 v8, v23
	v_cvt_f32_f16_e32 v10, v24
	;; [unrolled: 1-line block ×4, first 2 shown]
	s_delay_alu instid0(VALU_DEP_2) | instskip(SKIP_1) | instid1(VALU_DEP_3)
	v_pk_mul_f32 v[8:9], v[0:1], v[8:9] op_sel_hi:[0,1]
	v_lshl_add_u64 v[4:5], v[4:5], 2, s[16:17]
	v_pk_mul_f32 v[10:11], v[0:1], v[10:11] op_sel_hi:[0,1]
	global_store_b128 v[4:5], v[8:11], off
.LBB56_87:
	s_wait_xcnt 0x0
	s_or_b32 exec_lo, exec_lo, s0
	s_delay_alu instid0(SALU_CYCLE_1)
	s_and_b32 exec_lo, exec_lo, s3
	s_cbranch_execz .LBB56_89
; %bb.88:
	v_mov_b32_e32 v0, v7
	global_store_b64 v2, v[0:1], s[18:19] scale_offset
.LBB56_89:
	s_sendmsg sendmsg(MSG_DEALLOC_VGPRS)
	s_endpgm
	.section	.rodata,"a",@progbits
	.p2align	6, 0x0
	.amdhsa_kernel _ZL15flash_attn_tileILi72ELi72ELi32ELi1ELb0EEvPKcS1_S1_S1_S1_PKiPfP15HIP_vector_typeIfLj2EEffffjfiS5_IjLj3EEiiiiiiiiiiiliiliiiiil
		.amdhsa_group_segment_fixed_size 12000
		.amdhsa_private_segment_fixed_size 32
		.amdhsa_kernarg_size 464
		.amdhsa_user_sgpr_count 2
		.amdhsa_user_sgpr_dispatch_ptr 0
		.amdhsa_user_sgpr_queue_ptr 0
		.amdhsa_user_sgpr_kernarg_segment_ptr 1
		.amdhsa_user_sgpr_dispatch_id 0
		.amdhsa_user_sgpr_kernarg_preload_length 0
		.amdhsa_user_sgpr_kernarg_preload_offset 0
		.amdhsa_user_sgpr_private_segment_size 0
		.amdhsa_wavefront_size32 1
		.amdhsa_uses_dynamic_stack 0
		.amdhsa_enable_private_segment 1
		.amdhsa_system_sgpr_workgroup_id_x 1
		.amdhsa_system_sgpr_workgroup_id_y 1
		.amdhsa_system_sgpr_workgroup_id_z 1
		.amdhsa_system_sgpr_workgroup_info 0
		.amdhsa_system_vgpr_workitem_id 1
		.amdhsa_next_free_vgpr 186
		.amdhsa_next_free_sgpr 48
		.amdhsa_named_barrier_count 0
		.amdhsa_reserve_vcc 1
		.amdhsa_float_round_mode_32 0
		.amdhsa_float_round_mode_16_64 0
		.amdhsa_float_denorm_mode_32 3
		.amdhsa_float_denorm_mode_16_64 3
		.amdhsa_fp16_overflow 0
		.amdhsa_memory_ordered 1
		.amdhsa_forward_progress 1
		.amdhsa_inst_pref_size 169
		.amdhsa_round_robin_scheduling 0
		.amdhsa_exception_fp_ieee_invalid_op 0
		.amdhsa_exception_fp_denorm_src 0
		.amdhsa_exception_fp_ieee_div_zero 0
		.amdhsa_exception_fp_ieee_overflow 0
		.amdhsa_exception_fp_ieee_underflow 0
		.amdhsa_exception_fp_ieee_inexact 0
		.amdhsa_exception_int_div_zero 0
	.end_amdhsa_kernel
	.section	.text._ZL15flash_attn_tileILi72ELi72ELi32ELi1ELb0EEvPKcS1_S1_S1_S1_PKiPfP15HIP_vector_typeIfLj2EEffffjfiS5_IjLj3EEiiiiiiiiiiiliiliiiiil,"axG",@progbits,_ZL15flash_attn_tileILi72ELi72ELi32ELi1ELb0EEvPKcS1_S1_S1_S1_PKiPfP15HIP_vector_typeIfLj2EEffffjfiS5_IjLj3EEiiiiiiiiiiiliiliiiiil,comdat
.Lfunc_end56:
	.size	_ZL15flash_attn_tileILi72ELi72ELi32ELi1ELb0EEvPKcS1_S1_S1_S1_PKiPfP15HIP_vector_typeIfLj2EEffffjfiS5_IjLj3EEiiiiiiiiiiiliiliiiiil, .Lfunc_end56-_ZL15flash_attn_tileILi72ELi72ELi32ELi1ELb0EEvPKcS1_S1_S1_S1_PKiPfP15HIP_vector_typeIfLj2EEffffjfiS5_IjLj3EEiiiiiiiiiiiliiliiiiil
                                        ; -- End function
	.set _ZL15flash_attn_tileILi72ELi72ELi32ELi1ELb0EEvPKcS1_S1_S1_S1_PKiPfP15HIP_vector_typeIfLj2EEffffjfiS5_IjLj3EEiiiiiiiiiiiliiliiiiil.num_vgpr, 186
	.set _ZL15flash_attn_tileILi72ELi72ELi32ELi1ELb0EEvPKcS1_S1_S1_S1_PKiPfP15HIP_vector_typeIfLj2EEffffjfiS5_IjLj3EEiiiiiiiiiiiliiliiiiil.num_agpr, 0
	.set _ZL15flash_attn_tileILi72ELi72ELi32ELi1ELb0EEvPKcS1_S1_S1_S1_PKiPfP15HIP_vector_typeIfLj2EEffffjfiS5_IjLj3EEiiiiiiiiiiiliiliiiiil.numbered_sgpr, 48
	.set _ZL15flash_attn_tileILi72ELi72ELi32ELi1ELb0EEvPKcS1_S1_S1_S1_PKiPfP15HIP_vector_typeIfLj2EEffffjfiS5_IjLj3EEiiiiiiiiiiiliiliiiiil.num_named_barrier, 0
	.set _ZL15flash_attn_tileILi72ELi72ELi32ELi1ELb0EEvPKcS1_S1_S1_S1_PKiPfP15HIP_vector_typeIfLj2EEffffjfiS5_IjLj3EEiiiiiiiiiiiliiliiiiil.private_seg_size, 32
	.set _ZL15flash_attn_tileILi72ELi72ELi32ELi1ELb0EEvPKcS1_S1_S1_S1_PKiPfP15HIP_vector_typeIfLj2EEffffjfiS5_IjLj3EEiiiiiiiiiiiliiliiiiil.uses_vcc, 1
	.set _ZL15flash_attn_tileILi72ELi72ELi32ELi1ELb0EEvPKcS1_S1_S1_S1_PKiPfP15HIP_vector_typeIfLj2EEffffjfiS5_IjLj3EEiiiiiiiiiiiliiliiiiil.uses_flat_scratch, 1
	.set _ZL15flash_attn_tileILi72ELi72ELi32ELi1ELb0EEvPKcS1_S1_S1_S1_PKiPfP15HIP_vector_typeIfLj2EEffffjfiS5_IjLj3EEiiiiiiiiiiiliiliiiiil.has_dyn_sized_stack, 0
	.set _ZL15flash_attn_tileILi72ELi72ELi32ELi1ELb0EEvPKcS1_S1_S1_S1_PKiPfP15HIP_vector_typeIfLj2EEffffjfiS5_IjLj3EEiiiiiiiiiiiliiliiiiil.has_recursion, 0
	.set _ZL15flash_attn_tileILi72ELi72ELi32ELi1ELb0EEvPKcS1_S1_S1_S1_PKiPfP15HIP_vector_typeIfLj2EEffffjfiS5_IjLj3EEiiiiiiiiiiiliiliiiiil.has_indirect_call, 0
	.section	.AMDGPU.csdata,"",@progbits
; Kernel info:
; codeLenInByte = 21520
; TotalNumSgprs: 50
; NumVgprs: 186
; ScratchSize: 32
; MemoryBound: 0
; FloatMode: 240
; IeeeMode: 1
; LDSByteSize: 12000 bytes/workgroup (compile time only)
; SGPRBlocks: 0
; VGPRBlocks: 11
; NumSGPRsForWavesPerEU: 50
; NumVGPRsForWavesPerEU: 186
; NamedBarCnt: 0
; Occupancy: 5
; WaveLimiterHint : 1
; COMPUTE_PGM_RSRC2:SCRATCH_EN: 1
; COMPUTE_PGM_RSRC2:USER_SGPR: 2
; COMPUTE_PGM_RSRC2:TRAP_HANDLER: 0
; COMPUTE_PGM_RSRC2:TGID_X_EN: 1
; COMPUTE_PGM_RSRC2:TGID_Y_EN: 1
; COMPUTE_PGM_RSRC2:TGID_Z_EN: 1
; COMPUTE_PGM_RSRC2:TIDIG_COMP_CNT: 1
	.section	.text._ZL33flash_attn_stream_k_fixup_uniformILi72ELi32ELi1EEvPfPK15HIP_vector_typeIfLj2EEiiiiiiS1_IjLj3EES5_S5_,"axG",@progbits,_ZL33flash_attn_stream_k_fixup_uniformILi72ELi32ELi1EEvPfPK15HIP_vector_typeIfLj2EEiiiiiiS1_IjLj3EES5_S5_,comdat
	.globl	_ZL33flash_attn_stream_k_fixup_uniformILi72ELi32ELi1EEvPfPK15HIP_vector_typeIfLj2EEiiiiiiS1_IjLj3EES5_S5_ ; -- Begin function _ZL33flash_attn_stream_k_fixup_uniformILi72ELi32ELi1EEvPfPK15HIP_vector_typeIfLj2EEiiiiiiS1_IjLj3EES5_S5_
	.p2align	8
	.type	_ZL33flash_attn_stream_k_fixup_uniformILi72ELi32ELi1EEvPfPK15HIP_vector_typeIfLj2EEiiiiiiS1_IjLj3EES5_S5_,@function
_ZL33flash_attn_stream_k_fixup_uniformILi72ELi32ELi1EEvPfPK15HIP_vector_typeIfLj2EEiiiiiiS1_IjLj3EES5_S5_: ; @_ZL33flash_attn_stream_k_fixup_uniformILi72ELi32ELi1EEvPfPK15HIP_vector_typeIfLj2EEiiiiiiS1_IjLj3EES5_S5_
; %bb.0:
	s_load_b256 s[4:11], s[0:1], 0x1c
	s_bfe_u32 s2, ttmp6, 0x40014
	s_lshr_b32 s3, ttmp7, 16
	s_add_co_i32 s2, s2, 1
	s_bfe_u32 s13, ttmp6, 0x40010
	s_mul_i32 s2, s3, s2
	s_bfe_u32 s12, ttmp6, 0x40008
	s_and_b32 s14, ttmp7, 0xffff
	s_add_co_i32 s13, s13, 1
	s_bfe_u32 s15, ttmp6, 0x4000c
	s_add_co_i32 s2, s12, s2
	s_mul_i32 s12, s14, s13
	s_bfe_u32 s13, ttmp6, 0x40004
	s_add_co_i32 s15, s15, 1
	s_add_co_i32 s13, s13, s12
	s_and_b32 s12, ttmp6, 15
	s_mul_i32 s15, ttmp9, s15
	s_getreg_b32 s20, hwreg(HW_REG_IB_STS2, 6, 4)
	s_add_co_i32 s12, s12, s15
	s_load_b128 s[16:19], s[0:1], 0x3c
	s_cmp_eq_u32 s20, 0
	s_cselect_b32 s12, ttmp9, s12
	s_cselect_b32 s13, s14, s13
	s_wait_kmcnt 0x0
	s_mul_hi_u32 s7, s7, s12
	s_cselect_b32 s14, s3, s2
	s_add_co_i32 s2, s12, s7
	s_delay_alu instid0(SALU_CYCLE_1) | instskip(NEXT) | instid1(SALU_CYCLE_1)
	s_lshr_b32 s7, s2, s8
	s_mul_i32 s2, s7, s9
	s_delay_alu instid0(SALU_CYCLE_1) | instskip(NEXT) | instid1(SALU_CYCLE_1)
	s_sub_co_i32 s8, s12, s2
	s_mul_hi_u32 s2, s8, s10
	s_delay_alu instid0(SALU_CYCLE_1) | instskip(SKIP_2) | instid1(SALU_CYCLE_1)
	s_add_co_i32 s9, s8, s2
	s_load_b64 s[2:3], s[0:1], 0x10
	s_lshr_b32 s15, s9, s11
	s_mul_i32 s9, s15, s16
	s_delay_alu instid0(SALU_CYCLE_1) | instskip(NEXT) | instid1(SALU_CYCLE_1)
	s_sub_co_i32 s8, s8, s9
	s_mul_hi_u32 s9, s8, s17
	s_delay_alu instid0(SALU_CYCLE_1) | instskip(NEXT) | instid1(SALU_CYCLE_1)
	s_add_co_i32 s9, s8, s9
	s_lshr_b32 s17, s9, s18
	s_delay_alu instid0(SALU_CYCLE_1) | instskip(NEXT) | instid1(SALU_CYCLE_1)
	s_mul_i32 s9, s17, s19
	s_sub_co_i32 s16, s8, s9
	s_delay_alu instid0(SALU_CYCLE_1) | instskip(NEXT) | instid1(SALU_CYCLE_1)
	s_lshl_b32 s8, s16, 5
	s_add_co_i32 s8, s8, s13
	s_wait_kmcnt 0x0
	s_cmp_lt_i32 s8, s2
	s_cselect_b32 s8, -1, 0
	s_add_co_i32 s17, s17, s14
	s_delay_alu instid0(SALU_CYCLE_1) | instskip(SKIP_1) | instid1(SALU_CYCLE_1)
	s_cmp_lt_i32 s17, s5
	s_cselect_b32 s9, -1, 0
	s_and_b32 s8, s8, s9
	s_delay_alu instid0(SALU_CYCLE_1)
	s_and_not1_b32 vcc_lo, exec_lo, s8
	s_cbranch_vccnz .LBB57_6
; %bb.1:
	s_load_b128 s[8:11], s[0:1], 0x0
	s_wait_xcnt 0x0
	s_mul_i32 s0, s7, s2
	s_mul_i32 s15, s15, s5
	s_add_co_i32 s0, s0, s13
	s_add_co_i32 s1, s17, s15
	s_mul_i32 s0, s0, s3
	s_mul_i32 s2, s3, s16
	s_add_co_i32 s0, s1, s0
	s_mulk_i32 s2, 0x900
	s_mulk_i32 s0, 0x48
	s_mul_i32 s7, s6, s12
	v_add3_u32 v4, s0, s2, v0
	s_add_co_i32 s5, s7, s6
	s_add_co_i32 s13, s13, s14
	s_lshl_b32 s0, s5, 5
	s_add_co_i32 s2, s5, -2
	s_add_co_i32 s0, s13, s0
	v_ashrrev_i32_e32 v5, 31, v4
	s_sub_co_i32 s0, s0, 32
	s_delay_alu instid0(SALU_CYCLE_1)
	s_ashr_i32 s1, s0, 31
	s_wait_kmcnt 0x0
	global_load_b32 v3, v4, s[8:9] scale_offset
	s_lshl_b64 s[0:1], s[0:1], 3
	s_cmp_lt_i32 s2, s7
	s_add_nc_u64 s[0:1], s[10:11], s[0:1]
	s_load_b32 s14, s[0:1], 0x4
	s_cbranch_scc1 .LBB57_4
; %bb.2:
	s_wait_xcnt 0x0
	s_load_b32 s0, s[0:1], 0x0
	s_add_co_i32 s12, s12, 1
	s_lshl_b32 s2, s4, 7
	s_wait_xcnt 0x0
	s_mul_i32 s1, s6, s12
	s_mul_i32 s6, s13, 0x48
	s_lshl_b32 s12, s1, 5
	s_mulk_i32 s1, 0x900
	s_ashr_i32 s3, s2, 31
	s_add_co_i32 s6, s6, s1
	s_add_co_i32 s12, s13, s12
	s_lshl_b32 s1, s4, 5
	v_add3_u32 v0, s6, v0, 0xffffee00
	s_wait_kmcnt 0x0
	v_mov_b32_e32 v2, s14
	s_lshl_b64 s[2:3], s[2:3], 2
	s_add_co_i32 s12, s12, s1
	s_add_nc_u64 s[2:3], s[10:11], s[2:3]
	s_add_co_i32 s1, s5, -1
	s_sub_co_i32 s4, s12, 64
.LBB57_3:                               ; =>This Inner Loop Header: Depth=1
	global_load_b32 v7, v0, s[2:3] scale_offset
	s_ashr_i32 s5, s4, 31
	v_max_num_f32_e64 v1, s0, s0
	s_lshl_b64 s[12:13], s[4:5], 3
	s_delay_alu instid0(SALU_CYCLE_1) | instskip(SKIP_1) | instid1(VALU_DEP_1)
	s_add_nc_u64 s[12:13], s[10:11], s[12:13]
	s_load_b64 s[12:13], s[12:13], 0x0
	v_readfirstlane_b32 s5, v1
	v_add_nc_u32_e32 v0, 0xfffff700, v0
	s_wait_kmcnt 0x0
	v_max_num_f32_e64 v1, s12, s12
	s_delay_alu instid0(VALU_DEP_1) | instskip(SKIP_1) | instid1(SALU_CYCLE_3)
	v_readfirstlane_b32 s6, v1
	s_max_num_f32 s5, s5, s6
	s_sub_f32 s0, s0, s5
	s_sub_f32 s6, s12, s5
	s_delay_alu instid0(SALU_CYCLE_2) | instskip(NEXT) | instid1(SALU_CYCLE_2)
	s_mul_f32 s12, s0, 0x3fb8aa3b
	s_mul_f32 s14, s6, 0x3fb8aa3b
	s_delay_alu instid0(SALU_CYCLE_2)
	s_xor_b32 s15, s12, 0x80000000
	s_rndne_f32 s16, s12
	s_fmamk_f32 s15, s0, 0x3fb8aa3b, s15
	s_cmp_nlt_f32 s0, 0xc2ce8ed0
	s_rndne_f32 s17, s14
	s_sub_f32 s12, s12, s16
	s_fmamk_f32 s15, s0, 0x32a5705f, s15
	s_cselect_b32 vcc_lo, -1, 0
	s_cmp_ngt_f32 s0, 0x42b17218
	s_delay_alu instid0(SALU_CYCLE_1) | instskip(SKIP_2) | instid1(SALU_CYCLE_1)
	s_add_f32 s12, s12, s15
	s_cvt_i32_f32 s15, s16
	s_sub_f32 s16, s14, s17
	v_s_exp_f32 s12, s12
	v_nop
	s_delay_alu instid0(TRANS32_DEP_1) | instskip(SKIP_1) | instid1(VALU_DEP_1)
	v_ldexp_f32 v1, s12, s15
	s_cvt_i32_f32 s12, s17
	v_cndmask_b32_e32 v1, 0, v1, vcc_lo
	s_cselect_b32 vcc_lo, -1, 0
	s_cmp_ge_f32 s0, 0xc1a00000
	s_delay_alu instid0(VALU_DEP_1)
	v_cndmask_b32_e32 v1, 0x7f800000, v1, vcc_lo
	s_cselect_b32 vcc_lo, -1, 0
	s_xor_b32 s0, s14, 0x80000000
	s_cmp_nlt_f32 s6, 0xc2ce8ed0
	s_fmamk_f32 s0, s6, 0x3fb8aa3b, s0
	v_cndmask_b32_e32 v10, 0, v1, vcc_lo
	s_delay_alu instid0(SALU_CYCLE_2) | instskip(NEXT) | instid1(SALU_CYCLE_3)
	s_fmamk_f32 s0, s6, 0x32a5705f, s0
	s_add_f32 s0, s16, s0
	s_delay_alu instid0(SALU_CYCLE_3) | instskip(SKIP_1) | instid1(TRANS32_DEP_1)
	v_s_exp_f32 s0, s0
	v_nop
	v_ldexp_f32 v6, s0, s12
	s_cselect_b32 s0, -1, 0
	s_cmp_ngt_f32 s6, 0x42b17218
	s_delay_alu instid0(VALU_DEP_1) | instskip(SKIP_2) | instid1(VALU_DEP_1)
	v_cndmask_b32_e64 v6, 0, v6, s0
	s_cselect_b32 s0, -1, 0
	s_cmp_ge_f32 s6, 0xc1a00000
	v_cndmask_b32_e64 v8, 0x7f800000, v6, s0
	s_cselect_b32 s0, -1, 0
	v_mov_b32_e32 v6, s13
	s_add_co_i32 s1, s1, -1
	s_sub_co_i32 s4, s4, 32
	v_cndmask_b32_e64 v8, 0, v8, s0
	s_cmp_le_i32 s1, s7
	s_mov_b32 s0, s5
	s_wait_loadcnt 0x0
	s_delay_alu instid0(VALU_DEP_1) | instskip(NEXT) | instid1(VALU_DEP_1)
	v_pk_mul_f32 v[6:7], v[6:7], v[8:9] op_sel_hi:[1,0]
	v_pk_fma_f32 v[2:3], v[2:3], v[10:11], v[6:7] op_sel_hi:[1,0,1]
	s_cbranch_scc0 .LBB57_3
	s_branch .LBB57_5
.LBB57_4:
	s_wait_kmcnt 0x0
	v_mov_b32_e32 v2, s14
.LBB57_5:
	v_lshl_add_u64 v[0:1], v[4:5], 2, s[8:9]
	s_wait_loadcnt 0x0
	s_delay_alu instid0(VALU_DEP_2) | instskip(NEXT) | instid1(VALU_DEP_1)
	v_div_scale_f32 v4, null, v2, v2, v3
	v_rcp_f32_e32 v5, v4
	v_nop
	s_delay_alu instid0(TRANS32_DEP_1) | instskip(NEXT) | instid1(VALU_DEP_1)
	v_fma_f32 v6, -v4, v5, 1.0
	v_fmac_f32_e32 v5, v6, v5
	v_div_scale_f32 v6, vcc_lo, v3, v2, v3
	s_delay_alu instid0(VALU_DEP_1) | instskip(NEXT) | instid1(VALU_DEP_1)
	v_mul_f32_e32 v7, v6, v5
	v_fma_f32 v8, -v4, v7, v6
	s_delay_alu instid0(VALU_DEP_1) | instskip(NEXT) | instid1(VALU_DEP_1)
	v_fmac_f32_e32 v7, v8, v5
	v_fma_f32 v4, -v4, v7, v6
	s_delay_alu instid0(VALU_DEP_1) | instskip(NEXT) | instid1(VALU_DEP_1)
	v_div_fmas_f32 v4, v4, v5, v7
	v_div_fixup_f32 v2, v4, v2, v3
	global_store_b32 v[0:1], v2, off
.LBB57_6:
	s_endpgm
	.section	.rodata,"a",@progbits
	.p2align	6, 0x0
	.amdhsa_kernel _ZL33flash_attn_stream_k_fixup_uniformILi72ELi32ELi1EEvPfPK15HIP_vector_typeIfLj2EEiiiiiiS1_IjLj3EES5_S5_
		.amdhsa_group_segment_fixed_size 0
		.amdhsa_private_segment_fixed_size 0
		.amdhsa_kernarg_size 76
		.amdhsa_user_sgpr_count 2
		.amdhsa_user_sgpr_dispatch_ptr 0
		.amdhsa_user_sgpr_queue_ptr 0
		.amdhsa_user_sgpr_kernarg_segment_ptr 1
		.amdhsa_user_sgpr_dispatch_id 0
		.amdhsa_user_sgpr_kernarg_preload_length 0
		.amdhsa_user_sgpr_kernarg_preload_offset 0
		.amdhsa_user_sgpr_private_segment_size 0
		.amdhsa_wavefront_size32 1
		.amdhsa_uses_dynamic_stack 0
		.amdhsa_enable_private_segment 0
		.amdhsa_system_sgpr_workgroup_id_x 1
		.amdhsa_system_sgpr_workgroup_id_y 1
		.amdhsa_system_sgpr_workgroup_id_z 1
		.amdhsa_system_sgpr_workgroup_info 0
		.amdhsa_system_vgpr_workitem_id 0
		.amdhsa_next_free_vgpr 12
		.amdhsa_next_free_sgpr 21
		.amdhsa_named_barrier_count 0
		.amdhsa_reserve_vcc 1
		.amdhsa_float_round_mode_32 0
		.amdhsa_float_round_mode_16_64 0
		.amdhsa_float_denorm_mode_32 3
		.amdhsa_float_denorm_mode_16_64 3
		.amdhsa_fp16_overflow 0
		.amdhsa_memory_ordered 1
		.amdhsa_forward_progress 1
		.amdhsa_inst_pref_size 9
		.amdhsa_round_robin_scheduling 0
		.amdhsa_exception_fp_ieee_invalid_op 0
		.amdhsa_exception_fp_denorm_src 0
		.amdhsa_exception_fp_ieee_div_zero 0
		.amdhsa_exception_fp_ieee_overflow 0
		.amdhsa_exception_fp_ieee_underflow 0
		.amdhsa_exception_fp_ieee_inexact 0
		.amdhsa_exception_int_div_zero 0
	.end_amdhsa_kernel
	.section	.text._ZL33flash_attn_stream_k_fixup_uniformILi72ELi32ELi1EEvPfPK15HIP_vector_typeIfLj2EEiiiiiiS1_IjLj3EES5_S5_,"axG",@progbits,_ZL33flash_attn_stream_k_fixup_uniformILi72ELi32ELi1EEvPfPK15HIP_vector_typeIfLj2EEiiiiiiS1_IjLj3EES5_S5_,comdat
.Lfunc_end57:
	.size	_ZL33flash_attn_stream_k_fixup_uniformILi72ELi32ELi1EEvPfPK15HIP_vector_typeIfLj2EEiiiiiiS1_IjLj3EES5_S5_, .Lfunc_end57-_ZL33flash_attn_stream_k_fixup_uniformILi72ELi32ELi1EEvPfPK15HIP_vector_typeIfLj2EEiiiiiiS1_IjLj3EES5_S5_
                                        ; -- End function
	.set _ZL33flash_attn_stream_k_fixup_uniformILi72ELi32ELi1EEvPfPK15HIP_vector_typeIfLj2EEiiiiiiS1_IjLj3EES5_S5_.num_vgpr, 12
	.set _ZL33flash_attn_stream_k_fixup_uniformILi72ELi32ELi1EEvPfPK15HIP_vector_typeIfLj2EEiiiiiiS1_IjLj3EES5_S5_.num_agpr, 0
	.set _ZL33flash_attn_stream_k_fixup_uniformILi72ELi32ELi1EEvPfPK15HIP_vector_typeIfLj2EEiiiiiiS1_IjLj3EES5_S5_.numbered_sgpr, 21
	.set _ZL33flash_attn_stream_k_fixup_uniformILi72ELi32ELi1EEvPfPK15HIP_vector_typeIfLj2EEiiiiiiS1_IjLj3EES5_S5_.num_named_barrier, 0
	.set _ZL33flash_attn_stream_k_fixup_uniformILi72ELi32ELi1EEvPfPK15HIP_vector_typeIfLj2EEiiiiiiS1_IjLj3EES5_S5_.private_seg_size, 0
	.set _ZL33flash_attn_stream_k_fixup_uniformILi72ELi32ELi1EEvPfPK15HIP_vector_typeIfLj2EEiiiiiiS1_IjLj3EES5_S5_.uses_vcc, 1
	.set _ZL33flash_attn_stream_k_fixup_uniformILi72ELi32ELi1EEvPfPK15HIP_vector_typeIfLj2EEiiiiiiS1_IjLj3EES5_S5_.uses_flat_scratch, 0
	.set _ZL33flash_attn_stream_k_fixup_uniformILi72ELi32ELi1EEvPfPK15HIP_vector_typeIfLj2EEiiiiiiS1_IjLj3EES5_S5_.has_dyn_sized_stack, 0
	.set _ZL33flash_attn_stream_k_fixup_uniformILi72ELi32ELi1EEvPfPK15HIP_vector_typeIfLj2EEiiiiiiS1_IjLj3EES5_S5_.has_recursion, 0
	.set _ZL33flash_attn_stream_k_fixup_uniformILi72ELi32ELi1EEvPfPK15HIP_vector_typeIfLj2EEiiiiiiS1_IjLj3EES5_S5_.has_indirect_call, 0
	.section	.AMDGPU.csdata,"",@progbits
; Kernel info:
; codeLenInByte = 1072
; TotalNumSgprs: 23
; NumVgprs: 12
; ScratchSize: 0
; MemoryBound: 0
; FloatMode: 240
; IeeeMode: 1
; LDSByteSize: 0 bytes/workgroup (compile time only)
; SGPRBlocks: 0
; VGPRBlocks: 0
; NumSGPRsForWavesPerEU: 23
; NumVGPRsForWavesPerEU: 12
; NamedBarCnt: 0
; Occupancy: 16
; WaveLimiterHint : 0
; COMPUTE_PGM_RSRC2:SCRATCH_EN: 0
; COMPUTE_PGM_RSRC2:USER_SGPR: 2
; COMPUTE_PGM_RSRC2:TRAP_HANDLER: 0
; COMPUTE_PGM_RSRC2:TGID_X_EN: 1
; COMPUTE_PGM_RSRC2:TGID_Y_EN: 1
; COMPUTE_PGM_RSRC2:TGID_Z_EN: 1
; COMPUTE_PGM_RSRC2:TIDIG_COMP_CNT: 0
	.section	.text._ZL33flash_attn_stream_k_fixup_generalILi72ELi32ELi1EEvPfPK15HIP_vector_typeIfLj2EEiiiiS1_IjLj3EES5_S5_S5_,"axG",@progbits,_ZL33flash_attn_stream_k_fixup_generalILi72ELi32ELi1EEvPfPK15HIP_vector_typeIfLj2EEiiiiS1_IjLj3EES5_S5_S5_,comdat
	.globl	_ZL33flash_attn_stream_k_fixup_generalILi72ELi32ELi1EEvPfPK15HIP_vector_typeIfLj2EEiiiiS1_IjLj3EES5_S5_S5_ ; -- Begin function _ZL33flash_attn_stream_k_fixup_generalILi72ELi32ELi1EEvPfPK15HIP_vector_typeIfLj2EEiiiiS1_IjLj3EES5_S5_S5_
	.p2align	8
	.type	_ZL33flash_attn_stream_k_fixup_generalILi72ELi32ELi1EEvPfPK15HIP_vector_typeIfLj2EEiiiiS1_IjLj3EES5_S5_S5_,@function
_ZL33flash_attn_stream_k_fixup_generalILi72ELi32ELi1EEvPfPK15HIP_vector_typeIfLj2EEiiiiS1_IjLj3EES5_S5_S5_: ; @_ZL33flash_attn_stream_k_fixup_generalILi72ELi32ELi1EEvPfPK15HIP_vector_typeIfLj2EEiiiiS1_IjLj3EES5_S5_S5_
; %bb.0:
	s_clause 0x1
	s_load_b128 s[4:7], s[0:1], 0x10
	s_load_b32 s16, s[0:1], 0x50
	s_bfe_u32 s2, ttmp6, 0x4000c
	s_and_b32 s3, ttmp6, 15
	s_add_co_i32 s2, s2, 1
	s_getreg_b32 s15, hwreg(HW_REG_IB_STS2, 6, 4)
	s_mul_i32 s2, ttmp9, s2
	s_mov_b32 s17, 0
	s_add_co_i32 s3, s3, s2
	s_cmp_eq_u32 s15, 0
	s_cselect_b32 s2, ttmp9, s3
	s_delay_alu instid0(SALU_CYCLE_1) | instskip(SKIP_3) | instid1(SALU_CYCLE_1)
	s_ashr_i32 s3, s2, 31
	s_wait_kmcnt 0x0
	s_ashr_i32 s19, s7, 31
	s_mov_b32 s18, s7
	s_mul_u64 s[8:9], s[18:19], s[2:3]
	s_delay_alu instid0(SALU_CYCLE_1) | instskip(NEXT) | instid1(SALU_CYCLE_1)
	s_and_b64 s[10:11], s[8:9], 0xffffffff00000000
	s_cmp_lg_u64 s[10:11], 0
	s_cbranch_scc0 .LBB58_21
; %bb.1:
	s_add_nc_u64 s[10:11], s[16:17], 0
	s_mov_b32 s23, s17
	s_xor_b64 s[10:11], s[10:11], 0
	s_mov_b32 s27, s17
	s_cvt_f32_u32 s3, s10
	s_cvt_f32_u32 s7, s11
	s_sub_nc_u64 s[20:21], 0, s[10:11]
	s_delay_alu instid0(SALU_CYCLE_2) | instskip(NEXT) | instid1(SALU_CYCLE_3)
	s_fmamk_f32 s3, s7, 0x4f800000, s3
	v_s_rcp_f32 s3, s3
	s_delay_alu instid0(TRANS32_DEP_1) | instskip(NEXT) | instid1(SALU_CYCLE_3)
	s_mul_f32 s3, s3, 0x5f7ffffc
	s_mul_f32 s7, s3, 0x2f800000
	s_delay_alu instid0(SALU_CYCLE_3) | instskip(NEXT) | instid1(SALU_CYCLE_3)
	s_trunc_f32 s7, s7
	s_fmamk_f32 s3, s7, 0xcf800000, s3
	s_cvt_u32_f32 s13, s7
	s_delay_alu instid0(SALU_CYCLE_2) | instskip(NEXT) | instid1(SALU_CYCLE_3)
	s_cvt_u32_f32 s12, s3
	s_mul_u64 s[24:25], s[20:21], s[12:13]
	s_delay_alu instid0(SALU_CYCLE_1)
	s_mul_hi_u32 s29, s12, s25
	s_mul_i32 s28, s12, s25
	s_mul_hi_u32 s22, s12, s24
	s_mul_i32 s7, s13, s24
	s_add_nc_u64 s[22:23], s[22:23], s[28:29]
	s_mul_hi_u32 s3, s13, s24
	s_mul_hi_u32 s14, s13, s25
	s_add_co_u32 s7, s22, s7
	s_add_co_ci_u32 s26, s23, s3
	s_mul_i32 s24, s13, s25
	s_add_co_ci_u32 s25, s14, 0
	s_delay_alu instid0(SALU_CYCLE_1) | instskip(SKIP_3) | instid1(SALU_CYCLE_1)
	s_add_nc_u64 s[22:23], s[26:27], s[24:25]
	s_mov_b32 s25, s17
	s_add_co_u32 s12, s12, s22
	s_cselect_b32 s3, -1, 0
	s_cmp_lg_u32 s3, 0
	s_add_co_ci_u32 s13, s13, s23
	s_mov_b32 s23, s17
	s_mul_u64 s[20:21], s[20:21], s[12:13]
	s_delay_alu instid0(SALU_CYCLE_1)
	s_mul_hi_u32 s27, s12, s21
	s_mul_i32 s26, s12, s21
	s_mul_hi_u32 s22, s12, s20
	s_mul_i32 s7, s13, s20
	s_add_nc_u64 s[22:23], s[22:23], s[26:27]
	s_mul_hi_u32 s3, s13, s20
	s_mul_hi_u32 s14, s13, s21
	s_add_co_u32 s7, s22, s7
	s_add_co_ci_u32 s24, s23, s3
	s_mul_i32 s20, s13, s21
	s_add_co_ci_u32 s21, s14, 0
	s_mov_b32 s23, s17
	s_add_nc_u64 s[20:21], s[24:25], s[20:21]
	s_delay_alu instid0(SALU_CYCLE_1) | instskip(SKIP_1) | instid1(SALU_CYCLE_1)
	s_add_co_u32 s3, s12, s20
	s_cselect_b32 s7, -1, 0
	s_cmp_lg_u32 s7, 0
	s_add_co_ci_u32 s7, s13, s21
	s_ashr_i32 s12, s9, 31
	s_delay_alu instid0(SALU_CYCLE_1) | instskip(NEXT) | instid1(SALU_CYCLE_1)
	s_mov_b32 s13, s12
	s_add_nc_u64 s[20:21], s[8:9], s[12:13]
	s_delay_alu instid0(SALU_CYCLE_1) | instskip(NEXT) | instid1(SALU_CYCLE_1)
	s_xor_b64 s[20:21], s[20:21], s[12:13]
	s_mul_hi_u32 s27, s20, s7
	s_mul_i32 s26, s20, s7
	s_mul_hi_u32 s22, s20, s3
	s_mul_hi_u32 s14, s21, s3
	s_mul_i32 s3, s21, s3
	s_add_nc_u64 s[22:23], s[22:23], s[26:27]
	s_mul_hi_u32 s9, s21, s7
	s_add_co_u32 s3, s22, s3
	s_add_co_ci_u32 s24, s23, s14
	s_mul_i32 s26, s21, s7
	s_add_co_ci_u32 s27, s9, 0
	s_delay_alu instid0(SALU_CYCLE_1) | instskip(NEXT) | instid1(SALU_CYCLE_1)
	s_add_nc_u64 s[22:23], s[24:25], s[26:27]
	s_and_b64 s[24:25], s[22:23], 0xffffffff00000000
	s_delay_alu instid0(SALU_CYCLE_1) | instskip(NEXT) | instid1(SALU_CYCLE_1)
	s_or_b32 s24, s24, s22
	s_mul_u64 s[22:23], s[10:11], s[24:25]
	s_add_nc_u64 s[26:27], s[24:25], 1
	s_sub_co_u32 s3, s20, s22
	s_cselect_b32 s7, -1, 0
	s_sub_co_i32 s9, s21, s23
	s_cmp_lg_u32 s7, 0
	s_add_nc_u64 s[28:29], s[24:25], 2
	s_sub_co_ci_u32 s9, s9, s11
	s_sub_co_u32 s14, s3, s10
	s_cselect_b32 s20, -1, 0
	s_delay_alu instid0(SALU_CYCLE_1) | instskip(SKIP_1) | instid1(SALU_CYCLE_1)
	s_cmp_lg_u32 s20, 0
	s_sub_co_ci_u32 s9, s9, 0
	s_cmp_ge_u32 s9, s11
	s_cselect_b32 s20, -1, 0
	s_cmp_ge_u32 s14, s10
	s_cselect_b32 s14, -1, 0
	s_cmp_eq_u32 s9, s11
	s_cselect_b32 s9, s14, s20
	s_delay_alu instid0(SALU_CYCLE_1) | instskip(SKIP_4) | instid1(SALU_CYCLE_1)
	s_cmp_lg_u32 s9, 0
	s_cselect_b32 s9, s28, s26
	s_cselect_b32 s14, s29, s27
	s_cmp_lg_u32 s7, 0
	s_sub_co_ci_u32 s7, s21, s23
	s_cmp_ge_u32 s7, s11
	s_cselect_b32 s20, -1, 0
	s_cmp_ge_u32 s3, s10
	s_cselect_b32 s3, -1, 0
	s_cmp_eq_u32 s7, s11
	s_cselect_b32 s3, s3, s20
	s_delay_alu instid0(SALU_CYCLE_1) | instskip(SKIP_4) | instid1(SALU_CYCLE_1)
	s_cmp_lg_u32 s3, 0
	s_mov_b32 s3, s17
	s_cselect_b32 s11, s14, s25
	s_cselect_b32 s10, s9, s24
	s_xor_b64 s[12:13], s[12:13], 0
	s_xor_b64 s[10:11], s[10:11], s[12:13]
	s_delay_alu instid0(SALU_CYCLE_1)
	s_sub_nc_u64 s[20:21], s[10:11], s[12:13]
	s_and_not1_b32 vcc_lo, exec_lo, s3
	s_cbranch_vccnz .LBB58_3
.LBB58_2:
	v_cvt_f32_u32_e32 v1, s16
	s_sub_co_i32 s7, 0, s16
	s_mov_b32 s21, 0
	s_delay_alu instid0(VALU_DEP_1) | instskip(SKIP_1) | instid1(TRANS32_DEP_1)
	v_rcp_iflag_f32_e32 v1, v1
	v_nop
	v_mul_f32_e32 v1, 0x4f7ffffe, v1
	s_delay_alu instid0(VALU_DEP_1) | instskip(NEXT) | instid1(VALU_DEP_1)
	v_cvt_u32_f32_e32 v1, v1
	v_readfirstlane_b32 s3, v1
	s_mul_i32 s7, s7, s3
	s_delay_alu instid0(SALU_CYCLE_1) | instskip(NEXT) | instid1(SALU_CYCLE_1)
	s_mul_hi_u32 s7, s3, s7
	s_add_co_i32 s3, s3, s7
	s_delay_alu instid0(SALU_CYCLE_1) | instskip(NEXT) | instid1(SALU_CYCLE_1)
	s_mul_hi_u32 s3, s8, s3
	s_mul_i32 s7, s3, s16
	s_delay_alu instid0(SALU_CYCLE_1)
	s_sub_co_i32 s7, s8, s7
	s_add_co_i32 s8, s3, 1
	s_sub_co_i32 s9, s7, s16
	s_cmp_ge_u32 s7, s16
	s_cselect_b32 s3, s8, s3
	s_cselect_b32 s7, s9, s7
	s_add_co_i32 s8, s3, 1
	s_cmp_ge_u32 s7, s16
	s_cselect_b32 s20, s8, s3
.LBB58_3:
	s_add_co_i32 s8, s2, 1
	s_delay_alu instid0(SALU_CYCLE_1) | instskip(NEXT) | instid1(SALU_CYCLE_1)
	s_ashr_i32 s9, s8, 31
	s_mul_u64 s[8:9], s[18:19], s[8:9]
	s_delay_alu instid0(SALU_CYCLE_1) | instskip(NEXT) | instid1(SALU_CYCLE_1)
	s_and_b64 s[10:11], s[8:9], 0xffffffff00000000
	s_cmp_lg_u64 s[10:11], 0
	s_cbranch_scc0 .LBB58_22
; %bb.4:
	s_add_nc_u64 s[10:11], s[16:17], 0
	s_delay_alu instid0(SALU_CYCLE_1) | instskip(SKIP_4) | instid1(SALU_CYCLE_2)
	s_xor_b64 s[12:13], s[10:11], 0
	s_mov_b32 s11, 0
	s_cvt_f32_u32 s3, s12
	s_cvt_f32_u32 s7, s13
	s_sub_nc_u64 s[24:25], 0, s[12:13]
	s_fmamk_f32 s3, s7, 0x4f800000, s3
	s_delay_alu instid0(SALU_CYCLE_3) | instskip(NEXT) | instid1(TRANS32_DEP_1)
	v_s_rcp_f32 s3, s3
	s_mul_f32 s3, s3, 0x5f7ffffc
	s_delay_alu instid0(SALU_CYCLE_3) | instskip(NEXT) | instid1(SALU_CYCLE_3)
	s_mul_f32 s7, s3, 0x2f800000
	s_trunc_f32 s7, s7
	s_delay_alu instid0(SALU_CYCLE_3) | instskip(SKIP_1) | instid1(SALU_CYCLE_2)
	s_fmamk_f32 s3, s7, 0xcf800000, s3
	s_cvt_u32_f32 s23, s7
	s_cvt_u32_f32 s22, s3
	s_delay_alu instid0(SALU_CYCLE_3) | instskip(NEXT) | instid1(SALU_CYCLE_1)
	s_mul_u64 s[26:27], s[24:25], s[22:23]
	s_mul_hi_u32 s29, s22, s27
	s_mul_i32 s28, s22, s27
	s_mul_hi_u32 s10, s22, s26
	s_mul_i32 s7, s23, s26
	s_add_nc_u64 s[28:29], s[10:11], s[28:29]
	s_mul_hi_u32 s3, s23, s26
	s_mul_hi_u32 s14, s23, s27
	s_add_co_u32 s7, s28, s7
	s_add_co_ci_u32 s10, s29, s3
	s_mul_i32 s26, s23, s27
	s_add_co_ci_u32 s27, s14, 0
	s_delay_alu instid0(SALU_CYCLE_1) | instskip(NEXT) | instid1(SALU_CYCLE_1)
	s_add_nc_u64 s[26:27], s[10:11], s[26:27]
	s_add_co_u32 s22, s22, s26
	s_cselect_b32 s3, -1, 0
	s_delay_alu instid0(SALU_CYCLE_1) | instskip(SKIP_1) | instid1(SALU_CYCLE_1)
	s_cmp_lg_u32 s3, 0
	s_add_co_ci_u32 s23, s23, s27
	s_mul_u64 s[24:25], s[24:25], s[22:23]
	s_delay_alu instid0(SALU_CYCLE_1)
	s_mul_hi_u32 s27, s22, s25
	s_mul_i32 s26, s22, s25
	s_mul_hi_u32 s10, s22, s24
	s_mul_i32 s7, s23, s24
	s_add_nc_u64 s[26:27], s[10:11], s[26:27]
	s_mul_hi_u32 s3, s23, s24
	s_mul_hi_u32 s14, s23, s25
	s_add_co_u32 s7, s26, s7
	s_add_co_ci_u32 s10, s27, s3
	s_mul_i32 s24, s23, s25
	s_add_co_ci_u32 s25, s14, 0
	s_delay_alu instid0(SALU_CYCLE_1) | instskip(NEXT) | instid1(SALU_CYCLE_1)
	s_add_nc_u64 s[24:25], s[10:11], s[24:25]
	s_add_co_u32 s3, s22, s24
	s_cselect_b32 s7, -1, 0
	s_delay_alu instid0(SALU_CYCLE_1) | instskip(SKIP_2) | instid1(SALU_CYCLE_1)
	s_cmp_lg_u32 s7, 0
	s_add_co_ci_u32 s7, s23, s25
	s_ashr_i32 s22, s9, 31
	s_mov_b32 s23, s22
	s_delay_alu instid0(SALU_CYCLE_1) | instskip(NEXT) | instid1(SALU_CYCLE_1)
	s_add_nc_u64 s[24:25], s[8:9], s[22:23]
	s_xor_b64 s[24:25], s[24:25], s[22:23]
	s_delay_alu instid0(SALU_CYCLE_1)
	s_mul_hi_u32 s27, s24, s7
	s_mul_i32 s26, s24, s7
	s_mul_hi_u32 s10, s24, s3
	s_mul_hi_u32 s14, s25, s3
	s_mul_i32 s3, s25, s3
	s_add_nc_u64 s[26:27], s[10:11], s[26:27]
	s_mul_hi_u32 s9, s25, s7
	s_add_co_u32 s3, s26, s3
	s_add_co_ci_u32 s10, s27, s14
	s_mul_i32 s28, s25, s7
	s_add_co_ci_u32 s29, s9, 0
	s_delay_alu instid0(SALU_CYCLE_1) | instskip(NEXT) | instid1(SALU_CYCLE_1)
	s_add_nc_u64 s[26:27], s[10:11], s[28:29]
	s_and_b64 s[28:29], s[26:27], 0xffffffff00000000
	s_delay_alu instid0(SALU_CYCLE_1) | instskip(NEXT) | instid1(SALU_CYCLE_1)
	s_or_b32 s28, s28, s26
	s_mul_u64 s[26:27], s[12:13], s[28:29]
	s_add_nc_u64 s[30:31], s[28:29], 1
	s_sub_co_u32 s3, s24, s26
	s_cselect_b32 s7, -1, 0
	s_sub_co_i32 s9, s25, s27
	s_cmp_lg_u32 s7, 0
	s_add_nc_u64 s[34:35], s[28:29], 2
	s_sub_co_ci_u32 s9, s9, s13
	s_sub_co_u32 s10, s3, s12
	s_cselect_b32 s14, -1, 0
	s_delay_alu instid0(SALU_CYCLE_1) | instskip(SKIP_1) | instid1(SALU_CYCLE_1)
	s_cmp_lg_u32 s14, 0
	s_sub_co_ci_u32 s9, s9, 0
	s_cmp_ge_u32 s9, s13
	s_cselect_b32 s14, -1, 0
	s_cmp_ge_u32 s10, s12
	s_cselect_b32 s10, -1, 0
	s_cmp_eq_u32 s9, s13
	s_cselect_b32 s9, s10, s14
	s_delay_alu instid0(SALU_CYCLE_1) | instskip(SKIP_4) | instid1(SALU_CYCLE_1)
	s_cmp_lg_u32 s9, 0
	s_cselect_b32 s9, s34, s30
	s_cselect_b32 s10, s35, s31
	s_cmp_lg_u32 s7, 0
	s_sub_co_ci_u32 s7, s25, s27
	s_cmp_ge_u32 s7, s13
	s_cselect_b32 s14, -1, 0
	s_cmp_ge_u32 s3, s12
	s_cselect_b32 s3, -1, 0
	s_cmp_eq_u32 s7, s13
	s_cselect_b32 s3, s3, s14
	s_delay_alu instid0(SALU_CYCLE_1) | instskip(SKIP_3) | instid1(SALU_CYCLE_1)
	s_cmp_lg_u32 s3, 0
	s_cselect_b32 s13, s10, s29
	s_cselect_b32 s12, s9, s28
	s_xor_b64 s[22:23], s[22:23], 0
	s_xor_b64 s[12:13], s[12:13], s[22:23]
	s_delay_alu instid0(SALU_CYCLE_1)
	s_sub_nc_u64 s[24:25], s[12:13], s[22:23]
	s_load_b96 s[12:14], s[0:1], 0x44
	s_cbranch_execnz .LBB58_6
.LBB58_5:
	v_cvt_f32_u32_e32 v1, s16
	s_sub_co_i32 s7, 0, s16
	s_delay_alu instid0(VALU_DEP_1) | instskip(SKIP_1) | instid1(TRANS32_DEP_1)
	v_rcp_iflag_f32_e32 v1, v1
	v_nop
	v_mul_f32_e32 v1, 0x4f7ffffe, v1
	s_delay_alu instid0(VALU_DEP_1) | instskip(NEXT) | instid1(VALU_DEP_1)
	v_cvt_u32_f32_e32 v1, v1
	v_readfirstlane_b32 s3, v1
	s_mul_i32 s7, s7, s3
	s_delay_alu instid0(SALU_CYCLE_1) | instskip(NEXT) | instid1(SALU_CYCLE_1)
	s_mul_hi_u32 s7, s3, s7
	s_add_co_i32 s3, s3, s7
	s_delay_alu instid0(SALU_CYCLE_1) | instskip(NEXT) | instid1(SALU_CYCLE_1)
	s_mul_hi_u32 s3, s8, s3
	s_mul_i32 s7, s3, s16
	s_delay_alu instid0(SALU_CYCLE_1)
	s_sub_co_i32 s7, s8, s7
	s_add_co_i32 s8, s3, 1
	s_sub_co_i32 s9, s7, s16
	s_cmp_ge_u32 s7, s16
	s_cselect_b32 s3, s8, s3
	s_cselect_b32 s7, s9, s7
	s_add_co_i32 s8, s3, 1
	s_cmp_ge_u32 s7, s16
	s_cselect_b32 s24, s8, s3
.LBB58_6:
	s_delay_alu instid0(SALU_CYCLE_1)
	s_cmp_eq_u32 s20, s24
	s_mov_b64 s[8:9], 0xffffffff
	s_cselect_b32 s3, -1, 0
	s_and_b64 s[8:9], s[20:21], s[8:9]
	s_mov_b32 s23, 0
	s_wait_kmcnt 0x0
	s_mov_b32 s22, s12
	s_mov_b32 s25, s23
	s_mul_u64 s[10:11], s[8:9], s[22:23]
	s_delay_alu instid0(SALU_CYCLE_1) | instskip(SKIP_2) | instid1(SALU_CYCLE_1)
	s_add_co_i32 s7, s11, s20
	s_mul_u64 s[10:11], s[24:25], s[22:23]
	s_lshr_b32 s12, s7, s13
	s_mul_i32 s7, s12, s14
	s_delay_alu instid0(SALU_CYCLE_1) | instskip(SKIP_2) | instid1(SALU_CYCLE_1)
	s_cmp_eq_u32 s7, s20
	s_cselect_b32 s7, -1, 0
	s_add_co_i32 s10, s11, s24
	s_lshr_b32 s10, s10, s13
	s_delay_alu instid0(SALU_CYCLE_1)
	s_cmp_eq_u32 s12, s10
	s_mul_i32 s10, s10, s14
	s_cselect_b32 s11, -1, 0
	s_cmp_lg_u32 s10, s24
	s_cselect_b32 s10, -1, 0
	s_or_b32 s3, s3, s7
	s_and_b32 s10, s11, s10
	s_delay_alu instid0(SALU_CYCLE_1) | instskip(NEXT) | instid1(SALU_CYCLE_1)
	s_or_b32 s3, s3, s10
	s_and_b32 vcc_lo, exec_lo, s3
	s_cbranch_vccnz .LBB58_24
; %bb.7:
	s_load_b256 s[24:31], s[0:1], 0x20
	s_bfe_u32 s7, ttmp6, 0x40014
	s_bfe_u32 s33, ttmp6, 0x40010
	s_lshr_b32 s3, ttmp7, 16
	s_add_co_i32 s7, s7, 1
	s_and_b32 s21, ttmp7, 0xffff
	s_add_co_i32 s33, s33, 1
	s_bfe_u32 s10, ttmp6, 0x40008
	s_mul_i32 s7, s3, s7
	s_bfe_u32 s34, ttmp6, 0x40004
	s_mul_i32 s33, s21, s33
	s_mov_b32 s11, s23
	s_add_co_i32 s7, s10, s7
	s_add_co_i32 s34, s34, s33
	s_cmp_eq_u32 s15, 0
	s_cselect_b32 s15, s21, s34
	s_cselect_b32 s3, s3, s7
	s_wait_kmcnt 0x0
	s_mov_b32 s10, s24
	s_delay_alu instid0(SALU_CYCLE_1) | instskip(SKIP_2) | instid1(SALU_CYCLE_1)
	s_mul_u64 s[8:9], s[8:9], s[10:11]
	s_load_b32 s8, s[0:1], 0x40
	s_add_co_i32 s7, s9, s20
	s_lshr_b32 s7, s7, s25
	s_delay_alu instid0(SALU_CYCLE_1) | instskip(NEXT) | instid1(SALU_CYCLE_1)
	s_mul_i32 s9, s7, s26
	s_sub_co_i32 s9, s20, s9
	s_delay_alu instid0(SALU_CYCLE_1) | instskip(NEXT) | instid1(SALU_CYCLE_1)
	s_mul_hi_u32 s10, s9, s27
	s_add_co_i32 s10, s9, s10
	s_delay_alu instid0(SALU_CYCLE_1) | instskip(NEXT) | instid1(SALU_CYCLE_1)
	s_lshr_b32 s21, s10, s28
	s_mul_i32 s10, s21, s29
	s_delay_alu instid0(SALU_CYCLE_1) | instskip(NEXT) | instid1(SALU_CYCLE_1)
	s_sub_co_i32 s10, s9, s10
	s_mul_hi_u32 s9, s10, s30
	s_delay_alu instid0(SALU_CYCLE_1) | instskip(NEXT) | instid1(SALU_CYCLE_1)
	s_add_co_i32 s9, s10, s9
	s_lshr_b32 s25, s9, s31
	s_mov_b32 s9, s23
	s_wait_kmcnt 0x0
	s_mul_i32 s8, s25, s8
	s_delay_alu instid0(SALU_CYCLE_1) | instskip(NEXT) | instid1(SALU_CYCLE_1)
	s_sub_co_i32 s8, s10, s8
	s_mul_u64 s[10:11], s[8:9], s[22:23]
	s_delay_alu instid0(SALU_CYCLE_1) | instskip(NEXT) | instid1(SALU_CYCLE_1)
	s_add_co_i32 s8, s8, s11
	s_lshr_b32 s24, s8, s13
	s_delay_alu instid0(SALU_CYCLE_1) | instskip(NEXT) | instid1(SALU_CYCLE_1)
	s_lshl_b32 s8, s24, 5
	s_add_co_i32 s8, s8, s15
	s_delay_alu instid0(SALU_CYCLE_1) | instskip(SKIP_2) | instid1(SALU_CYCLE_1)
	s_cmp_lt_i32 s8, s4
	s_cselect_b32 s8, -1, 0
	s_add_co_i32 s25, s25, s3
	s_cmp_lt_i32 s25, s6
	s_cselect_b32 s9, -1, 0
	s_delay_alu instid0(SALU_CYCLE_1) | instskip(NEXT) | instid1(SALU_CYCLE_1)
	s_and_b32 s8, s8, s9
	s_and_not1_b32 vcc_lo, exec_lo, s8
	s_cbranch_vccnz .LBB58_24
; %bb.8:
	s_load_b128 s[8:11], s[0:1], 0x0
	s_wait_xcnt 0x0
	s_mul_i32 s0, s7, s4
	s_mul_i32 s21, s21, s6
	s_add_co_i32 s0, s0, s15
	s_add_co_i32 s1, s25, s21
	s_mul_i32 s0, s0, s5
	s_mul_i32 s4, s5, s24
	s_add_co_i32 s0, s1, s0
	s_mulk_i32 s4, 0x900
	s_mulk_i32 s0, 0x48
	s_add_co_i32 s15, s15, s3
	v_add3_u32 v2, s4, s0, v0
	s_add_nc_u64 s[0:1], s[16:17], 0
	v_cvt_f32_u32_e32 v4, s16
	s_xor_b64 s[6:7], s[0:1], 0
	s_lshl_b32 s0, s2, 5
	s_cvt_f32_u32 s3, s6
	s_cvt_f32_u32 s4, s7
	s_add_co_i32 s0, s0, s15
	v_rcp_iflag_f32_e32 v4, v4
	s_wait_kmcnt 0x0
	global_load_b32 v1, v2, s[8:9] scale_offset
	s_fmamk_f32 s3, s4, 0x4f800000, s3
	s_ashr_i32 s1, s0, 31
	s_lshl_b32 s24, s16, 7
	s_lshl_b64 s[0:1], s[0:1], 3
	v_s_rcp_f32 s3, s3
	s_add_nc_u64 s[0:1], s[10:11], s[0:1]
	s_mov_b32 s25, 0
	s_load_b64 s[28:29], s[0:1], 0x0
	v_mad_u32 v6, 0x48, s15, v0
	v_dual_mul_f32 v4, 0x4f7ffffe, v4 :: v_dual_ashrrev_i32 v3, 31, v2
	s_wait_xcnt 0x0
	s_lshl_b64 s[0:1], s[24:25], 2
	s_mul_f32 s3, s3, 0x5f7ffffc
	s_add_nc_u64 s[26:27], s[10:11], s[0:1]
	v_lshl_add_u64 v[2:3], v[2:3], 2, s[8:9]
	v_cvt_u32_f32_e32 v7, v4
	s_mul_f32 s4, s3, 0x2f800000
	s_mov_b64 s[8:9], 0xffffffff
	s_add_co_i32 s36, s2, -1
	s_sub_nc_u64 s[34:35], 0, s[6:7]
	s_trunc_f32 s4, s4
	s_delay_alu instid0(SALU_CYCLE_3)
	s_fmamk_f32 s0, s4, 0xcf800000, s3
	s_cvt_u32_f32 s31, s4
	s_wait_kmcnt 0x0
	v_mov_b32_e32 v0, s29
	s_cvt_u32_f32 s30, s0
.LBB58_9:                               ; =>This Inner Loop Header: Depth=1
	s_ashr_i32 s37, s36, 31
                                        ; implicit-def: $sgpr40_sgpr41
	s_delay_alu instid0(SALU_CYCLE_1) | instskip(NEXT) | instid1(SALU_CYCLE_1)
	s_mul_u64 s[0:1], s[36:37], s[18:19]
	s_and_b64 s[2:3], s[0:1], 0xffffffff00000000
	s_delay_alu instid0(SALU_CYCLE_1)
	s_cmp_lg_u64 s[2:3], 0
	s_mov_b32 s2, -1
	s_cbranch_scc0 .LBB58_11
; %bb.10:                               ;   in Loop: Header=BB58_9 Depth=1
	s_mul_u64 s[2:3], s[34:35], s[30:31]
	s_delay_alu instid0(SALU_CYCLE_1)
	s_mul_hi_u32 s5, s30, s3
	s_mul_i32 s4, s30, s3
	s_mul_hi_u32 s24, s30, s2
	s_mul_hi_u32 s17, s31, s2
	s_add_nc_u64 s[4:5], s[24:25], s[4:5]
	s_mul_i32 s2, s31, s2
	s_mul_hi_u32 s21, s31, s3
	s_add_co_u32 s2, s4, s2
	s_add_co_ci_u32 s24, s5, s17
	s_add_co_ci_u32 s5, s21, 0
	s_mul_i32 s4, s31, s3
	s_delay_alu instid0(SALU_CYCLE_1) | instskip(NEXT) | instid1(SALU_CYCLE_1)
	s_add_nc_u64 s[2:3], s[24:25], s[4:5]
	s_add_co_u32 s2, s30, s2
	s_cselect_b32 s4, -1, 0
	s_delay_alu instid0(SALU_CYCLE_1) | instskip(SKIP_1) | instid1(SALU_CYCLE_1)
	s_cmp_lg_u32 s4, 0
	s_add_co_ci_u32 s3, s31, s3
	s_mul_u64 s[4:5], s[34:35], s[2:3]
	s_delay_alu instid0(SALU_CYCLE_1)
	s_mul_hi_u32 s39, s2, s5
	s_mul_i32 s38, s2, s5
	s_mul_hi_u32 s24, s2, s4
	s_mul_hi_u32 s17, s3, s4
	s_mul_i32 s4, s3, s4
	s_add_nc_u64 s[38:39], s[24:25], s[38:39]
	s_mul_hi_u32 s21, s3, s5
	s_add_co_u32 s4, s38, s4
	s_add_co_ci_u32 s24, s39, s17
	s_mul_i32 s4, s3, s5
	s_add_co_ci_u32 s5, s21, 0
	s_delay_alu instid0(SALU_CYCLE_1) | instskip(NEXT) | instid1(SALU_CYCLE_1)
	s_add_nc_u64 s[4:5], s[24:25], s[4:5]
	s_add_co_u32 s17, s2, s4
	s_cselect_b32 s2, -1, 0
	s_delay_alu instid0(SALU_CYCLE_1) | instskip(SKIP_2) | instid1(SALU_CYCLE_1)
	s_cmp_lg_u32 s2, 0
	s_add_co_ci_u32 s21, s3, s5
	s_ashr_i32 s2, s1, 31
	s_mov_b32 s3, s2
	s_delay_alu instid0(SALU_CYCLE_1) | instskip(NEXT) | instid1(SALU_CYCLE_1)
	s_add_nc_u64 s[4:5], s[0:1], s[2:3]
	s_xor_b64 s[4:5], s[4:5], s[2:3]
	s_delay_alu instid0(SALU_CYCLE_1)
	s_mul_hi_u32 s39, s4, s21
	s_mul_i32 s38, s4, s21
	s_mul_hi_u32 s24, s4, s17
	s_mul_hi_u32 s29, s5, s17
	s_mul_i32 s17, s5, s17
	s_add_nc_u64 s[38:39], s[24:25], s[38:39]
	s_mul_hi_u32 s1, s5, s21
	s_add_co_u32 s17, s38, s17
	s_add_co_ci_u32 s24, s39, s29
	s_mul_i32 s40, s5, s21
	s_add_co_ci_u32 s41, s1, 0
	s_delay_alu instid0(SALU_CYCLE_1) | instskip(NEXT) | instid1(SALU_CYCLE_1)
	s_add_nc_u64 s[38:39], s[24:25], s[40:41]
	s_and_b64 s[40:41], s[38:39], 0xffffffff00000000
	s_delay_alu instid0(SALU_CYCLE_1) | instskip(NEXT) | instid1(SALU_CYCLE_1)
	s_or_b32 s40, s40, s38
	s_mul_u64 s[38:39], s[6:7], s[40:41]
	s_add_nc_u64 s[42:43], s[40:41], 1
	s_sub_co_u32 s1, s4, s38
	s_cselect_b32 s4, -1, 0
	s_sub_co_i32 s17, s5, s39
	s_cmp_lg_u32 s4, 0
	s_add_nc_u64 s[44:45], s[40:41], 2
	s_sub_co_ci_u32 s17, s17, s7
	s_sub_co_u32 s21, s1, s6
	s_cselect_b32 s24, -1, 0
	s_delay_alu instid0(SALU_CYCLE_1) | instskip(SKIP_1) | instid1(SALU_CYCLE_1)
	s_cmp_lg_u32 s24, 0
	s_sub_co_ci_u32 s17, s17, 0
	s_cmp_ge_u32 s17, s7
	s_cselect_b32 s24, -1, 0
	s_cmp_ge_u32 s21, s6
	s_cselect_b32 s21, -1, 0
	s_cmp_eq_u32 s17, s7
	s_cselect_b32 s17, s21, s24
	s_delay_alu instid0(SALU_CYCLE_1) | instskip(SKIP_4) | instid1(SALU_CYCLE_1)
	s_cmp_lg_u32 s17, 0
	s_cselect_b32 s17, s44, s42
	s_cselect_b32 s21, s45, s43
	s_cmp_lg_u32 s4, 0
	s_sub_co_ci_u32 s4, s5, s39
	s_cmp_ge_u32 s4, s7
	s_cselect_b32 s5, -1, 0
	s_cmp_ge_u32 s1, s6
	s_cselect_b32 s1, -1, 0
	s_cmp_eq_u32 s4, s7
	s_cselect_b32 s1, s1, s5
	s_delay_alu instid0(SALU_CYCLE_1) | instskip(SKIP_3) | instid1(SALU_CYCLE_1)
	s_cmp_lg_u32 s1, 0
	s_cselect_b32 s5, s21, s41
	s_cselect_b32 s4, s17, s40
	s_xor_b64 s[2:3], s[2:3], 0
	s_xor_b64 s[4:5], s[4:5], s[2:3]
	s_delay_alu instid0(SALU_CYCLE_1)
	s_sub_nc_u64 s[40:41], s[4:5], s[2:3]
	s_mov_b32 s2, 0
.LBB58_11:                              ;   in Loop: Header=BB58_9 Depth=1
	s_delay_alu instid0(SALU_CYCLE_1)
	s_and_not1_b32 vcc_lo, exec_lo, s2
	s_cbranch_vccnz .LBB58_13
; %bb.12:                               ;   in Loop: Header=BB58_9 Depth=1
	v_readfirstlane_b32 s1, v7
	s_sub_co_i32 s2, 0, s16
	s_delay_alu instid0(SALU_CYCLE_1) | instskip(NEXT) | instid1(SALU_CYCLE_1)
	s_mul_i32 s2, s2, s1
	s_mul_hi_u32 s2, s1, s2
	s_delay_alu instid0(SALU_CYCLE_1) | instskip(NEXT) | instid1(SALU_CYCLE_1)
	s_add_co_i32 s1, s1, s2
	s_mul_hi_u32 s1, s0, s1
	s_delay_alu instid0(SALU_CYCLE_1) | instskip(NEXT) | instid1(SALU_CYCLE_1)
	s_mul_i32 s2, s1, s16
	s_sub_co_i32 s0, s0, s2
	s_add_co_i32 s2, s1, 1
	s_sub_co_i32 s3, s0, s16
	s_cmp_ge_u32 s0, s16
	s_cselect_b32 s1, s2, s1
	s_cselect_b32 s0, s3, s0
	s_add_co_i32 s2, s1, 1
	s_cmp_ge_u32 s0, s16
	s_cselect_b32 s24, s2, s1
	s_delay_alu instid0(SALU_CYCLE_1)
	s_mov_b64 s[40:41], s[24:25]
.LBB58_13:                              ;   in Loop: Header=BB58_9 Depth=1
	s_delay_alu instid0(SALU_CYCLE_1)
	s_cmp_lg_u32 s20, s40
	s_mov_b32 s0, -1
                                        ; implicit-def: $vgpr4_vgpr5
                                        ; implicit-def: $sgpr24
                                        ; implicit-def: $sgpr17
                                        ; implicit-def: $sgpr21
                                        ; implicit-def: $sgpr29
	s_cbranch_scc0 .LBB58_18
; %bb.14:                               ;   in Loop: Header=BB58_9 Depth=1
	s_add_co_i32 s0, s36, s16
	v_max_num_f32_e64 v4, s28, s28
	s_lshl_b32 s0, s0, 5
	s_mov_b32 s29, s20
	s_add_co_i32 s0, s0, s15
	s_load_b64 s[38:39], s[10:11], s0 offset:0x0 scale_offset
	s_wait_xcnt 0x0
	v_readfirstlane_b32 s0, v4
	s_wait_kmcnt 0x0
	v_max_num_f32_e64 v5, s38, s38
	s_delay_alu instid0(VALU_DEP_1) | instskip(SKIP_1) | instid1(SALU_CYCLE_3)
	v_readfirstlane_b32 s1, v5
	s_max_num_f32 s17, s0, s1
	s_sub_f32 s33, s28, s17
	s_sub_f32 s37, s38, s17
	s_delay_alu instid0(SALU_CYCLE_2)
	s_cmp_nlt_f32 s33, 0xc2ce8ed0
	s_cselect_b32 s1, -1, 0
	s_cmp_ngt_f32 s33, 0x42b17218
	s_cselect_b32 s2, -1, 0
	s_cmp_ge_f32 s33, 0xc1a00000
	s_cselect_b32 s0, -1, 0
	s_cmp_nlt_f32 s37, 0xc2ce8ed0
	s_cselect_b32 s3, -1, 0
	s_cmp_ngt_f32 s37, 0x42b17218
	s_cselect_b32 s4, -1, 0
	s_cmp_ge_f32 s37, 0xc1a00000
	s_cselect_b32 s5, -1, 0
	s_and_b64 s[42:43], s[40:41], s[8:9]
	s_delay_alu instid0(SALU_CYCLE_1) | instskip(NEXT) | instid1(SALU_CYCLE_1)
	s_mul_u64 s[42:43], s[42:43], s[22:23]
	s_add_co_i32 s21, s43, s40
	s_delay_alu instid0(SALU_CYCLE_1) | instskip(NEXT) | instid1(SALU_CYCLE_1)
	s_lshr_b32 s21, s21, s13
	s_mul_i32 s24, s21, s14
	s_delay_alu instid0(SALU_CYCLE_1) | instskip(SKIP_3) | instid1(SALU_CYCLE_1)
	s_cmp_eq_u32 s24, s40
	s_cselect_b32 s24, -1, 0
	s_cmp_lt_u32 s21, s12
	s_cselect_b32 s21, -1, 0
	s_or_b32 s21, s21, s24
	s_mov_b32 s24, -1
	s_and_b32 vcc_lo, exec_lo, s21
	s_mov_b32 s21, s36
	s_cbranch_vccnz .LBB58_16
; %bb.15:                               ;   in Loop: Header=BB58_9 Depth=1
	s_add_co_i32 s21, s36, -1
	s_mov_b32 s24, 0
	s_mov_b32 s29, s40
.LBB58_16:                              ;   in Loop: Header=BB58_9 Depth=1
	v_mad_u32 v4, 0x900, s36, v6
	s_mul_f32 s40, s33, 0x3fb8aa3b
	s_mul_f32 s38, s37, 0x3fb8aa3b
	s_delay_alu instid0(SALU_CYCLE_2)
	s_xor_b32 s42, s40, 0x80000000
	s_rndne_f32 s44, s40
	s_fmamk_f32 s42, s33, 0x3fb8aa3b, s42
	s_xor_b32 s41, s38, 0x80000000
	s_rndne_f32 s43, s38
	s_sub_f32 s40, s40, s44
	global_load_b32 v5, v4, s[26:27] scale_offset
	s_fmamk_f32 s33, s33, 0x32a5705f, s42
	s_fmamk_f32 s41, s37, 0x3fb8aa3b, s41
	s_sub_f32 s38, s38, s43
	s_delay_alu instid0(SALU_CYCLE_1) | instskip(NEXT) | instid1(SALU_CYCLE_1)
	s_add_f32 s33, s40, s33
	s_fmamk_f32 s37, s37, 0x32a5705f, s41
	s_cvt_i32_f32 s40, s44
	s_delay_alu instid0(SALU_CYCLE_1) | instskip(NEXT) | instid1(SALU_CYCLE_1)
	v_s_exp_f32 s33, s33
	s_add_f32 s37, s38, s37
	s_cvt_i32_f32 s38, s43
	s_delay_alu instid0(SALU_CYCLE_2) | instskip(NEXT) | instid1(TRANS32_DEP_2)
	v_s_exp_f32 s37, s37
	v_ldexp_f32 v8, s33, s40
	s_wait_xcnt 0x0
	s_delay_alu instid0(TRANS32_DEP_1) | instskip(NEXT) | instid1(VALU_DEP_2)
	v_ldexp_f32 v4, s37, s38
	v_cndmask_b32_e64 v8, 0, v8, s1
	s_delay_alu instid0(VALU_DEP_1) | instskip(NEXT) | instid1(VALU_DEP_1)
	v_cndmask_b32_e64 v9, 0x7f800000, v8, s2
	v_dual_cndmask_b32 v4, 0, v4, s3 :: v_dual_cndmask_b32 v10, 0, v9, s0
	s_delay_alu instid0(VALU_DEP_1) | instskip(NEXT) | instid1(VALU_DEP_1)
	v_cndmask_b32_e64 v4, 0x7f800000, v4, s4
	v_dual_cndmask_b32 v8, 0, v4, s5 :: v_dual_mov_b32 v4, s39
	s_wait_loadcnt 0x0
	s_delay_alu instid0(VALU_DEP_1) | instskip(NEXT) | instid1(VALU_DEP_1)
	v_pk_mul_f32 v[4:5], v[4:5], v[8:9] op_sel_hi:[1,0]
	v_pk_fma_f32 v[4:5], v[0:1], v[10:11], v[4:5] op_sel_hi:[1,0,1]
	s_cbranch_execz .LBB58_19
.LBB58_17:                              ;   in Loop: Header=BB58_9 Depth=1
	s_and_not1_b32 vcc_lo, exec_lo, s24
	s_cbranch_vccnz .LBB58_20
	s_branch .LBB58_23
.LBB58_18:                              ;   in Loop: Header=BB58_9 Depth=1
	s_and_not1_b32 vcc_lo, exec_lo, s0
	s_cbranch_vccnz .LBB58_17
.LBB58_19:                              ;   in Loop: Header=BB58_9 Depth=1
	s_wait_loadcnt 0x0
	v_mov_b64_e32 v[4:5], v[0:1]
	s_add_co_i32 s21, s36, -1
	s_mov_b32 s29, s20
	s_mov_b32 s17, s28
	s_cbranch_execz .LBB58_23
.LBB58_20:                              ;   in Loop: Header=BB58_9 Depth=1
	s_wait_loadcnt 0x0
	s_delay_alu instid0(VALU_DEP_1)
	v_mov_b64_e32 v[0:1], v[4:5]
	s_mov_b32 s20, s29
	s_mov_b32 s36, s21
	;; [unrolled: 1-line block ×3, first 2 shown]
	s_branch .LBB58_9
.LBB58_21:
                                        ; implicit-def: $sgpr20_sgpr21
	s_branch .LBB58_2
.LBB58_22:
                                        ; implicit-def: $sgpr24_sgpr25
	s_load_b96 s[12:14], s[0:1], 0x44
	s_branch .LBB58_5
.LBB58_23:
	s_delay_alu instid0(VALU_DEP_1) | instskip(SKIP_1) | instid1(VALU_DEP_1)
	v_div_scale_f32 v0, null, v4, v4, v5
	s_wait_loadcnt 0x0
	v_rcp_f32_e32 v1, v0
	v_nop
	s_delay_alu instid0(TRANS32_DEP_1) | instskip(NEXT) | instid1(VALU_DEP_1)
	v_fma_f32 v6, -v0, v1, 1.0
	v_fmac_f32_e32 v1, v6, v1
	v_div_scale_f32 v6, vcc_lo, v5, v4, v5
	s_delay_alu instid0(VALU_DEP_1) | instskip(NEXT) | instid1(VALU_DEP_1)
	v_mul_f32_e32 v7, v6, v1
	v_fma_f32 v8, -v0, v7, v6
	s_delay_alu instid0(VALU_DEP_1) | instskip(NEXT) | instid1(VALU_DEP_1)
	v_fmac_f32_e32 v7, v8, v1
	v_fma_f32 v0, -v0, v7, v6
	s_delay_alu instid0(VALU_DEP_1) | instskip(NEXT) | instid1(VALU_DEP_1)
	v_div_fmas_f32 v0, v0, v1, v7
	v_div_fixup_f32 v0, v0, v4, v5
	global_store_b32 v[2:3], v0, off
.LBB58_24:
	s_endpgm
	.section	.rodata,"a",@progbits
	.p2align	6, 0x0
	.amdhsa_kernel _ZL33flash_attn_stream_k_fixup_generalILi72ELi32ELi1EEvPfPK15HIP_vector_typeIfLj2EEiiiiS1_IjLj3EES5_S5_S5_
		.amdhsa_group_segment_fixed_size 0
		.amdhsa_private_segment_fixed_size 0
		.amdhsa_kernarg_size 336
		.amdhsa_user_sgpr_count 2
		.amdhsa_user_sgpr_dispatch_ptr 0
		.amdhsa_user_sgpr_queue_ptr 0
		.amdhsa_user_sgpr_kernarg_segment_ptr 1
		.amdhsa_user_sgpr_dispatch_id 0
		.amdhsa_user_sgpr_kernarg_preload_length 0
		.amdhsa_user_sgpr_kernarg_preload_offset 0
		.amdhsa_user_sgpr_private_segment_size 0
		.amdhsa_wavefront_size32 1
		.amdhsa_uses_dynamic_stack 0
		.amdhsa_enable_private_segment 0
		.amdhsa_system_sgpr_workgroup_id_x 1
		.amdhsa_system_sgpr_workgroup_id_y 1
		.amdhsa_system_sgpr_workgroup_id_z 1
		.amdhsa_system_sgpr_workgroup_info 0
		.amdhsa_system_vgpr_workitem_id 0
		.amdhsa_next_free_vgpr 12
		.amdhsa_next_free_sgpr 46
		.amdhsa_named_barrier_count 0
		.amdhsa_reserve_vcc 1
		.amdhsa_float_round_mode_32 0
		.amdhsa_float_round_mode_16_64 0
		.amdhsa_float_denorm_mode_32 3
		.amdhsa_float_denorm_mode_16_64 3
		.amdhsa_fp16_overflow 0
		.amdhsa_memory_ordered 1
		.amdhsa_forward_progress 1
		.amdhsa_inst_pref_size 27
		.amdhsa_round_robin_scheduling 0
		.amdhsa_exception_fp_ieee_invalid_op 0
		.amdhsa_exception_fp_denorm_src 0
		.amdhsa_exception_fp_ieee_div_zero 0
		.amdhsa_exception_fp_ieee_overflow 0
		.amdhsa_exception_fp_ieee_underflow 0
		.amdhsa_exception_fp_ieee_inexact 0
		.amdhsa_exception_int_div_zero 0
	.end_amdhsa_kernel
	.section	.text._ZL33flash_attn_stream_k_fixup_generalILi72ELi32ELi1EEvPfPK15HIP_vector_typeIfLj2EEiiiiS1_IjLj3EES5_S5_S5_,"axG",@progbits,_ZL33flash_attn_stream_k_fixup_generalILi72ELi32ELi1EEvPfPK15HIP_vector_typeIfLj2EEiiiiS1_IjLj3EES5_S5_S5_,comdat
.Lfunc_end58:
	.size	_ZL33flash_attn_stream_k_fixup_generalILi72ELi32ELi1EEvPfPK15HIP_vector_typeIfLj2EEiiiiS1_IjLj3EES5_S5_S5_, .Lfunc_end58-_ZL33flash_attn_stream_k_fixup_generalILi72ELi32ELi1EEvPfPK15HIP_vector_typeIfLj2EEiiiiS1_IjLj3EES5_S5_S5_
                                        ; -- End function
	.set _ZL33flash_attn_stream_k_fixup_generalILi72ELi32ELi1EEvPfPK15HIP_vector_typeIfLj2EEiiiiS1_IjLj3EES5_S5_S5_.num_vgpr, 12
	.set _ZL33flash_attn_stream_k_fixup_generalILi72ELi32ELi1EEvPfPK15HIP_vector_typeIfLj2EEiiiiS1_IjLj3EES5_S5_S5_.num_agpr, 0
	.set _ZL33flash_attn_stream_k_fixup_generalILi72ELi32ELi1EEvPfPK15HIP_vector_typeIfLj2EEiiiiS1_IjLj3EES5_S5_S5_.numbered_sgpr, 46
	.set _ZL33flash_attn_stream_k_fixup_generalILi72ELi32ELi1EEvPfPK15HIP_vector_typeIfLj2EEiiiiS1_IjLj3EES5_S5_S5_.num_named_barrier, 0
	.set _ZL33flash_attn_stream_k_fixup_generalILi72ELi32ELi1EEvPfPK15HIP_vector_typeIfLj2EEiiiiS1_IjLj3EES5_S5_S5_.private_seg_size, 0
	.set _ZL33flash_attn_stream_k_fixup_generalILi72ELi32ELi1EEvPfPK15HIP_vector_typeIfLj2EEiiiiS1_IjLj3EES5_S5_S5_.uses_vcc, 1
	.set _ZL33flash_attn_stream_k_fixup_generalILi72ELi32ELi1EEvPfPK15HIP_vector_typeIfLj2EEiiiiS1_IjLj3EES5_S5_S5_.uses_flat_scratch, 0
	.set _ZL33flash_attn_stream_k_fixup_generalILi72ELi32ELi1EEvPfPK15HIP_vector_typeIfLj2EEiiiiS1_IjLj3EES5_S5_S5_.has_dyn_sized_stack, 0
	.set _ZL33flash_attn_stream_k_fixup_generalILi72ELi32ELi1EEvPfPK15HIP_vector_typeIfLj2EEiiiiS1_IjLj3EES5_S5_S5_.has_recursion, 0
	.set _ZL33flash_attn_stream_k_fixup_generalILi72ELi32ELi1EEvPfPK15HIP_vector_typeIfLj2EEiiiiS1_IjLj3EES5_S5_S5_.has_indirect_call, 0
	.section	.AMDGPU.csdata,"",@progbits
; Kernel info:
; codeLenInByte = 3344
; TotalNumSgprs: 48
; NumVgprs: 12
; ScratchSize: 0
; MemoryBound: 0
; FloatMode: 240
; IeeeMode: 1
; LDSByteSize: 0 bytes/workgroup (compile time only)
; SGPRBlocks: 0
; VGPRBlocks: 0
; NumSGPRsForWavesPerEU: 48
; NumVGPRsForWavesPerEU: 12
; NamedBarCnt: 0
; Occupancy: 16
; WaveLimiterHint : 0
; COMPUTE_PGM_RSRC2:SCRATCH_EN: 0
; COMPUTE_PGM_RSRC2:USER_SGPR: 2
; COMPUTE_PGM_RSRC2:TRAP_HANDLER: 0
; COMPUTE_PGM_RSRC2:TGID_X_EN: 1
; COMPUTE_PGM_RSRC2:TGID_Y_EN: 1
; COMPUTE_PGM_RSRC2:TGID_Z_EN: 1
; COMPUTE_PGM_RSRC2:TIDIG_COMP_CNT: 0
	.section	.text._ZL15flash_attn_tileILi72ELi72ELi16ELi1ELb0EEvPKcS1_S1_S1_S1_PKiPfP15HIP_vector_typeIfLj2EEffffjfiS5_IjLj3EEiiiiiiiiiiiliiliiiiil,"axG",@progbits,_ZL15flash_attn_tileILi72ELi72ELi16ELi1ELb0EEvPKcS1_S1_S1_S1_PKiPfP15HIP_vector_typeIfLj2EEffffjfiS5_IjLj3EEiiiiiiiiiiiliiliiiiil,comdat
	.globl	_ZL15flash_attn_tileILi72ELi72ELi16ELi1ELb0EEvPKcS1_S1_S1_S1_PKiPfP15HIP_vector_typeIfLj2EEffffjfiS5_IjLj3EEiiiiiiiiiiiliiliiiiil ; -- Begin function _ZL15flash_attn_tileILi72ELi72ELi16ELi1ELb0EEvPKcS1_S1_S1_S1_PKiPfP15HIP_vector_typeIfLj2EEffffjfiS5_IjLj3EEiiiiiiiiiiiliiliiiiil
	.p2align	8
	.type	_ZL15flash_attn_tileILi72ELi72ELi16ELi1ELb0EEvPKcS1_S1_S1_S1_PKiPfP15HIP_vector_typeIfLj2EEffffjfiS5_IjLj3EEiiiiiiiiiiiliiliiiiil,@function
_ZL15flash_attn_tileILi72ELi72ELi16ELi1ELb0EEvPKcS1_S1_S1_S1_PKiPfP15HIP_vector_typeIfLj2EEffffjfiS5_IjLj3EEiiiiiiiiiiiliiliiiiil: ; @_ZL15flash_attn_tileILi72ELi72ELi16ELi1ELb0EEvPKcS1_S1_S1_S1_PKiPfP15HIP_vector_typeIfLj2EEffffjfiS5_IjLj3EEiiiiiiiiiiiliiliiiiil
; %bb.0:
	s_clause 0x1
	s_load_b128 s[20:23], s[0:1], 0x5c
	s_load_b64 s[38:39], s[0:1], 0x80
	s_bfe_u32 s4, ttmp6, 0x40014
	s_lshr_b32 s3, ttmp7, 16
	s_add_co_i32 s4, s4, 1
	s_bfe_u32 s5, ttmp6, 0x40008
	s_mul_i32 s4, s3, s4
	s_getreg_b32 s42, hwreg(HW_REG_IB_STS2, 6, 4)
	s_add_co_i32 s5, s5, s4
	s_mov_b32 s41, 0
	s_mov_b64 s[36:37], 0
	s_wait_kmcnt 0x0
	s_cvt_f32_u32 s2, s23
	s_sub_co_i32 s6, 0, s23
	s_delay_alu instid0(SALU_CYCLE_2) | instskip(SKIP_1) | instid1(TRANS32_DEP_1)
	v_rcp_iflag_f32_e32 v1, s2
	v_nop
	v_readfirstlane_b32 s2, v1
	s_mul_f32 s2, s2, 0x4f7ffffe
	s_delay_alu instid0(SALU_CYCLE_3) | instskip(NEXT) | instid1(SALU_CYCLE_3)
	s_cvt_u32_f32 s2, s2
	s_mul_i32 s6, s6, s2
	s_delay_alu instid0(SALU_CYCLE_1) | instskip(NEXT) | instid1(SALU_CYCLE_1)
	s_mul_hi_u32 s6, s2, s6
	s_add_co_i32 s2, s2, s6
	s_cmp_eq_u32 s42, 0
	s_cselect_b32 s28, s3, s5
	s_delay_alu instid0(SALU_CYCLE_1) | instskip(NEXT) | instid1(SALU_CYCLE_1)
	s_mul_hi_u32 s2, s28, s2
	s_mul_i32 s3, s2, s23
	s_add_co_i32 s4, s2, 1
	s_sub_co_i32 s3, s28, s3
	s_delay_alu instid0(SALU_CYCLE_1)
	s_sub_co_i32 s5, s3, s23
	s_cmp_ge_u32 s3, s23
	s_cselect_b32 s2, s4, s2
	s_cselect_b32 s3, s5, s3
	s_add_co_i32 s4, s2, 1
	s_cmp_ge_u32 s3, s23
	s_cselect_b32 s34, s4, s2
	s_abs_i32 s2, s39
	s_abs_i32 s5, s23
	s_cvt_f32_u32 s3, s2
	s_sub_co_i32 s4, 0, s2
	s_mul_i32 s29, s34, s23
	s_delay_alu instid0(SALU_CYCLE_1) | instskip(SKIP_1) | instid1(TRANS32_DEP_1)
	v_rcp_iflag_f32_e32 v1, s3
	v_nop
	v_readfirstlane_b32 s3, v1
	s_mul_f32 s3, s3, 0x4f7ffffe
	s_delay_alu instid0(SALU_CYCLE_3) | instskip(NEXT) | instid1(SALU_CYCLE_3)
	s_cvt_u32_f32 s3, s3
	s_mul_i32 s4, s4, s3
	s_delay_alu instid0(SALU_CYCLE_1) | instskip(NEXT) | instid1(SALU_CYCLE_1)
	s_mul_hi_u32 s4, s3, s4
	s_add_co_i32 s3, s3, s4
	s_xor_b32 s4, s23, s39
	s_mul_hi_u32 s3, s5, s3
	s_ashr_i32 s4, s4, 31
	s_mul_i32 s6, s3, s2
	s_delay_alu instid0(SALU_CYCLE_1)
	s_sub_co_i32 s5, s5, s6
	s_add_co_i32 s6, s3, 1
	s_sub_co_i32 s7, s5, s2
	s_cmp_ge_u32 s5, s2
	s_cselect_b32 s3, s6, s3
	s_cselect_b32 s5, s7, s5
	s_add_co_i32 s6, s3, 1
	s_cmp_ge_u32 s5, s2
	s_cselect_b32 s2, s6, s3
	s_delay_alu instid0(SALU_CYCLE_1) | instskip(NEXT) | instid1(SALU_CYCLE_1)
	s_xor_b32 s2, s2, s4
	s_sub_co_i32 s35, s2, s4
	s_load_b512 s[4:19], s[0:1], 0x0
	s_abs_i32 s39, s35
	s_delay_alu instid0(SALU_CYCLE_1) | instskip(SKIP_1) | instid1(SALU_CYCLE_2)
	s_cvt_f32_u32 s2, s39
	s_sub_co_i32 s30, 0, s39
	v_rcp_iflag_f32_e32 v1, s2
	s_load_b64 s[2:3], s[0:1], 0xb8
	v_nop
	s_delay_alu instid0(TRANS32_DEP_1) | instskip(SKIP_3) | instid1(SALU_CYCLE_1)
	v_readfirstlane_b32 s24, v1
	s_mul_f32 s24, s24, 0x4f7ffffe
	s_wait_kmcnt 0x0
	s_cmp_eq_u64 s[10:11], 0
	s_cvt_u32_f32 s33, s24
	s_delay_alu instid0(SALU_CYCLE_3)
	s_mul_i32 s30, s30, s33
	s_cbranch_scc1 .LBB59_2
; %bb.1:
	s_abs_i32 s2, s2
	s_abs_i32 s26, s34
	s_cvt_f32_u32 s24, s2
	s_sub_co_i32 s25, 0, s2
	s_delay_alu instid0(SALU_CYCLE_2) | instskip(SKIP_1) | instid1(TRANS32_DEP_1)
	v_rcp_iflag_f32_e32 v1, s24
	v_nop
	v_readfirstlane_b32 s24, v1
	s_mul_f32 s24, s24, 0x4f7ffffe
	s_delay_alu instid0(SALU_CYCLE_3) | instskip(NEXT) | instid1(SALU_CYCLE_3)
	s_cvt_u32_f32 s24, s24
	s_mul_i32 s25, s25, s24
	s_delay_alu instid0(SALU_CYCLE_1) | instskip(NEXT) | instid1(SALU_CYCLE_1)
	s_mul_hi_u32 s25, s24, s25
	s_add_co_i32 s24, s24, s25
	s_delay_alu instid0(SALU_CYCLE_1) | instskip(SKIP_2) | instid1(SALU_CYCLE_1)
	s_mul_hi_u32 s27, s26, s24
	s_load_b64 s[24:25], s[0:1], 0xc8
	s_mul_i32 s27, s27, s2
	s_sub_co_i32 s26, s26, s27
	s_ashr_i32 s27, s34, 31
	s_sub_co_i32 s31, s26, s2
	s_cmp_ge_u32 s26, s2
	s_cselect_b32 s26, s31, s26
	s_delay_alu instid0(SALU_CYCLE_1) | instskip(SKIP_2) | instid1(SALU_CYCLE_1)
	s_sub_co_i32 s31, s26, s2
	s_cmp_ge_u32 s26, s2
	s_cselect_b32 s2, s31, s26
	s_xor_b32 s2, s2, s27
	s_delay_alu instid0(SALU_CYCLE_1) | instskip(NEXT) | instid1(SALU_CYCLE_1)
	s_sub_co_i32 s26, s2, s27
	s_ashr_i32 s27, s26, 31
	s_wait_kmcnt 0x0
	s_mul_u64 s[24:25], s[24:25], s[26:27]
	s_delay_alu instid0(SALU_CYCLE_1)
	s_add_nc_u64 s[36:37], s[10:11], s[24:25]
.LBB59_2:
	s_clause 0x1
	s_load_b128 s[24:27], s[0:1], 0x40
	s_load_b32 s10, s[0:1], 0x50
	s_sub_co_i32 s31, s28, s29
	v_mov_b32_e32 v32, 1.0
	s_mul_hi_u32 s2, s33, s30
	s_wait_kmcnt 0x0
	s_cmp_le_f32 s25, 0
	s_cbranch_scc1 .LBB59_4
; %bb.3:
	v_sub_co_u32 v1, s10, s31, s10
	s_and_b32 s25, s10, exec_lo
	s_cselect_b32 s25, s26, s27
	s_add_co_i32 s26, s31, 1
	v_readfirstlane_b32 s11, v1
	s_lshl_b32 s11, s11, 1
	s_delay_alu instid0(SALU_CYCLE_1) | instskip(SKIP_4) | instid1(SALU_CYCLE_3)
	s_or_b32 s11, s11, 1
	s_and_b32 s10, s10, exec_lo
	s_cselect_b32 s10, s26, s11
	s_cmp_neq_f32 s25, 1.0
	s_cvt_f32_i32 s10, s10
	s_cselect_b32 s11, s10, 1.0
	s_delay_alu instid0(SALU_CYCLE_1) | instskip(SKIP_1) | instid1(SALU_CYCLE_1)
	s_cmp_neq_f32 s11, 0
	s_cselect_b32 s10, s25, 1.0
	v_cvt_f64_f32_e64 v[2:3], |s10|
	s_delay_alu instid0(VALU_DEP_1) | instskip(SKIP_1) | instid1(VALU_DEP_1)
	v_frexp_exp_i32_f64_e32 v1, v[2:3]
	v_frexp_mant_f32_e64 v2, |s10|
	v_readfirstlane_b32 s25, v2
	s_cmp_lt_f32 s25, 0x3f2aaaab
	s_cselect_b32 vcc_lo, -1, 0
	s_delay_alu instid0(SALU_CYCLE_1) | instskip(SKIP_1) | instid1(SALU_CYCLE_1)
	s_and_b32 s26, vcc_lo, exec_lo
	s_cselect_b32 s26, 2.0, 1.0
	s_mul_f32 s25, s25, s26
	s_delay_alu instid0(SALU_CYCLE_3) | instskip(SKIP_1) | instid1(SALU_CYCLE_2)
	s_add_f32 s26, s25, 1.0
	s_add_f32 s28, s25, -1.0
	v_s_rcp_f32 s27, s26
	s_add_f32 s40, s26, -1.0
	v_subrev_co_ci_u32_e64 v1, null, 0, v1, vcc_lo
	s_delay_alu instid0(SALU_CYCLE_2) | instskip(NEXT) | instid1(TRANS32_DEP_1)
	s_sub_f32 s25, s25, s40
	s_mul_f32 s29, s28, s27
	v_cvt_f32_i32_e32 v1, v1
	s_delay_alu instid0(SALU_CYCLE_2) | instskip(NEXT) | instid1(SALU_CYCLE_3)
	s_mul_f32 s30, s26, s29
	v_dual_mov_b32 v3, s28 :: v_dual_mov_b32 v4, s30
	s_xor_b32 s43, s30, 0x80000000
	s_delay_alu instid0(SALU_CYCLE_1) | instskip(NEXT) | instid1(SALU_CYCLE_3)
	s_fmac_f32 s43, s29, s26
	s_fmac_f32 s43, s29, s25
	s_delay_alu instid0(SALU_CYCLE_3) | instskip(SKIP_2) | instid1(SALU_CYCLE_1)
	s_add_f32 s25, s30, s43
	v_mov_b32_e32 v6, s43
	s_mov_b32 s30, 0x3e76c4e1
	s_sub_f32 s26, s28, s25
	v_dual_mov_b32 v2, s25 :: v_dual_mov_b32 v7, s25
	s_delay_alu instid0(SALU_CYCLE_2) | instskip(NEXT) | instid1(VALU_DEP_1)
	v_mov_b32_e32 v5, s26
	v_pk_add_f32 v[2:3], v[2:3], v[4:5] neg_lo:[0,1] neg_hi:[0,1]
	s_delay_alu instid0(VALU_DEP_1) | instskip(NEXT) | instid1(VALU_DEP_1)
	v_pk_add_f32 v[2:3], v[2:3], v[6:7] neg_lo:[0,1] neg_hi:[0,1]
	v_readfirstlane_b32 s25, v3
	s_delay_alu instid0(VALU_DEP_2) | instskip(SKIP_1) | instid1(SALU_CYCLE_3)
	v_readfirstlane_b32 s28, v2
	s_add_f32 s25, s28, s25
	s_add_f32 s25, s26, s25
	s_delay_alu instid0(SALU_CYCLE_3) | instskip(NEXT) | instid1(SALU_CYCLE_3)
	s_mul_f32 s25, s27, s25
	s_add_f32 s26, s29, s25
	s_delay_alu instid0(SALU_CYCLE_3) | instskip(SKIP_1) | instid1(SALU_CYCLE_2)
	s_sub_f32 s27, s26, s29
	s_mul_f32 s29, s26, s26
	s_sub_f32 s25, s25, s27
	s_delay_alu instid0(SALU_CYCLE_2) | instskip(NEXT) | instid1(SALU_CYCLE_1)
	s_xor_b32 s27, s29, 0x80000000
	s_fmac_f32 s27, s26, s26
	s_delay_alu instid0(SALU_CYCLE_1) | instskip(NEXT) | instid1(SALU_CYCLE_3)
	s_add_f32 s28, s25, s25
	s_fmac_f32 s27, s26, s28
	s_delay_alu instid0(SALU_CYCLE_3) | instskip(NEXT) | instid1(SALU_CYCLE_3)
	s_add_f32 s28, s29, s27
	s_fmaak_f32 s30, s28, s30, 0x3e91f4c4
	s_sub_f32 s29, s28, s29
	s_delay_alu instid0(SALU_CYCLE_2) | instskip(NEXT) | instid1(SALU_CYCLE_2)
	s_fmaak_f32 s30, s28, s30, 0x3ecccdef
	s_sub_f32 s44, s27, s29
	s_delay_alu instid0(SALU_CYCLE_2) | instskip(NEXT) | instid1(SALU_CYCLE_3)
	s_mul_f32 s40, s28, s30
	s_xor_b32 s43, s40, 0x80000000
	s_delay_alu instid0(SALU_CYCLE_1) | instskip(NEXT) | instid1(SALU_CYCLE_3)
	s_fmac_f32 s43, s28, s30
	s_fmac_f32 s43, s44, s30
	s_delay_alu instid0(SALU_CYCLE_3) | instskip(NEXT) | instid1(SALU_CYCLE_3)
	s_add_f32 s29, s40, s43
	s_sub_f32 s27, s29, s40
	s_add_f32 s30, s29, 0x3f2aaaaa
	s_delay_alu instid0(SALU_CYCLE_2) | instskip(NEXT) | instid1(SALU_CYCLE_2)
	s_sub_f32 s27, s43, s27
	s_add_f32 s40, s30, 0xbf2aaaaa
	s_delay_alu instid0(SALU_CYCLE_2) | instskip(NEXT) | instid1(SALU_CYCLE_2)
	s_add_f32 s27, s27, 0x31739010
	s_sub_f32 s29, s29, s40
	s_delay_alu instid0(SALU_CYCLE_2) | instskip(NEXT) | instid1(SALU_CYCLE_2)
	v_mov_b64_e32 v[2:3], s[26:27]
	v_mov_b64_e32 v[4:5], s[28:29]
	s_delay_alu instid0(VALU_DEP_1) | instskip(SKIP_2) | instid1(VALU_DEP_3)
	v_pk_mul_f32 v[6:7], v[2:3], v[4:5]
	v_pk_add_f32 v[2:3], v[2:3], v[4:5]
	v_mov_b32_e32 v9, s30
	v_xor_b32_e32 v8, 0x80000000, v6
	s_delay_alu instid0(VALU_DEP_3) | instskip(NEXT) | instid1(VALU_DEP_2)
	v_mov_b32_e32 v7, v3
	v_fmac_f32_e64 v8, s28, s26
	s_delay_alu instid0(VALU_DEP_1) | instskip(NEXT) | instid1(VALU_DEP_1)
	v_fmac_f32_e64 v8, s28, s25
	v_fmac_f32_e64 v8, s44, s26
	s_delay_alu instid0(VALU_DEP_1) | instskip(NEXT) | instid1(VALU_DEP_1)
	v_pk_add_f32 v[4:5], v[6:7], v[8:9]
	v_dual_mov_b32 v2, v5 :: v_dual_sub_f32 v7, s30, v5
	v_mul_f32_e32 v12, 0x3f317218, v1
	s_delay_alu instid0(VALU_DEP_2) | instskip(NEXT) | instid1(VALU_DEP_3)
	v_pk_mul_f32 v[10:11], v[4:5], v[2:3]
	v_add_f32_e32 v3, v3, v7
	s_delay_alu instid0(VALU_DEP_3) | instskip(NEXT) | instid1(VALU_DEP_3)
	v_xor_b32_e32 v7, 0x80000000, v12
	v_xor_b32_e32 v2, 0x80000000, v10
	s_delay_alu instid0(VALU_DEP_2) | instskip(NEXT) | instid1(VALU_DEP_2)
	v_dual_sub_f32 v6, v4, v6 :: v_dual_fmac_f32 v7, 0x3f317218, v1
	v_fmac_f32_e32 v2, v4, v5
	s_delay_alu instid0(VALU_DEP_2) | instskip(NEXT) | instid1(VALU_DEP_2)
	v_sub_f32_e32 v6, v8, v6
	v_fmac_f32_e32 v2, v4, v3
	s_delay_alu instid0(VALU_DEP_1) | instskip(SKIP_3) | instid1(VALU_DEP_2)
	v_fmac_f32_e32 v2, v6, v5
	v_fmamk_f32 v4, v1, 0xb102e308, v7
	v_ldexp_f32 v5, s26, 1
	v_ldexp_f32 v1, s25, 1
	v_dual_add_f32 v13, v10, v2 :: v_dual_mov_b32 v11, v5
	s_delay_alu instid0(VALU_DEP_1) | instskip(SKIP_1) | instid1(VALU_DEP_2)
	v_pk_add_f32 v[6:7], v[12:13], v[4:5]
	v_dual_mov_b32 v8, v13 :: v_dual_mov_b32 v3, v13
	v_dual_mov_b32 v9, v7 :: v_dual_mov_b32 v5, v6
	v_mov_b32_e32 v14, v7
	s_delay_alu instid0(VALU_DEP_2) | instskip(NEXT) | instid1(VALU_DEP_1)
	v_pk_add_f32 v[8:9], v[8:9], v[10:11] neg_lo:[0,1] neg_hi:[0,1]
	v_pk_add_f32 v[2:3], v[2:3], v[8:9] neg_lo:[0,1] neg_hi:[0,1]
	s_delay_alu instid0(VALU_DEP_1) | instskip(NEXT) | instid1(VALU_DEP_1)
	v_add_f32_e32 v1, v1, v2
	v_add_f32_e32 v13, v1, v3
	s_delay_alu instid0(VALU_DEP_1) | instskip(SKIP_1) | instid1(VALU_DEP_2)
	v_pk_add_f32 v[2:3], v[6:7], v[12:13]
	v_pk_add_f32 v[8:9], v[6:7], v[12:13] neg_lo:[0,1] neg_hi:[0,1]
	v_mov_b32_e32 v9, v3
	s_delay_alu instid0(VALU_DEP_1) | instskip(SKIP_2) | instid1(VALU_DEP_3)
	v_pk_add_f32 v[10:11], v[4:5], v[8:9]
	v_pk_add_f32 v[4:5], v[4:5], v[8:9] neg_lo:[0,1] neg_hi:[0,1]
	v_dual_mov_b32 v16, v3 :: v_dual_mov_b32 v5, v6
	v_dual_mov_b32 v12, v11 :: v_dual_mov_b32 v17, v11
	s_delay_alu instid0(VALU_DEP_3) | instskip(NEXT) | instid1(VALU_DEP_2)
	v_readfirstlane_b32 s25, v4
	v_pk_add_f32 v[8:9], v[12:13], v[6:7] neg_lo:[0,1] neg_hi:[0,1]
	s_delay_alu instid0(VALU_DEP_2) | instskip(NEXT) | instid1(VALU_DEP_2)
	v_dual_mov_b32 v4, v13 :: v_dual_mov_b32 v10, s25
	v_dual_mov_b32 v15, v8 :: v_dual_mov_b32 v1, v8
	s_delay_alu instid0(VALU_DEP_1) | instskip(NEXT) | instid1(VALU_DEP_2)
	v_pk_add_f32 v[6:7], v[16:17], v[14:15] neg_lo:[0,1] neg_hi:[0,1]
	v_pk_add_f32 v[2:3], v[2:3], v[0:1] neg_lo:[0,1] neg_hi:[0,1]
	v_mov_b32_e32 v2, s25
	s_delay_alu instid0(VALU_DEP_3) | instskip(NEXT) | instid1(VALU_DEP_1)
	v_pk_add_f32 v[4:5], v[4:5], v[6:7] neg_lo:[0,1] neg_hi:[0,1]
	v_pk_add_f32 v[2:3], v[2:3], v[4:5]
	s_delay_alu instid0(VALU_DEP_1) | instskip(NEXT) | instid1(VALU_DEP_2)
	v_readfirstlane_b32 s26, v2
	v_mov_b32_e32 v6, v3
	s_delay_alu instid0(VALU_DEP_1) | instskip(NEXT) | instid1(VALU_DEP_3)
	v_pk_add_f32 v[6:7], v[2:3], v[6:7]
	v_mov_b32_e32 v2, s26
	s_delay_alu instid0(VALU_DEP_2) | instskip(SKIP_1) | instid1(VALU_DEP_2)
	v_pk_add_f32 v[8:9], v[12:13], v[6:7]
	v_mov_b32_e32 v5, v6
	v_readfirstlane_b32 s27, v8
	s_delay_alu instid0(VALU_DEP_1) | instskip(NEXT) | instid1(VALU_DEP_1)
	v_mov_b32_e32 v3, s27
	v_pk_add_f32 v[2:3], v[2:3], v[10:11] neg_lo:[0,1] neg_hi:[0,1]
	s_delay_alu instid0(VALU_DEP_1) | instskip(NEXT) | instid1(VALU_DEP_2)
	v_readfirstlane_b32 s28, v2
	v_pk_add_f32 v[2:3], v[4:5], v[2:3] neg_lo:[0,1] neg_hi:[0,1]
	s_sub_f32 s26, s26, s28
	s_delay_alu instid0(VALU_DEP_1) | instskip(NEXT) | instid1(SALU_CYCLE_2)
	v_readfirstlane_b32 s28, v2
	s_sub_f32 s25, s25, s26
	v_readfirstlane_b32 s26, v3
	s_delay_alu instid0(SALU_CYCLE_2) | instskip(NEXT) | instid1(SALU_CYCLE_3)
	s_add_f32 s25, s28, s25
	s_add_f32 s25, s25, s26
	s_delay_alu instid0(SALU_CYCLE_3) | instskip(NEXT) | instid1(SALU_CYCLE_3)
	s_add_f32 s26, s27, s25
	s_mul_f32 s28, s11, s26
	s_sub_f32 s27, s26, s27
	s_delay_alu instid0(SALU_CYCLE_2) | instskip(NEXT) | instid1(SALU_CYCLE_2)
	s_xor_b32 s29, s28, 0x80000000
	s_sub_f32 s25, s25, s27
	s_fmac_f32 s29, s11, s26
	s_delay_alu instid0(SALU_CYCLE_3) | instskip(SKIP_1) | instid1(SALU_CYCLE_2)
	s_fmac_f32 s29, s11, s25
	v_cmp_class_f32_e64 s25, s28, 0x204
	s_add_f32 s26, s28, s29
	s_and_b32 s25, s25, exec_lo
	s_delay_alu instid0(SALU_CYCLE_2) | instskip(SKIP_1) | instid1(SALU_CYCLE_1)
	s_sub_f32 s25, s26, s28
	s_cselect_b32 s26, s28, s26
	s_and_b32 s27, s26, 0x7fffffff
	s_delay_alu instid0(SALU_CYCLE_1) | instskip(SKIP_1) | instid1(SALU_CYCLE_2)
	s_sub_f32 s25, s29, s25
	s_cmp_neq_f32 s27, 0x7f800000
	s_cselect_b32 s25, s25, 0
	s_cmp_eq_f32 s26, 0x42b17218
	s_cselect_b32 s27, 0x37000000, 0
	s_delay_alu instid0(SALU_CYCLE_1) | instskip(SKIP_1) | instid1(SALU_CYCLE_2)
	s_sub_f32 s26, s26, s27
	s_add_f32 s25, s27, s25
	s_mul_f32 s28, s26, 0x3fb8aa3b
	s_delay_alu instid0(SALU_CYCLE_3) | instskip(SKIP_3) | instid1(SALU_CYCLE_1)
	s_xor_b32 s29, s28, 0x80000000
	s_rndne_f32 s30, s28
	s_fmamk_f32 s29, s26, 0x3fb8aa3b, s29
	s_cmp_nlt_f32 s26, 0xc2ce8ed0
	s_sub_f32 s28, s28, s30
	s_delay_alu instid0(SALU_CYCLE_1)
	s_fmamk_f32 s29, s26, 0x32a5705f, s29
	s_cselect_b32 vcc_lo, -1, 0
	s_cmp_ngt_f32 s26, 0x42b17218
	s_trunc_f32 s26, s11
	s_add_f32 s28, s28, s29
	s_cvt_i32_f32 s29, s30
	s_delay_alu instid0(SALU_CYCLE_2)
	v_s_exp_f32 s28, s28
	v_nop
	s_delay_alu instid0(TRANS32_DEP_1) | instid1(SALU_CYCLE_1)
	v_ldexp_f32 v1, s28, s29
	s_mul_f32 s28, s11, 0.5
	s_delay_alu instid0(VALU_DEP_1) | instskip(SKIP_3) | instid1(VALU_DEP_1)
	v_cndmask_b32_e32 v1, 0, v1, vcc_lo
	s_cselect_b32 vcc_lo, -1, 0
	s_cmp_eq_f32 s26, s11
	s_trunc_f32 s29, s28
	v_cndmask_b32_e32 v1, 0x7f800000, v1, vcc_lo
	s_cselect_b32 s30, -1, 0
	s_delay_alu instid0(SALU_CYCLE_1) | instskip(NEXT) | instid1(VALU_DEP_1)
	s_cmp_neq_f32 s29, s28
	v_fma_f32 v2, s25, v1, v1
	v_cmp_class_f32_e64 vcc_lo, v1, 0x204
	s_cselect_b32 s27, -1, 0
	s_delay_alu instid0(SALU_CYCLE_1)
	s_and_b32 s25, s30, s27
	v_cndmask_b32_e32 v1, v2, v1, vcc_lo
	s_and_b32 s27, s25, exec_lo
	s_cselect_b32 s27, s10, 1.0
	s_cmp_eq_f32 s26, s11
	v_cmp_class_f32_e64 s26, s10, 0x204
	v_bfi_b32 v1, 0x7fffffff, v1, s27
	s_cselect_b32 vcc_lo, -1, 0
	s_cmp_lt_f32 s10, 0
	s_delay_alu instid0(VALU_DEP_1) | instskip(SKIP_2) | instid1(VALU_DEP_1)
	v_cndmask_b32_e32 v2, 0x7fc00000, v1, vcc_lo
	s_cselect_b32 vcc_lo, -1, 0
	s_cmp_eq_f32 s10, 0
	v_cndmask_b32_e32 v1, v1, v2, vcc_lo
	s_cselect_b32 s27, -1, 0
	s_delay_alu instid0(SALU_CYCLE_1) | instskip(SKIP_2) | instid1(SALU_CYCLE_1)
	s_or_b32 vcc_lo, s27, s26
	s_cmp_lt_f32 s11, 0
	s_cselect_b32 s11, -1, 0
	s_xor_b32 s11, s11, s27
	s_delay_alu instid0(SALU_CYCLE_1)
	s_and_b32 s11, s11, exec_lo
	s_cselect_b32 s11, 0, 0x7f800000
	s_and_b32 s25, s25, exec_lo
	s_cselect_b32 s25, s10, 0
	s_cmp_o_f32 s10, s10
	v_mov_b32_e32 v2, s25
	s_delay_alu instid0(VALU_DEP_1) | instskip(NEXT) | instid1(VALU_DEP_1)
	v_bfi_b32 v2, 0x7fffffff, s11, v2
	v_cndmask_b32_e32 v1, v1, v2, vcc_lo
	s_cselect_b32 vcc_lo, -1, 0
	s_delay_alu instid0(VALU_DEP_1)
	v_cndmask_b32_e32 v32, 0x7fc00000, v1, vcc_lo
.LBB59_4:
	s_load_b96 s[28:30], s[0:1], 0x70
	s_bfe_u32 s10, ttmp6, 0x4000c
	s_add_co_i32 s26, s33, s2
	s_add_co_i32 s10, s10, 1
	s_and_b32 s2, ttmp6, 15
	s_mul_i32 s10, ttmp9, s10
	v_and_b32_e32 v22, 0x3ff, v0
	s_abs_i32 s40, s31
	s_add_co_i32 s2, s2, s10
	v_bfe_u32 v35, v0, 10, 10
	s_cmp_eq_u32 s42, 0
	v_dual_mov_b32 v9, 0 :: v_dual_lshlrev_b32 v8, 4, v22
	s_cselect_b32 s25, ttmp9, s2
	s_delay_alu instid0(VALU_DEP_2)
	v_dual_lshlrev_b32 v27, 3, v22 :: v_dual_lshlrev_b32 v24, 1, v35
	s_lshl_b32 s33, s25, 4
	v_cmp_gt_u32_e64 s2, 18, v22
	s_mov_b32 s11, 0
	v_add_nc_u32_e32 v2, 0x14e0, v27
	s_wait_kmcnt 0x0
	s_mul_i32 s44, s34, s30
	s_mul_i32 s46, s31, s29
	s_ashr_i32 s45, s44, 31
	s_ashr_i32 s47, s46, 31
	s_add_nc_u64 s[4:5], s[4:5], s[44:45]
	s_ashr_i32 s29, s28, 31
	s_add_nc_u64 s[4:5], s[4:5], s[46:47]
	s_mov_b32 s10, s20
	v_add_nc_u64_e32 v[0:1], s[4:5], v[8:9]
	v_add_nc_u32_e32 v8, s33, v24
	s_lshr_b64 s[4:5], s[28:29], 2
	s_and_saveexec_b32 s20, s2
	s_cbranch_execz .LBB59_6
; %bb.5:
	s_delay_alu instid0(VALU_DEP_1) | instskip(NEXT) | instid1(VALU_DEP_1)
	v_mul_u64_e32 v[4:5], s[10:11], v[8:9]
	v_dual_add_nc_u32 v3, v8, v5 :: v_dual_mov_b32 v5, v9
	s_delay_alu instid0(VALU_DEP_1) | instskip(NEXT) | instid1(VALU_DEP_1)
	v_lshrrev_b32_e32 v3, s21, v3
	v_mul_lo_u32 v3, v3, s22
	s_delay_alu instid0(VALU_DEP_1) | instskip(NEXT) | instid1(VALU_DEP_1)
	v_sub_nc_u32_e32 v4, v8, v3
	v_mul_u64_e32 v[4:5], s[4:5], v[4:5]
	s_delay_alu instid0(VALU_DEP_1) | instskip(SKIP_4) | instid1(VALU_DEP_2)
	v_lshl_add_u64 v[4:5], v[4:5], 2, v[0:1]
	global_load_b128 v[4:7], v[4:5], off
	s_wait_loadcnt 0x0
	v_fma_mixlo_f16 v3, s24, v4, 0
	v_mov_b32_e32 v4, v7
	v_and_b32_e32 v3, 0xffff, v3
	s_delay_alu instid0(VALU_DEP_2) | instskip(NEXT) | instid1(VALU_DEP_1)
	v_pk_mul_f32 v[4:5], s[24:25], v[4:5] op_sel_hi:[0,1]
	v_cvt_pk_f16_f32 v4, v4, v5
	v_fma_mixlo_f16 v5, s24, v6, 0
	s_delay_alu instid0(VALU_DEP_2) | instskip(NEXT) | instid1(VALU_DEP_2)
	v_and_b32_e32 v6, 0xffff0000, v4
	v_and_b32_e32 v5, 0xffff, v5
	s_delay_alu instid0(VALU_DEP_2) | instskip(SKIP_1) | instid1(VALU_DEP_2)
	v_dual_lshlrev_b32 v4, 16, v4 :: v_dual_bitop2_b32 v3, v6, v3 bitop3:0x54
	v_mad_u32_u24 v6, 0x120, v35, v2
	v_or3_b32 v5, v4, v5, 0
	s_delay_alu instid0(VALU_DEP_3)
	v_or3_b32 v4, 0, 0, v3
	ds_store_b64 v6, v[4:5]
.LBB59_6:
	s_or_b32 exec_lo, exec_lo, s20
	v_or_b32_e32 v23, 1, v24
	s_mov_b32 s27, s41
	s_delay_alu instid0(VALU_DEP_1)
	v_add_nc_u32_e32 v6, s33, v23
	s_and_saveexec_b32 s20, s2
	s_cbranch_execz .LBB59_8
; %bb.7:
	v_mov_b32_e32 v7, 0
	v_mad_u32_u24 v2, 0x90, v23, v2
	s_delay_alu instid0(VALU_DEP_2) | instskip(NEXT) | instid1(VALU_DEP_1)
	v_mul_u64_e32 v[4:5], s[10:11], v[6:7]
	v_dual_add_nc_u32 v3, v6, v5 :: v_dual_mov_b32 v5, v7
	s_delay_alu instid0(VALU_DEP_1) | instskip(NEXT) | instid1(VALU_DEP_1)
	v_lshrrev_b32_e32 v3, s21, v3
	v_mul_lo_u32 v3, v3, s22
	s_delay_alu instid0(VALU_DEP_1) | instskip(NEXT) | instid1(VALU_DEP_1)
	v_sub_nc_u32_e32 v4, v6, v3
	v_mul_u64_e32 v[4:5], s[4:5], v[4:5]
	s_delay_alu instid0(VALU_DEP_1) | instskip(SKIP_4) | instid1(VALU_DEP_2)
	v_lshl_add_u64 v[0:1], v[4:5], 2, v[0:1]
	global_load_b128 v[10:13], v[0:1], off
	s_wait_loadcnt 0x0
	v_fma_mixlo_f16 v3, s24, v10, 0
	v_mov_b32_e32 v10, v13
	v_and_b32_e32 v3, 0xffff, v3
	s_delay_alu instid0(VALU_DEP_2) | instskip(NEXT) | instid1(VALU_DEP_1)
	v_pk_mul_f32 v[0:1], s[24:25], v[10:11] op_sel_hi:[0,1]
	v_cvt_pk_f16_f32 v0, v0, v1
	v_fma_mixlo_f16 v1, s24, v12, 0
	s_delay_alu instid0(VALU_DEP_2) | instskip(NEXT) | instid1(VALU_DEP_2)
	v_and_b32_e32 v4, 0xffff0000, v0
	v_and_b32_e32 v1, 0xffff, v1
	s_delay_alu instid0(VALU_DEP_2) | instskip(NEXT) | instid1(VALU_DEP_1)
	v_dual_lshlrev_b32 v0, 16, v0 :: v_dual_bitop2_b32 v3, v4, v3 bitop3:0x54
	v_or3_b32 v1, v0, v1, 0
	s_delay_alu instid0(VALU_DEP_2)
	v_or3_b32 v0, 0, 0, v3
	ds_store_b64 v2, v[0:1]
.LBB59_8:
	s_or_b32 exec_lo, exec_lo, s20
	s_ashr_i32 s20, s31, 31
	s_ashr_i32 s28, s35, 31
	s_mul_u64 s[4:5], s[40:41], s[26:27]
	s_cmp_eq_u64 s[14:15], 0
	s_wait_dscnt 0x0
	s_barrier_signal -1
	s_barrier_wait -1
	s_cbranch_scc1 .LBB59_10
; %bb.9:
	s_load_b32 s4, s[0:1], 0xd0
	s_wait_kmcnt 0x0
	s_mul_i32 s4, s4, s34
	s_delay_alu instid0(SALU_CYCLE_1)
	s_add_co_i32 s4, s4, s25
	s_load_b32 s38, s[14:15], s4 offset:0x0 scale_offset
.LBB59_10:
	s_wait_xcnt 0x0
	s_clause 0x2
	s_load_b64 s[14:15], s[0:1], 0x8c
	s_load_b128 s[24:27], s[0:1], 0x98
	s_load_b64 s[44:45], s[0:1], 0xa8
	s_mul_i32 s4, s5, s39
	s_ashr_i32 s30, s3, 1
	s_sub_co_i32 s4, s40, s4
	s_ashr_i32 s35, s34, 31
	s_xor_b32 s3, s20, s28
	s_add_co_i32 s20, s5, 1
	s_sub_co_i32 s29, s4, s39
	v_dual_lshlrev_b32 v7, 2, v22 :: v_dual_lshrrev_b32 v1, 3, v22
	v_lshl_add_u32 v33, v35, 5, v22
	v_mul_u32_u24_e32 v34, 0xa0, v22
	v_lshl_add_u32 v29, v35, 7, 0x1de0
	s_delay_alu instid0(VALU_DEP_4)
	v_and_b32_e32 v0, 28, v7
	v_mbcnt_lo_u32_b32 v25, -1, 0
	s_wait_kmcnt 0x0
	s_ashr_i32 s28, s14, 2
	s_ashr_i32 s14, s26, 2
	s_cmp_ge_u32 s4, s39
	s_mul_u64 s[24:25], s[24:25], s[34:35]
	s_cselect_b32 s20, s20, s5
	s_cselect_b32 s4, s29, s4
	s_add_co_i32 s26, s20, 1
	s_cmp_ge_u32 s4, s39
	s_add_nc_u64 s[4:5], s[6:7], s[24:25]
	s_cselect_b32 s6, s26, s20
	s_bfe_u32 s7, ttmp6, 0x40010
	s_xor_b32 s6, s6, s3
	s_and_b32 s20, ttmp7, 0xffff
	s_add_co_i32 s7, s7, 1
	s_sub_co_i32 s3, s6, s3
	s_bfe_u32 s24, ttmp6, 0x40004
	s_mul_i32 s7, s20, s7
	s_mul_i32 s6, s3, s15
	;; [unrolled: 1-line block ×3, first 2 shown]
	s_add_co_i32 s24, s24, s7
	s_ashr_i32 s7, s6, 31
	s_ashr_i32 s27, s26, 31
	s_cmp_eq_u32 s42, 0
	s_mul_u64 s[40:41], s[44:45], s[34:35]
	s_cselect_b32 s20, s20, s24
	s_add_nc_u64 s[6:7], s[4:5], s[6:7]
	s_sub_co_i32 s35, s38, 32
	s_lshl_b32 s24, s20, 5
	s_add_nc_u64 s[4:5], s[8:9], s[40:41]
	s_cmp_ge_i32 s24, s35
	s_add_nc_u64 s[8:9], s[4:5], s[26:27]
	s_cbranch_scc1 .LBB59_22
; %bb.11:
	v_dual_mov_b32 v3, 0 :: v_dual_bitop2_b32 v2, 1, v8 bitop3:0x54
	v_mul_lo_u32 v14, s14, v33
	s_movk_i32 s4, 0x80
	s_movk_i32 s5, 0x120
	s_delay_alu instid0(VALU_DEP_2) | instskip(SKIP_3) | instid1(VALU_DEP_3)
	v_dual_mov_b32 v9, v3 :: v_dual_lshlrev_b32 v12, 2, v0
	v_mul_u64_e32 v[4:5], s[10:11], v[2:3]
	v_mul_lo_u32 v4, s28, v33
	s_movk_i32 s15, 0x90
	v_mul_u64_e32 v[10:11], s[10:11], v[8:9]
	v_lshl_add_u32 v10, v35, 2, v1
	s_ashr_i32 s29, s28, 31
	v_cmp_gt_u32_e64 s3, 32, v33
	v_mbcnt_lo_u32_b32 v9, -1, 0
	v_mad_u32_u24 v36, 0xa0, v33, s4
	v_mul_lo_u32 v16, s28, v10
	v_mul_lo_u32 v18, s14, v10
	v_mad_u32_u24 v39, 0xa0, v10, v12
	v_mad_u32_u24 v40, 0x90, v10, v12
	;; [unrolled: 1-line block ×4, first 2 shown]
	v_dual_mov_b32 v30, v3 :: v_dual_mov_b32 v26, v3
	v_dual_mov_b32 v31, v3 :: v_dual_mov_b32 v28, v3
	v_mov_b32_e32 v44, 0xfeffffff
	s_cmp_lg_u64 s[36:37], 0
	v_ashrrev_i32_e32 v19, 31, v18
	s_cselect_b32 s39, -1, 0
	s_ashr_i32 s15, s14, 31
	s_add_nc_u64 s[4:5], s[0:1], 0xd0
	v_dual_ashrrev_i32 v15, 31, v14 :: v_dual_ashrrev_i32 v17, 31, v16
	v_dual_add_nc_u32 v5, v2, v5 :: v_dual_add_nc_u32 v11, v8, v11
	s_delay_alu instid0(VALU_DEP_1) | instskip(NEXT) | instid1(VALU_DEP_1)
	v_dual_lshrrev_b32 v5, s21, v5 :: v_dual_lshrrev_b32 v11, s21, v11
	v_mul_lo_u32 v13, v5, s22
	v_mov_b32_e32 v43, 0xfeffffff
	v_ashrrev_i32_e32 v5, 31, v4
	s_delay_alu instid0(VALU_DEP_4) | instskip(NEXT) | instid1(VALU_DEP_4)
	v_mul_lo_u32 v11, v11, s22
	v_dual_sub_nc_u32 v10, v2, v13 :: v_dual_lshlrev_b32 v2, 2, v0
	s_delay_alu instid0(VALU_DEP_2) | instskip(NEXT) | instid1(VALU_DEP_2)
	v_sub_nc_u32_e32 v11, v8, v11
	v_mul_lo_u32 v41, v10, s30
	v_mov_b32_e32 v10, v3
	s_delay_alu instid0(VALU_DEP_3)
	v_mul_lo_u32 v42, v11, s30
	v_mov_b32_e32 v11, v3
.LBB59_12:                              ; =>This Inner Loop Header: Depth=1
	s_ashr_i32 s25, s24, 31
	s_delay_alu instid0(SALU_CYCLE_1) | instskip(NEXT) | instid1(SALU_CYCLE_1)
	s_mul_u64 s[26:27], s[24:25], s[28:29]
	s_lshl_b64 s[26:27], s[26:27], 2
	s_delay_alu instid0(SALU_CYCLE_1)
	s_add_nc_u64 s[26:27], s[6:7], s[26:27]
	s_and_saveexec_b32 s40, s3
	s_cbranch_execz .LBB59_14
; %bb.13:                               ;   in Loop: Header=BB59_12 Depth=1
	v_lshl_add_u64 v[12:13], v[4:5], 2, s[26:27]
	global_load_b128 v[46:49], v[12:13], off offset:128
	s_wait_loadcnt 0x0
	ds_store_b128 v36, v[46:49]
.LBB59_14:                              ;   in Loop: Header=BB59_12 Depth=1
	s_or_b32 exec_lo, exec_lo, s40
	v_lshl_add_u64 v[12:13], v[16:17], 2, s[26:27]
	v_dual_mov_b32 v21, 0 :: v_dual_mov_b32 v51, 0
	v_mov_b32_e32 v20, 0
	s_and_not1_b32 vcc_lo, exec_lo, s39
	s_delay_alu instid0(VALU_DEP_3)
	v_add_nc_u64_e32 v[12:13], v[12:13], v[2:3]
	global_load_b128 v[46:49], v[12:13], off
	s_wait_xcnt 0x0
	v_dual_mov_b32 v12, 0 :: v_dual_add_nc_u32 v13, s24, v22
	s_wait_loadcnt 0x0
	ds_store_b128 v39, v[46:49]
	s_wait_dscnt 0x0
	s_barrier_signal -1
	s_barrier_wait -1
	ds_load_b128 v[46:49], v34
	ds_load_b128 v[52:55], v37
	ds_load_b128 v[56:59], v37 offset:144
	s_wait_dscnt 0x1
	;;#ASMSTART
	v_dot2_f32_f16 v21, v46, v52, v21
	;;#ASMEND
	;;#ASMSTART
	v_dot2_f32_f16 v21, v47, v53, v21
	;;#ASMEND
	;;#ASMSTART
	v_dot2_f32_f16 v21, v48, v54, v21
	;;#ASMEND
	;;#ASMSTART
	v_dot2_f32_f16 v21, v49, v55, v21
	;;#ASMEND
	s_wait_dscnt 0x0
	;;#ASMSTART
	v_dot2_f32_f16 v51, v46, v56, v51
	;;#ASMEND
	;;#ASMSTART
	v_dot2_f32_f16 v51, v47, v57, v51
	;;#ASMEND
	;;#ASMSTART
	v_dot2_f32_f16 v51, v48, v58, v51
	;;#ASMEND
	;;#ASMSTART
	v_dot2_f32_f16 v51, v49, v59, v51
	;;#ASMEND
	ds_load_b128 v[46:49], v34 offset:16
	ds_load_b128 v[52:55], v37 offset:16
	ds_load_b128 v[56:59], v37 offset:160
	s_wait_dscnt 0x1
	;;#ASMSTART
	v_dot2_f32_f16 v21, v46, v52, v21
	;;#ASMEND
	;;#ASMSTART
	v_dot2_f32_f16 v21, v47, v53, v21
	;;#ASMEND
	;;#ASMSTART
	v_dot2_f32_f16 v21, v48, v54, v21
	;;#ASMEND
	;;#ASMSTART
	v_dot2_f32_f16 v21, v49, v55, v21
	;;#ASMEND
	s_wait_dscnt 0x0
	;;#ASMSTART
	v_dot2_f32_f16 v51, v46, v56, v51
	;;#ASMEND
	;;#ASMSTART
	v_dot2_f32_f16 v51, v47, v57, v51
	;;#ASMEND
	;;#ASMSTART
	v_dot2_f32_f16 v51, v48, v58, v51
	;;#ASMEND
	;;#ASMSTART
	v_dot2_f32_f16 v51, v49, v59, v51
	;;#ASMEND
	ds_load_b128 v[46:49], v34 offset:32
	ds_load_b128 v[52:55], v37 offset:32
	;; [unrolled: 29-line block ×8, first 2 shown]
	ds_load_b128 v[56:59], v37 offset:272
	s_wait_dscnt 0x1
	;;#ASMSTART
	v_dot2_f32_f16 v21, v46, v52, v21
	;;#ASMEND
	;;#ASMSTART
	v_dot2_f32_f16 v21, v47, v53, v21
	;;#ASMEND
	;; [unrolled: 3-line block ×4, first 2 shown]
	s_wait_dscnt 0x0
	;;#ASMSTART
	v_dot2_f32_f16 v51, v46, v56, v51
	;;#ASMEND
	;;#ASMSTART
	v_dot2_f32_f16 v51, v47, v57, v51
	;;#ASMEND
	;; [unrolled: 3-line block ×4, first 2 shown]
	s_cbranch_vccnz .LBB59_16
; %bb.15:                               ;   in Loop: Header=BB59_12 Depth=1
	v_add_nc_u32_e32 v20, v13, v42
	global_load_u16 v20, v20, s[36:37] scale_offset
	s_wait_loadcnt 0x0
	v_cvt_f32_f16_e32 v20, v20
	s_delay_alu instid0(VALU_DEP_1)
	v_mul_f32_e32 v20, v32, v20
.LBB59_16:                              ;   in Loop: Header=BB59_12 Depth=1
	s_delay_alu instid0(VALU_DEP_1) | instskip(SKIP_1) | instid1(VALU_DEP_2)
	v_dual_add_f32 v20, v21, v20 :: v_dual_bitop2_b32 v45, 16, v9 bitop3:0x14
	v_xor_b32_e32 v47, 8, v9
	v_cmp_gt_i32_e32 vcc_lo, 32, v45
	v_dual_max_num_f32 v46, v43, v43 :: v_dual_cndmask_b32 v21, v9, v45
	s_delay_alu instid0(VALU_DEP_4) | instskip(NEXT) | instid1(VALU_DEP_4)
	v_add_f32_e32 v45, 0x40051340, v20
	v_cmp_gt_i32_e32 vcc_lo, 32, v47
	s_delay_alu instid0(VALU_DEP_3) | instskip(NEXT) | instid1(VALU_DEP_3)
	v_lshlrev_b32_e32 v21, 2, v21
	v_dual_max_num_f32 v46, v46, v45 :: v_dual_cndmask_b32 v47, v9, v47
	ds_bpermute_b32 v45, v21, v46
	s_wait_dscnt 0x0
	v_dual_max_num_f32 v48, v45, v45 :: v_dual_lshlrev_b32 v45, 2, v47
	s_delay_alu instid0(VALU_DEP_1) | instskip(SKIP_3) | instid1(VALU_DEP_1)
	v_max_num_f32_e32 v47, v46, v48
	ds_bpermute_b32 v46, v45, v47
	s_wait_dscnt 0x0
	v_dual_max_num_f32 v49, v46, v46 :: v_dual_bitop2_b32 v48, 4, v9 bitop3:0x14
	v_cmp_gt_i32_e32 vcc_lo, 32, v48
	v_cndmask_b32_e32 v48, v9, v48, vcc_lo
	s_delay_alu instid0(VALU_DEP_1)
	v_dual_lshlrev_b32 v46, 2, v48 :: v_dual_max_num_f32 v48, v47, v49
	v_xor_b32_e32 v49, 2, v9
	ds_bpermute_b32 v47, v46, v48
	v_cmp_gt_i32_e32 vcc_lo, 32, v49
	s_wait_dscnt 0x0
	v_dual_cndmask_b32 v49, v9, v49 :: v_dual_max_num_f32 v50, v47, v47
	s_delay_alu instid0(VALU_DEP_1) | instskip(SKIP_3) | instid1(VALU_DEP_1)
	v_dual_max_num_f32 v48, v48, v50 :: v_dual_lshlrev_b32 v47, 2, v49
	ds_bpermute_b32 v49, v47, v48
	s_wait_dscnt 0x0
	v_max_num_f32_e32 v52, v49, v49
	v_dual_max_num_f32 v48, v48, v52 :: v_dual_bitop2_b32 v50, 1, v9 bitop3:0x14
	s_delay_alu instid0(VALU_DEP_1) | instskip(SKIP_2) | instid1(VALU_DEP_1)
	v_cmp_gt_i32_e32 vcc_lo, 32, v50
	v_cndmask_b32_e32 v50, v9, v50, vcc_lo
	s_and_not1_b32 vcc_lo, exec_lo, s39
	v_lshlrev_b32_e32 v49, 2, v50
	ds_bpermute_b32 v50, v49, v48
	s_cbranch_vccnz .LBB59_18
; %bb.17:                               ;   in Loop: Header=BB59_12 Depth=1
	v_add_nc_u32_e32 v12, v13, v41
	global_load_u16 v12, v12, s[36:37] scale_offset
	s_wait_loadcnt 0x0
	v_cvt_f32_f16_e32 v12, v12
	s_delay_alu instid0(VALU_DEP_1)
	v_mul_f32_e32 v12, v32, v12
.LBB59_18:                              ;   in Loop: Header=BB59_12 Depth=1
	s_delay_alu instid0(VALU_DEP_1)
	v_add_f32_e32 v51, v51, v12
	v_max_num_f32_e32 v12, v44, v44
	s_mul_u64 s[26:27], s[24:25], s[14:15]
	s_wait_dscnt 0x0
	s_lshl_b64 s[26:27], s[26:27], 2
	v_add_f32_e32 v13, 0x40051340, v51
	s_add_nc_u64 s[26:27], s[8:9], s[26:27]
	s_barrier_signal -1
	s_barrier_wait -1
	s_delay_alu instid0(VALU_DEP_1) | instskip(SKIP_3) | instid1(VALU_DEP_1)
	v_max_num_f32_e32 v12, v12, v13
	ds_bpermute_b32 v13, v21, v12
	s_wait_dscnt 0x0
	v_dual_max_num_f32 v21, v50, v50 :: v_dual_max_num_f32 v13, v13, v13
	v_max_num_f32_e32 v12, v12, v13
	ds_bpermute_b32 v13, v45, v12
	s_wait_dscnt 0x0
	v_max_num_f32_e32 v13, v13, v13
	s_delay_alu instid0(VALU_DEP_1) | instskip(SKIP_3) | instid1(VALU_DEP_1)
	v_max_num_f32_e32 v12, v12, v13
	ds_bpermute_b32 v13, v46, v12
	s_wait_dscnt 0x0
	v_max_num_f32_e32 v13, v13, v13
	v_max_num_f32_e32 v12, v12, v13
	ds_bpermute_b32 v13, v47, v12
	s_wait_dscnt 0x0
	v_max_num_f32_e32 v13, v13, v13
	s_delay_alu instid0(VALU_DEP_1) | instskip(SKIP_3) | instid1(VALU_DEP_1)
	v_max_num_f32_e32 v13, v12, v13
	ds_bpermute_b32 v12, v49, v13
	s_wait_dscnt 0x0
	v_max_num_f32_e32 v46, v12, v12
	v_dual_max_num_f32 v45, v48, v48 :: v_dual_max_num_f32 v13, v13, v46
	s_delay_alu instid0(VALU_DEP_1) | instskip(NEXT) | instid1(VALU_DEP_1)
	v_max_num_f32_e32 v12, v45, v21
	v_dual_sub_f32 v21, v51, v13 :: v_dual_sub_f32 v20, v20, v12
	s_delay_alu instid0(VALU_DEP_1) | instskip(SKIP_1) | instid1(VALU_DEP_2)
	v_mul_f32_e32 v45, 0x3fb8aa3b, v20
	v_cmp_ngt_f32_e32 vcc_lo, 0xc2ce8ed0, v20
	v_fma_f32 v47, 0x3fb8aa3b, v20, -v45
	v_rndne_f32_e32 v48, v45
	s_delay_alu instid0(VALU_DEP_1) | instskip(NEXT) | instid1(VALU_DEP_1)
	v_dual_mul_f32 v46, 0x3fb8aa3b, v21 :: v_dual_sub_f32 v45, v45, v48
	v_rndne_f32_e32 v50, v46
	s_delay_alu instid0(VALU_DEP_4) | instskip(SKIP_1) | instid1(VALU_DEP_2)
	v_fmac_f32_e32 v47, 0x32a5705f, v20
	v_fma_f32 v49, 0x3fb8aa3b, v21, -v46
	v_dual_sub_f32 v46, v46, v50 :: v_dual_add_f32 v45, v45, v47
	v_cvt_i32_f32_e32 v47, v48
	v_cvt_i32_f32_e32 v48, v50
	s_delay_alu instid0(VALU_DEP_3) | instskip(SKIP_1) | instid1(TRANS32_DEP_1)
	v_exp_f32_e32 v45, v45
	v_nop
	v_ldexp_f32 v45, v45, v47
	s_delay_alu instid0(VALU_DEP_1) | instskip(SKIP_2) | instid1(VALU_DEP_1)
	v_cndmask_b32_e32 v45, 0, v45, vcc_lo
	v_cmp_ngt_f32_e32 vcc_lo, 0xc2ce8ed0, v21
	v_fmac_f32_e32 v49, 0x32a5705f, v21
	v_add_f32_e32 v46, v46, v49
	s_delay_alu instid0(VALU_DEP_1) | instskip(SKIP_1) | instid1(TRANS32_DEP_1)
	v_exp_f32_e32 v46, v46
	v_nop
	v_ldexp_f32 v46, v46, v48
	s_delay_alu instid0(VALU_DEP_1) | instskip(SKIP_3) | instid1(VALU_DEP_4)
	v_cndmask_b32_e32 v46, 0, v46, vcc_lo
	v_cmp_nlt_f32_e32 vcc_lo, 0x42b17218, v20
	v_dual_cndmask_b32 v20, 0x7f800000, v45 :: v_dual_add_nc_u32 v45, v29, v7
	v_cmp_nlt_f32_e32 vcc_lo, 0x42b17218, v21
	v_cndmask_b32_e32 v21, 0x7f800000, v46, vcc_lo
	s_delay_alu instid0(VALU_DEP_1)
	v_cvt_pk_f16_f32 v46, v20, v21
	ds_store_b32 v45, v46
	s_and_saveexec_b32 s25, s3
	s_cbranch_execz .LBB59_20
; %bb.19:                               ;   in Loop: Header=BB59_12 Depth=1
	v_lshl_add_u64 v[46:47], v[14:15], 2, s[26:27]
	global_load_b128 v[46:49], v[46:47], off offset:128
	s_wait_loadcnt 0x0
	ds_store_b128 v38, v[46:49]
.LBB59_20:                              ;   in Loop: Header=BB59_12 Depth=1
	s_or_b32 exec_lo, exec_lo, s25
	v_lshl_add_u64 v[46:47], v[18:19], 2, s[26:27]
	v_dual_sub_f32 v43, v43, v12 :: v_dual_sub_f32 v44, v44, v13
	v_add_nc_u32_e32 v97, 0x800, v27
	v_add_nc_u32_e32 v99, 0xc00, v27
	s_delay_alu instid0(VALU_DEP_4) | instskip(NEXT) | instid1(VALU_DEP_4)
	v_add_nc_u64_e32 v[46:47], v[46:47], v[2:3]
	v_dual_mul_f32 v45, 0x3fb8aa3b, v43 :: v_dual_mul_f32 v50, 0x3fb8aa3b, v44
	v_cmp_ngt_f32_e32 vcc_lo, 0xc2ce8ed0, v43
	v_add_nc_u32_e32 v100, 0x1000, v27
	v_add_nc_u32_e32 v96, 0x400, v27
	s_delay_alu instid0(VALU_DEP_4)
	v_fma_f32 v51, 0x3fb8aa3b, v43, -v45
	global_load_b128 v[46:49], v[46:47], off
	v_rndne_f32_e32 v52, v45
	v_fma_f32 v53, 0x3fb8aa3b, v44, -v50
	v_rndne_f32_e32 v54, v50
	v_fmac_f32_e32 v51, 0x32a5705f, v43
	s_delay_alu instid0(VALU_DEP_2) | instskip(NEXT) | instid1(VALU_DEP_1)
	v_dual_fmac_f32 v53, 0x32a5705f, v44 :: v_dual_sub_f32 v50, v50, v54
	v_dual_sub_f32 v45, v45, v52 :: v_dual_add_f32 v50, v50, v53
	s_delay_alu instid0(VALU_DEP_1) | instskip(SKIP_2) | instid1(VALU_DEP_4)
	v_add_f32_e32 v45, v45, v51
	v_cvt_i32_f32_e32 v51, v52
	v_cvt_i32_f32_e32 v52, v54
	v_exp_f32_e32 v50, v50
	s_delay_alu instid0(VALU_DEP_3) | instskip(NEXT) | instid1(TRANS32_DEP_2)
	v_exp_f32_e32 v45, v45
	v_ldexp_f32 v50, v50, v52
	s_delay_alu instid0(TRANS32_DEP_1) | instskip(NEXT) | instid1(VALU_DEP_1)
	v_ldexp_f32 v45, v45, v51
	v_cndmask_b32_e32 v45, 0, v45, vcc_lo
	v_cmp_ngt_f32_e32 vcc_lo, 0xc2ce8ed0, v44
	s_delay_alu instid0(VALU_DEP_4) | instskip(SKIP_1) | instid1(VALU_DEP_4)
	v_cndmask_b32_e32 v51, 0, v50, vcc_lo
	v_cmp_nlt_f32_e32 vcc_lo, 0x42b17218, v43
	v_cndmask_b32_e32 v50, 0x7f800000, v45, vcc_lo
	v_cmp_nlt_f32_e32 vcc_lo, 0x42b17218, v44
	s_delay_alu instid0(VALU_DEP_2) | instskip(SKIP_1) | instid1(VALU_DEP_2)
	v_cvt_f16_f32_e32 v43, v50
	v_cndmask_b32_e32 v51, 0x7f800000, v51, vcc_lo
	v_and_b32_e32 v43, 0xffff, v43
	s_delay_alu instid0(VALU_DEP_2) | instskip(SKIP_1) | instid1(VALU_DEP_3)
	v_cvt_f16_f32_e32 v44, v51
	v_pk_fma_f32 v[10:11], v[10:11], v[50:51], v[20:21]
	v_mul_u32_u24_e32 v43, 0x10001, v43
	s_delay_alu instid0(VALU_DEP_3) | instskip(NEXT) | instid1(VALU_DEP_2)
	v_and_b32_e32 v52, 0xffff, v44
	v_pk_mul_f16 v20, v31, v43
	s_delay_alu instid0(VALU_DEP_2) | instskip(NEXT) | instid1(VALU_DEP_1)
	v_mul_u32_u24_e32 v98, 0x10001, v52
	v_pk_mul_f16 v21, v30, v98
	s_wait_loadcnt 0x0
	ds_store_b128 v40, v[46:49]
	s_wait_dscnt 0x0
	s_barrier_signal -1
	s_barrier_wait -1
	ds_load_b128 v[44:47], v29
	ds_load_b128 v[48:51], v29 offset:16
	ds_load_2addr_b64 v[52:55], v27 offset1:18
	ds_load_b128 v[56:59], v29 offset:32
	ds_load_b128 v[60:63], v29 offset:48
	ds_load_2addr_b64 v[64:67], v27 offset0:36 offset1:54
	ds_load_2addr_b64 v[68:71], v27 offset0:72 offset1:90
	;; [unrolled: 1-line block ×4, first 2 shown]
	ds_load_b128 v[80:83], v29 offset:64
	ds_load_b128 v[84:87], v29 offset:80
	;; [unrolled: 1-line block ×4, first 2 shown]
	s_wait_dscnt 0xb
	v_and_b32_e32 v108, 0xffff, v48
	v_dual_lshrrev_b32 v109, 16, v49 :: v_dual_lshrrev_b32 v111, 16, v50
	s_wait_dscnt 0x8
	v_dual_lshrrev_b32 v121, 16, v59 :: v_dual_lshrrev_b32 v123, 16, v60
	v_lshrrev_b32_e32 v107, 16, v48
	v_and_b32_e32 v124, 0xffff, v60
	v_and_b32_e32 v110, 0xffff, v49
	s_wait_dscnt 0x3
	v_dual_lshrrev_b32 v129, 16, v63 :: v_dual_lshrrev_b32 v131, 16, v80
	v_and_b32_e32 v30, 0xffff, v44
	v_dual_lshrrev_b32 v31, 16, v44 :: v_dual_lshrrev_b32 v101, 16, v45
	v_lshrrev_b32_e32 v103, 16, v46
	v_and_b32_e32 v102, 0xffff, v45
	s_delay_alu instid0(VALU_DEP_4) | instskip(NEXT) | instid1(VALU_DEP_4)
	v_mul_u32_u24_e32 v30, 0x10001, v30
	v_mul_u32_u24_e32 v31, 0x10001, v31
	v_lshrrev_b32_e32 v105, 16, v47
	v_and_b32_e32 v104, 0xffff, v46
	v_and_b32_e32 v106, 0xffff, v47
	v_pk_mul_f16 v48, v52, v30
	v_pk_mul_f16 v52, v52, v31
	v_pk_fma_f16 v20, v53, v30, v20
	v_mul_u32_u24_e32 v30, 0x10001, v102
	v_pk_fma_f16 v21, v53, v31, v21
	v_pk_fma_f16 v28, v28, v43, v48
	v_mul_u32_u24_e32 v43, 0x10001, v101
	v_pk_fma_f16 v26, v26, v98, v52
	v_mul_u32_u24_e32 v31, 0x10001, v104
	v_mul_u32_u24_e32 v60, 0x10001, v103
	v_pk_fma_f16 v20, v55, v30, v20
	v_pk_fma_f16 v21, v55, v43, v21
	;; [unrolled: 1-line block ×4, first 2 shown]
	v_mul_u32_u24_e32 v30, 0x10001, v106
	v_mul_u32_u24_e32 v43, 0x10001, v105
	v_pk_fma_f16 v20, v65, v31, v20
	v_pk_fma_f16 v21, v65, v60, v21
	;; [unrolled: 1-line block ×4, first 2 shown]
	v_and_b32_e32 v132, 0xffff, v80
	v_mul_u32_u24_e32 v31, 0x10001, v108
	v_mul_u32_u24_e32 v80, 0x10001, v107
	v_pk_fma_f16 v20, v67, v30, v20
	v_pk_fma_f16 v21, v67, v43, v21
	;; [unrolled: 1-line block ×4, first 2 shown]
	v_and_b32_e32 v112, 0xffff, v50
	v_mul_u32_u24_e32 v30, 0x10001, v110
	v_mul_u32_u24_e32 v43, 0x10001, v109
	v_pk_fma_f16 v20, v69, v31, v20
	v_pk_fma_f16 v21, v69, v80, v21
	v_pk_fma_f16 v28, v68, v31, v28
	v_pk_fma_f16 v26, v68, v80, v26
	v_dual_lshrrev_b32 v113, 16, v51 :: v_dual_lshrrev_b32 v115, 16, v56
	v_and_b32_e32 v114, 0xffff, v51
	v_mul_u32_u24_e32 v31, 0x10001, v112
	v_pk_fma_f16 v20, v71, v30, v20
	v_pk_fma_f16 v21, v71, v43, v21
	;; [unrolled: 1-line block ×4, first 2 shown]
	v_mul_u32_u24_e32 v30, 0x10001, v111
	v_and_b32_e32 v116, 0xffff, v56
	ds_load_2addr_b64 v[44:47], v27 offset0:180 offset1:198
	v_pk_fma_f16 v20, v73, v31, v20
	v_pk_fma_f16 v28, v72, v31, v28
	v_mul_u32_u24_e32 v31, 0x10001, v114
	v_mul_u32_u24_e32 v43, 0x10001, v113
	v_pk_fma_f16 v21, v73, v30, v21
	v_pk_fma_f16 v26, v72, v30, v26
	v_dual_lshrrev_b32 v117, 16, v57 :: v_dual_lshrrev_b32 v119, 16, v58
	v_and_b32_e32 v118, 0xffff, v57
	s_wait_dscnt 0x2
	v_dual_lshrrev_b32 v145, 16, v87 :: v_dual_lshrrev_b32 v147, 16, v88
	v_and_b32_e32 v148, 0xffff, v88
	v_pk_fma_f16 v20, v75, v31, v20
	v_pk_fma_f16 v28, v74, v31, v28
	;; [unrolled: 1-line block ×4, first 2 shown]
	v_mul_u32_u24_e32 v72, 0x10001, v116
	v_mul_u32_u24_e32 v88, 0x10001, v115
	v_and_b32_e32 v120, 0xffff, v58
	v_dual_lshrrev_b32 v149, 16, v89 :: v_dual_lshrrev_b32 v151, 16, v90
	v_and_b32_e32 v150, 0xffff, v89
	ds_load_2addr_b64 v[48:51], v27 offset0:216 offset1:234
	v_mul_u32_u24_e32 v89, 0x10001, v118
	v_pk_fma_f16 v20, v77, v72, v20
	v_pk_fma_f16 v28, v76, v72, v28
	;; [unrolled: 1-line block ×4, first 2 shown]
	v_mul_u32_u24_e32 v76, 0x10001, v117
	v_and_b32_e32 v122, 0xffff, v59
	v_dual_lshrrev_b32 v125, 16, v61 :: v_dual_lshrrev_b32 v127, 16, v62
	v_and_b32_e32 v126, 0xffff, v61
	v_and_b32_e32 v128, 0xffff, v62
	v_and_b32_e32 v130, 0xffff, v63
	v_dual_lshrrev_b32 v133, 16, v81 :: v_dual_lshrrev_b32 v135, 16, v82
	v_and_b32_e32 v134, 0xffff, v81
	v_and_b32_e32 v136, 0xffff, v82
	v_dual_lshrrev_b32 v137, 16, v83 :: v_dual_lshrrev_b32 v139, 16, v84
	v_and_b32_e32 v138, 0xffff, v83
	v_and_b32_e32 v140, 0xffff, v84
	;; [unrolled: 3-line block ×3, first 2 shown]
	v_and_b32_e32 v146, 0xffff, v87
	ds_load_2addr_b64 v[52:55], v97 offset0:32 offset1:50
	ds_load_2addr_b64 v[60:63], v97 offset0:68 offset1:86
	;; [unrolled: 1-line block ×6, first 2 shown]
	v_pk_fma_f16 v20, v79, v89, v20
	v_pk_fma_f16 v28, v78, v89, v28
	v_mul_u32_u24_e32 v77, 0x10001, v120
	v_mul_u32_u24_e32 v97, 0x10001, v119
	v_pk_fma_f16 v21, v79, v76, v21
	v_pk_fma_f16 v26, v78, v76, v26
	ds_load_2addr_b64 v[56:59], v96 offset0:124 offset1:142
	ds_load_2addr_b64 v[72:75], v99 offset0:120 offset1:138
	v_mul_u32_u24_e32 v98, 0x10001, v122
	v_mul_u32_u24_e32 v99, 0x10001, v121
	s_wait_dscnt 0x9
	v_pk_fma_f16 v20, v45, v77, v20
	v_pk_fma_f16 v21, v45, v97, v21
	;; [unrolled: 1-line block ×4, first 2 shown]
	v_and_b32_e32 v152, 0xffff, v90
	v_dual_lshrrev_b32 v153, 16, v91 :: v_dual_lshrrev_b32 v43, 16, v93
	v_and_b32_e32 v154, 0xffff, v91
	ds_load_2addr_b64 v[88:91], v100 offset0:28 offset1:46
	v_mul_u32_u24_e32 v100, 0x10001, v124
	v_mul_u32_u24_e32 v101, 0x10001, v123
	v_pk_fma_f16 v20, v47, v98, v20
	v_pk_fma_f16 v21, v47, v99, v21
	;; [unrolled: 1-line block ×4, first 2 shown]
	v_mul_u32_u24_e32 v102, 0x10001, v126
	v_mul_u32_u24_e32 v103, 0x10001, v125
	s_wait_dscnt 0x9
	v_pk_fma_f16 v20, v49, v100, v20
	v_pk_fma_f16 v21, v49, v101, v21
	v_pk_fma_f16 v28, v48, v100, v28
	v_pk_fma_f16 v26, v48, v101, v26
	v_mul_u32_u24_e32 v104, 0x10001, v128
	v_mul_u32_u24_e32 v105, 0x10001, v127
	v_pk_fma_f16 v20, v51, v102, v20
	v_pk_fma_f16 v21, v51, v103, v21
	;; [unrolled: 1-line block ×4, first 2 shown]
	v_mul_u32_u24_e32 v106, 0x10001, v130
	v_mul_u32_u24_e32 v107, 0x10001, v129
	s_wait_dscnt 0x2
	v_pk_fma_f16 v20, v57, v104, v20
	v_pk_fma_f16 v21, v57, v105, v21
	v_pk_fma_f16 v28, v56, v104, v28
	v_pk_fma_f16 v26, v56, v105, v26
	v_mul_u32_u24_e32 v108, 0x10001, v132
	v_mul_u32_u24_e32 v109, 0x10001, v131
	v_pk_fma_f16 v20, v59, v106, v20
	v_pk_fma_f16 v21, v59, v107, v21
	v_pk_fma_f16 v28, v58, v106, v28
	v_pk_fma_f16 v26, v58, v107, v26
	v_mul_u32_u24_e32 v110, 0x10001, v134
	v_mul_u32_u24_e32 v111, 0x10001, v133
	;; [unrolled: 6-line block ×11, first 2 shown]
	v_pk_fma_f16 v20, v71, v50, v20
	v_pk_fma_f16 v21, v71, v51, v21
	;; [unrolled: 1-line block ×4, first 2 shown]
	v_lshrrev_b32_e32 v30, 16, v92
	v_and_b32_e32 v31, 0xffff, v92
	v_mul_u32_u24_e32 v54, 0x10001, v154
	v_mul_u32_u24_e32 v55, 0x10001, v153
	v_pk_fma_f16 v20, v85, v52, v20
	v_pk_fma_f16 v21, v85, v53, v21
	;; [unrolled: 1-line block ×4, first 2 shown]
	s_wait_dscnt 0x0
	s_barrier_signal -1
	s_barrier_wait -1
	s_load_b32 s25, s[4:5], 0x4
	v_and_b32_e32 v92, 0xffff, v93
	v_mul_u32_u24_e32 v31, 0x10001, v31
	v_mul_u32_u24_e32 v30, 0x10001, v30
	v_pk_fma_f16 v20, v87, v54, v20
	v_pk_fma_f16 v21, v87, v55, v21
	;; [unrolled: 1-line block ×4, first 2 shown]
	v_lshrrev_b32_e32 v93, 16, v94
	v_and_b32_e32 v94, 0xffff, v94
	v_mul_u32_u24_e32 v44, 0x10001, v92
	v_mul_u32_u24_e32 v43, 0x10001, v43
	v_pk_fma_f16 v20, v73, v31, v20
	v_pk_fma_f16 v21, v73, v30, v21
	;; [unrolled: 1-line block ×4, first 2 shown]
	v_lshrrev_b32_e32 v96, 16, v95
	v_and_b32_e32 v95, 0xffff, v95
	v_mul_u32_u24_e32 v45, 0x10001, v94
	v_mul_u32_u24_e32 v46, 0x10001, v93
	v_pk_fma_f16 v20, v75, v44, v20
	v_pk_fma_f16 v21, v75, v43, v21
	;; [unrolled: 1-line block ×4, first 2 shown]
	v_mul_u32_u24_e32 v47, 0x10001, v95
	v_mul_u32_u24_e32 v43, 0x10001, v96
	v_pk_fma_f16 v20, v89, v45, v20
	v_pk_fma_f16 v21, v89, v46, v21
	;; [unrolled: 1-line block ×4, first 2 shown]
	s_wait_kmcnt 0x0
	s_lshl_b32 s25, s25, 5
	v_pk_fma_f16 v31, v91, v47, v20
	v_pk_fma_f16 v30, v91, v43, v21
	;; [unrolled: 1-line block ×4, first 2 shown]
	s_add_co_i32 s24, s25, s24
	s_delay_alu instid0(SALU_CYCLE_1)
	s_cmp_lt_i32 s24, s35
	s_cbranch_scc0 .LBB59_23
; %bb.21:                               ;   in Loop: Header=BB59_12 Depth=1
	v_dual_mov_b32 v43, v12 :: v_dual_mov_b32 v44, v13
	s_branch .LBB59_12
.LBB59_22:
	v_dual_mov_b32 v11, 0 :: v_dual_mov_b32 v28, 0
	v_mov_b64_e32 v[12:13], 0xfefffffffeffffff
	v_dual_mov_b32 v31, 0 :: v_dual_mov_b32 v26, 0
	s_delay_alu instid0(VALU_DEP_3)
	v_dual_mov_b32 v10, v11 :: v_dual_mov_b32 v30, 0
.LBB59_23:
	s_cmp_gt_i32 s38, s24
	s_cbranch_scc1 .LBB59_26
; %bb.24:
	v_mbcnt_lo_u32_b32 v2, -1, 0
	s_delay_alu instid0(VALU_DEP_2) | instskip(SKIP_1) | instid1(VALU_DEP_3)
	v_mov_b64_e32 v[14:15], v[10:11]
	v_mov_b32_e32 v18, 32
	v_xor_b32_e32 v9, 16, v2
	v_xor_b32_e32 v16, 8, v2
	;; [unrolled: 1-line block ×5, first 2 shown]
	s_cbranch_execz .LBB59_27
; %bb.25:
	v_mov_b32_e32 v25, v2
	s_branch .LBB59_41
.LBB59_26:
                                        ; implicit-def: $vgpr2
                                        ; implicit-def: $vgpr18
                                        ; implicit-def: $vgpr9
                                        ; implicit-def: $vgpr16
                                        ; implicit-def: $vgpr17
                                        ; implicit-def: $vgpr19
                                        ; implicit-def: $vgpr20
                                        ; implicit-def: $vgpr14_vgpr15
.LBB59_27:
	s_ashr_i32 s25, s24, 31
	s_ashr_i32 s29, s28, 31
	s_sub_co_i32 s15, s38, s24
	s_mul_u64 s[26:27], s[24:25], s[28:29]
	v_cmp_gt_u32_e64 s5, 32, v33
	v_cmp_gt_i32_e64 s4, s15, v33
	s_lshl_b64 s[26:27], s[26:27], 2
	s_delay_alu instid0(SALU_CYCLE_1)
	s_add_nc_u64 s[6:7], s[6:7], s[26:27]
	s_and_saveexec_b32 s3, s5
	s_cbranch_execz .LBB59_29
; %bb.28:
	v_mul_lo_u32 v2, s28, v33
	v_mbcnt_lo_u32_b32 v5, -1, 0
	v_mul_u32_u24_e32 v9, 0xa0, v33
	s_delay_alu instid0(VALU_DEP_2) | instskip(NEXT) | instid1(VALU_DEP_4)
	v_dual_mov_b32 v4, 0 :: v_dual_lshlrev_b32 v5, 20, v5
	v_ashrrev_i32_e32 v3, 31, v2
	s_delay_alu instid0(VALU_DEP_1) | instskip(NEXT) | instid1(VALU_DEP_1)
	v_lshl_add_u64 v[2:3], v[2:3], 2, s[6:7]
	v_add_nc_u64_e32 v[16:17], 0x80, v[2:3]
	v_mov_b32_e32 v2, 0
	v_add_nc_u64_e32 v[14:15], src_flat_scratch_base_lo, v[4:5]
	s_delay_alu instid0(VALU_DEP_2)
	v_dual_mov_b32 v3, v2 :: v_dual_mov_b32 v4, v2
	s_clause 0x1
	scratch_store_b32 off, v2, off
	scratch_store_b96 off, v[2:4], off offset:4
	v_dual_cndmask_b32 v15, v15, v17, s4 :: v_dual_cndmask_b32 v14, v14, v16, s4
	flat_load_b128 v[2:5], v[14:15]
	s_wait_loadcnt_dscnt 0x0
	ds_store_b128 v9, v[2:5] offset:128
.LBB59_29:
	s_wait_xcnt 0x0
	s_or_b32 exec_lo, exec_lo, s3
	v_lshl_add_u32 v21, v35, 2, v1
	v_dual_mov_b32 v14, 0 :: v_dual_lshlrev_b32 v15, 20, v25
	s_cmp_lg_u64 s[36:37], 0
	s_cselect_b32 s26, -1, 0
	s_delay_alu instid0(VALU_DEP_2) | instskip(SKIP_3) | instid1(VALU_DEP_4)
	v_mul_lo_u32 v4, s28, v21
	v_mov_b32_e32 v2, 0
	v_add_nc_u64_e32 v[14:15], src_flat_scratch_base_lo, v[14:15]
	v_cmp_gt_i32_e64 s3, s15, v21
	v_ashrrev_i32_e32 v5, 31, v4
	s_delay_alu instid0(VALU_DEP_4) | instskip(SKIP_1) | instid1(VALU_DEP_3)
	v_dual_mov_b32 v1, v2 :: v_dual_lshlrev_b32 v0, 2, v0
	v_mov_b32_e32 v3, v2
	v_lshl_add_u64 v[4:5], v[4:5], 2, s[6:7]
	v_cmp_gt_i32_e64 s6, s15, v22
	s_delay_alu instid0(VALU_DEP_2)
	v_add_nc_u64_e32 v[16:17], v[4:5], v[0:1]
	v_mov_b32_e32 v4, v2
	v_mad_u32_u24 v1, 0xa0, v21, v0
	v_add_nc_u32_e32 v5, s24, v22
	s_clause 0x1
	scratch_store_b32 off, v2, off
	scratch_store_b96 off, v[2:4], off offset:4
	v_dual_cndmask_b32 v15, v15, v17, s3 :: v_dual_cndmask_b32 v14, v14, v16, s3
	s_wait_xcnt 0x0
	v_mul_u32_u24_e32 v3, 0x120, v35
	flat_load_b128 v[14:17], v[14:15]
	s_wait_loadcnt_dscnt 0x0
	ds_store_b128 v1, v[14:17]
	s_wait_storecnt_dscnt 0x0
	s_barrier_signal -1
	s_barrier_wait -1
	ds_load_b128 v[16:19], v34
	ds_load_b128 v[36:39], v3 offset:5344
	ds_load_b128 v[40:43], v3 offset:5488
	s_wait_xcnt 0x0
	v_dual_mov_b32 v14, v2 :: v_dual_mov_b32 v1, v2
	v_cndmask_b32_e64 v15, 0, 1, s26
	s_wait_dscnt 0x1
	;;#ASMSTART
	v_dot2_f32_f16 v14, v16, v36, v14
	;;#ASMEND
	;;#ASMSTART
	v_dot2_f32_f16 v14, v17, v37, v14
	;;#ASMEND
	;;#ASMSTART
	v_dot2_f32_f16 v14, v18, v38, v14
	;;#ASMEND
	;;#ASMSTART
	v_dot2_f32_f16 v14, v19, v39, v14
	;;#ASMEND
	s_wait_dscnt 0x0
	;;#ASMSTART
	v_dot2_f32_f16 v1, v16, v40, v1
	;;#ASMEND
	;;#ASMSTART
	v_dot2_f32_f16 v1, v17, v41, v1
	;;#ASMEND
	;;#ASMSTART
	v_dot2_f32_f16 v1, v18, v42, v1
	;;#ASMEND
	;;#ASMSTART
	v_dot2_f32_f16 v1, v19, v43, v1
	;;#ASMEND
	ds_load_b128 v[16:19], v34 offset:16
	ds_load_b128 v[36:39], v3 offset:5360
	ds_load_b128 v[40:43], v3 offset:5504
	s_wait_dscnt 0x1
	;;#ASMSTART
	v_dot2_f32_f16 v14, v16, v36, v14
	;;#ASMEND
	;;#ASMSTART
	v_dot2_f32_f16 v14, v17, v37, v14
	;;#ASMEND
	;;#ASMSTART
	v_dot2_f32_f16 v14, v18, v38, v14
	;;#ASMEND
	;;#ASMSTART
	v_dot2_f32_f16 v14, v19, v39, v14
	;;#ASMEND
	s_wait_dscnt 0x0
	;;#ASMSTART
	v_dot2_f32_f16 v1, v16, v40, v1
	;;#ASMEND
	;;#ASMSTART
	v_dot2_f32_f16 v1, v17, v41, v1
	;;#ASMEND
	;;#ASMSTART
	v_dot2_f32_f16 v1, v18, v42, v1
	;;#ASMEND
	;;#ASMSTART
	v_dot2_f32_f16 v1, v19, v43, v1
	;;#ASMEND
	ds_load_b128 v[16:19], v34 offset:32
	ds_load_b128 v[36:39], v3 offset:5376
	ds_load_b128 v[40:43], v3 offset:5520
	;; [unrolled: 29-line block ×8, first 2 shown]
	s_wait_dscnt 0x1
	;;#ASMSTART
	v_dot2_f32_f16 v14, v16, v34, v14
	;;#ASMEND
	v_mov_b32_e32 v3, v12
	;;#ASMSTART
	v_dot2_f32_f16 v14, v17, v35, v14
	;;#ASMEND
	;;#ASMSTART
	v_dot2_f32_f16 v14, v18, v36, v14
	;;#ASMEND
	;; [unrolled: 3-line block ×3, first 2 shown]
	s_wait_dscnt 0x0
	;;#ASMSTART
	v_dot2_f32_f16 v1, v16, v38, v1
	;;#ASMEND
	;;#ASMSTART
	v_dot2_f32_f16 v1, v17, v39, v1
	;;#ASMEND
	;; [unrolled: 3-line block ×4, first 2 shown]
	s_and_saveexec_b32 s7, s6
	s_cbranch_execz .LBB59_33
; %bb.30:
	s_and_not1_b32 vcc_lo, exec_lo, s26
	s_cbranch_vccnz .LBB59_32
; %bb.31:
	v_mov_b32_e32 v9, 0
	s_delay_alu instid0(VALU_DEP_1) | instskip(NEXT) | instid1(VALU_DEP_1)
	v_mul_u64_e32 v[2:3], s[10:11], v[8:9]
	v_add_nc_u32_e32 v2, v8, v3
	s_delay_alu instid0(VALU_DEP_1) | instskip(NEXT) | instid1(VALU_DEP_1)
	v_lshrrev_b32_e32 v2, s21, v2
	v_mul_lo_u32 v2, v2, s22
	s_delay_alu instid0(VALU_DEP_1) | instskip(NEXT) | instid1(VALU_DEP_1)
	v_sub_nc_u32_e32 v2, v8, v2
	v_mad_u32 v2, v2, s30, v5
	global_load_u16 v2, v2, s[36:37] scale_offset
	s_wait_loadcnt 0x0
	v_cvt_f32_f16_e32 v2, v2
	s_delay_alu instid0(VALU_DEP_1)
	v_mul_f32_e32 v2, v32, v2
.LBB59_32:
	s_delay_alu instid0(VALU_DEP_1) | instskip(NEXT) | instid1(VALU_DEP_1)
	v_dual_add_f32 v14, v14, v2 :: v_dual_max_num_f32 v3, v12, v12
	v_add_f32_e32 v2, 0x40051340, v14
	s_delay_alu instid0(VALU_DEP_1)
	v_max_num_f32_e32 v3, v3, v2
.LBB59_33:
	s_or_b32 exec_lo, exec_lo, s7
	v_xor_b32_e32 v9, 16, v25
	v_xor_b32_e32 v20, 1, v25
	s_delay_alu instid0(VALU_DEP_2) | instskip(SKIP_1) | instid1(VALU_DEP_1)
	v_cmp_gt_i32_e32 vcc_lo, 32, v9
	v_cndmask_b32_e32 v2, v25, v9, vcc_lo
	v_lshlrev_b32_e32 v2, 2, v2
	ds_bpermute_b32 v4, v2, v3
	v_dual_max_num_f32 v3, v3, v3 :: v_dual_bitop2_b32 v16, 8, v25 bitop3:0x14
	s_wait_dscnt 0x0
	v_max_num_f32_e32 v4, v4, v4
	s_delay_alu instid0(VALU_DEP_2) | instskip(NEXT) | instid1(VALU_DEP_2)
	v_cmp_gt_i32_e32 vcc_lo, 32, v16
	v_max_num_f32_e32 v3, v3, v4
	v_cndmask_b32_e32 v17, v25, v16, vcc_lo
	s_delay_alu instid0(VALU_DEP_1) | instskip(SKIP_3) | instid1(VALU_DEP_1)
	v_lshlrev_b32_e32 v34, 2, v17
	ds_bpermute_b32 v4, v34, v3
	s_wait_dscnt 0x0
	v_dual_max_num_f32 v4, v4, v4 :: v_dual_bitop2_b32 v17, 4, v25 bitop3:0x14
	v_cmp_gt_i32_e32 vcc_lo, 32, v17
	s_delay_alu instid0(VALU_DEP_2) | instskip(NEXT) | instid1(VALU_DEP_1)
	v_dual_max_num_f32 v3, v3, v4 :: v_dual_cndmask_b32 v18, v25, v17
	v_lshlrev_b32_e32 v35, 2, v18
	ds_bpermute_b32 v4, v35, v3
	s_wait_dscnt 0x0
	v_dual_max_num_f32 v4, v4, v4 :: v_dual_bitop2_b32 v19, 2, v25 bitop3:0x14
	s_delay_alu instid0(VALU_DEP_1) | instskip(NEXT) | instid1(VALU_DEP_2)
	v_cmp_gt_i32_e32 vcc_lo, 32, v19
	v_dual_max_num_f32 v3, v3, v4 :: v_dual_cndmask_b32 v18, v25, v19
	v_cmp_gt_i32_e32 vcc_lo, 32, v20
	s_delay_alu instid0(VALU_DEP_2) | instskip(SKIP_3) | instid1(VALU_DEP_1)
	v_dual_lshlrev_b32 v36, 2, v18 :: v_dual_cndmask_b32 v18, v25, v20, vcc_lo
	ds_bpermute_b32 v4, v36, v3
	s_wait_dscnt 0x0
	v_dual_max_num_f32 v4, v4, v4 :: v_dual_lshlrev_b32 v37, 2, v18
	v_max_num_f32_e32 v3, v3, v4
	ds_bpermute_b32 v4, v37, v3
	s_wait_dscnt 0x0
	v_dual_max_num_f32 v4, v4, v4 :: v_dual_mov_b32 v18, 32
	s_delay_alu instid0(VALU_DEP_1)
	v_dual_max_num_f32 v4, v3, v4 :: v_dual_mov_b32 v3, v13
	s_and_saveexec_b32 s7, s6
	s_cbranch_execz .LBB59_38
; %bb.34:
	v_cmp_ne_u32_e32 vcc_lo, 1, v15
	s_cbranch_vccnz .LBB59_36
; %bb.35:
	v_dual_mov_b32 v39, 0 :: v_dual_bitop2_b32 v38, 1, v8 bitop3:0x54
	s_delay_alu instid0(VALU_DEP_1) | instskip(NEXT) | instid1(VALU_DEP_1)
	v_mul_u64_e32 v[40:41], s[10:11], v[38:39]
	v_add_nc_u32_e32 v3, v38, v41
	s_delay_alu instid0(VALU_DEP_1) | instskip(NEXT) | instid1(VALU_DEP_1)
	v_lshrrev_b32_e32 v3, s21, v3
	v_mul_lo_u32 v3, v3, s22
	s_delay_alu instid0(VALU_DEP_1) | instskip(NEXT) | instid1(VALU_DEP_1)
	v_sub_nc_u32_e32 v3, v38, v3
	v_mad_u32 v3, v3, s30, v5
	global_load_u16 v3, v3, s[36:37] scale_offset
	s_wait_loadcnt 0x0
	v_cvt_f32_f16_e32 v3, v3
	s_delay_alu instid0(VALU_DEP_1)
	v_mul_f32_e32 v3, v32, v3
	s_branch .LBB59_37
.LBB59_36:
	v_mov_b32_e32 v3, 0
.LBB59_37:
	s_delay_alu instid0(VALU_DEP_1) | instskip(SKIP_1) | instid1(VALU_DEP_2)
	v_add_f32_e32 v1, v1, v3
	v_max_num_f32_e32 v5, v13, v13
	v_add_f32_e32 v3, 0x40051340, v1
	s_delay_alu instid0(VALU_DEP_1)
	v_max_num_f32_e32 v3, v5, v3
.LBB59_38:
	s_or_b32 exec_lo, exec_lo, s7
	ds_bpermute_b32 v2, v2, v3
	v_max_num_f32_e32 v3, v3, v3
	s_wait_dscnt 0x0
	s_barrier_signal -1
	s_barrier_wait -1
	v_max_num_f32_e32 v2, v2, v2
	s_delay_alu instid0(VALU_DEP_1) | instskip(SKIP_3) | instid1(VALU_DEP_1)
	v_max_num_f32_e32 v2, v3, v2
	ds_bpermute_b32 v3, v34, v2
	s_wait_dscnt 0x0
	v_max_num_f32_e32 v3, v3, v3
	v_max_num_f32_e32 v2, v2, v3
	ds_bpermute_b32 v3, v35, v2
	s_wait_dscnt 0x0
	v_max_num_f32_e32 v3, v3, v3
	s_delay_alu instid0(VALU_DEP_1) | instskip(SKIP_3) | instid1(VALU_DEP_1)
	v_max_num_f32_e32 v2, v2, v3
	ds_bpermute_b32 v3, v36, v2
	s_wait_dscnt 0x0
	v_max_num_f32_e32 v3, v3, v3
	v_max_num_f32_e32 v2, v2, v3
	ds_bpermute_b32 v3, v37, v2
	s_wait_dscnt 0x0
	v_max_num_f32_e32 v3, v3, v3
	s_delay_alu instid0(VALU_DEP_1) | instskip(NEXT) | instid1(VALU_DEP_1)
	v_max_num_f32_e32 v5, v2, v3
	v_dual_sub_f32 v2, v14, v4 :: v_dual_sub_f32 v1, v1, v5
	s_delay_alu instid0(VALU_DEP_1) | instskip(NEXT) | instid1(VALU_DEP_2)
	v_cmp_ngt_f32_e32 vcc_lo, 0xc2ce8ed0, v2
	v_mul_f32_e32 v14, 0x3fb8aa3b, v1
	s_delay_alu instid0(VALU_DEP_1) | instskip(SKIP_2) | instid1(VALU_DEP_3)
	v_rndne_f32_e32 v35, v14
	v_mul_f32_e32 v3, 0x3fb8aa3b, v2
	v_fma_f32 v34, 0x3fb8aa3b, v1, -v14
	v_sub_f32_e32 v14, v14, v35
	s_delay_alu instid0(VALU_DEP_3) | instskip(SKIP_1) | instid1(VALU_DEP_2)
	v_fma_f32 v15, 0x3fb8aa3b, v2, -v3
	v_rndne_f32_e32 v32, v3
	v_dual_fmac_f32 v34, 0x32a5705f, v1 :: v_dual_fmac_f32 v15, 0x32a5705f, v2
	s_delay_alu instid0(VALU_DEP_1) | instskip(NEXT) | instid1(VALU_DEP_1)
	v_dual_sub_f32 v3, v3, v32 :: v_dual_add_f32 v14, v14, v34
	v_add_f32_e32 v3, v3, v15
	v_cvt_i32_f32_e32 v15, v32
	v_cvt_i32_f32_e32 v32, v35
	s_delay_alu instid0(VALU_DEP_4) | instskip(NEXT) | instid1(VALU_DEP_3)
	v_exp_f32_e32 v14, v14
	v_exp_f32_e32 v3, v3
	s_delay_alu instid0(TRANS32_DEP_2) | instskip(NEXT) | instid1(TRANS32_DEP_1)
	v_ldexp_f32 v14, v14, v32
	v_ldexp_f32 v3, v3, v15
	s_delay_alu instid0(VALU_DEP_1) | instskip(SKIP_1) | instid1(VALU_DEP_4)
	v_cndmask_b32_e32 v3, 0, v3, vcc_lo
	v_cmp_ngt_f32_e32 vcc_lo, 0xc2ce8ed0, v1
	v_cndmask_b32_e32 v14, 0, v14, vcc_lo
	v_cmp_nlt_f32_e32 vcc_lo, 0x42b17218, v2
	s_delay_alu instid0(VALU_DEP_4) | instskip(SKIP_1) | instid1(VALU_DEP_4)
	v_cndmask_b32_e32 v2, 0x7f800000, v3, vcc_lo
	v_cmp_nlt_f32_e32 vcc_lo, 0x42b17218, v1
	v_cndmask_b32_e32 v1, 0x7f800000, v14, vcc_lo
	v_cmp_gt_u32_e32 vcc_lo, s15, v22
	s_ashr_i32 s15, s14, 31
	s_delay_alu instid0(SALU_CYCLE_1) | instskip(NEXT) | instid1(VALU_DEP_2)
	s_mul_u64 s[6:7], s[24:25], s[14:15]
	v_dual_cndmask_b32 v14, 0, v2 :: v_dual_cndmask_b32 v15, 0, v1
	v_add_nc_u32_e32 v1, v29, v7
	s_lshl_b64 s[6:7], s[6:7], 2
	s_delay_alu instid0(SALU_CYCLE_1) | instskip(NEXT) | instid1(VALU_DEP_2)
	s_add_nc_u64 s[6:7], s[8:9], s[6:7]
	v_cvt_pk_f16_f32 v2, v14, v15
	ds_store_b32 v1, v2
	s_and_saveexec_b32 s8, s5
	s_cbranch_execz .LBB59_40
; %bb.39:
	v_mul_lo_u32 v2, s14, v33
	v_mbcnt_lo_u32_b32 v1, -1, 0
	s_delay_alu instid0(VALU_DEP_1) | instskip(SKIP_1) | instid1(VALU_DEP_4)
	v_dual_mov_b32 v34, 0 :: v_dual_lshlrev_b32 v35, 20, v1
	v_mul_u32_u24_e32 v1, 0x90, v33
	v_ashrrev_i32_e32 v3, 31, v2
	s_delay_alu instid0(VALU_DEP_3) | instskip(SKIP_1) | instid1(VALU_DEP_3)
	v_add_nc_u64_e32 v[38:39], src_flat_scratch_base_lo, v[34:35]
	v_mov_b32_e32 v34, 0
	v_lshl_add_u64 v[2:3], v[2:3], 2, s[6:7]
	s_delay_alu instid0(VALU_DEP_2) | instskip(SKIP_4) | instid1(VALU_DEP_1)
	v_dual_mov_b32 v35, v34 :: v_dual_mov_b32 v36, v34
	s_clause 0x1
	scratch_store_b32 off, v34, off
	scratch_store_b96 off, v[34:36], off offset:4
	v_add_nc_u64_e32 v[2:3], 0x80, v[2:3]
	v_dual_cndmask_b32 v3, v39, v3, s4 :: v_dual_cndmask_b32 v2, v38, v2, s4
	flat_load_b128 v[34:37], v[2:3]
	s_wait_loadcnt_dscnt 0x0
	ds_store_b128 v1, v[34:37] offset:128
.LBB59_40:
	s_wait_xcnt 0x0
	s_or_b32 exec_lo, exec_lo, s8
	v_mul_lo_u32 v2, s14, v21
	v_mbcnt_lo_u32_b32 v33, -1, 0
	v_mov_b32_e32 v32, 0
	v_mad_u32_u24 v21, 0x90, v21, v0
	v_dual_sub_f32 v12, v12, v4 :: v_dual_sub_f32 v13, v13, v5
	s_delay_alu instid0(VALU_DEP_4) | instskip(SKIP_2) | instid1(VALU_DEP_4)
	v_lshlrev_b32_e32 v33, 20, v33
	v_add_nc_u32_e32 v110, 0x800, v27
	v_add_nc_u32_e32 v116, 0xc00, v27
	v_cmp_ngt_f32_e32 vcc_lo, 0xc2ce8ed0, v12
	v_dual_mov_b32 v1, 0 :: v_dual_ashrrev_i32 v3, 31, v2
	v_add_nc_u64_e32 v[32:33], src_flat_scratch_base_lo, v[32:33]
	v_add_nc_u32_e32 v117, 0x1000, v27
	s_delay_alu instid0(VALU_DEP_3) | instskip(NEXT) | instid1(VALU_DEP_1)
	v_lshl_add_u64 v[2:3], v[2:3], 2, s[6:7]
	v_add_nc_u64_e32 v[34:35], v[2:3], v[0:1]
	v_dual_mov_b32 v2, v1 :: v_dual_mov_b32 v0, v1
	s_clause 0x1
	scratch_store_b32 off, v1, off
	scratch_store_b96 off, v[0:2], off offset:4
	v_dual_cndmask_b32 v33, v33, v35, s3 :: v_dual_cndmask_b32 v32, v32, v34, s3
	flat_load_b128 v[0:3], v[32:33]
	s_wait_xcnt 0x0
	v_dual_mul_f32 v32, 0x3fb8aa3b, v12 :: v_dual_mul_f32 v33, 0x3fb8aa3b, v13
	s_delay_alu instid0(VALU_DEP_1) | instskip(SKIP_1) | instid1(VALU_DEP_3)
	v_fma_f32 v34, 0x3fb8aa3b, v12, -v32
	v_rndne_f32_e32 v35, v32
	v_fma_f32 v36, 0x3fb8aa3b, v13, -v33
	v_rndne_f32_e32 v37, v33
	s_delay_alu instid0(VALU_DEP_4) | instskip(NEXT) | instid1(VALU_DEP_3)
	v_fmac_f32_e32 v34, 0x32a5705f, v12
	v_fmac_f32_e32 v36, 0x32a5705f, v13
	s_delay_alu instid0(VALU_DEP_3) | instskip(NEXT) | instid1(VALU_DEP_1)
	v_dual_sub_f32 v33, v33, v37 :: v_dual_sub_f32 v32, v32, v35
	v_dual_add_f32 v33, v33, v36 :: v_dual_add_f32 v32, v32, v34
	v_cvt_i32_f32_e32 v34, v35
	v_cvt_i32_f32_e32 v35, v37
	s_delay_alu instid0(VALU_DEP_3) | instskip(NEXT) | instid1(VALU_DEP_3)
	v_exp_f32_e32 v33, v33
	v_exp_f32_e32 v32, v32
	s_delay_alu instid0(TRANS32_DEP_2) | instskip(NEXT) | instid1(TRANS32_DEP_1)
	v_ldexp_f32 v33, v33, v35
	v_ldexp_f32 v32, v32, v34
	s_delay_alu instid0(VALU_DEP_1) | instskip(SKIP_1) | instid1(VALU_DEP_4)
	v_cndmask_b32_e32 v32, 0, v32, vcc_lo
	v_cmp_ngt_f32_e32 vcc_lo, 0xc2ce8ed0, v13
	v_cndmask_b32_e32 v33, 0, v33, vcc_lo
	v_cmp_nlt_f32_e32 vcc_lo, 0x42b17218, v12
	s_delay_alu instid0(VALU_DEP_4) | instskip(SKIP_1) | instid1(VALU_DEP_2)
	v_cndmask_b32_e32 v12, 0x7f800000, v32, vcc_lo
	v_cmp_nlt_f32_e32 vcc_lo, 0x42b17218, v13
	v_cvt_f16_f32_e32 v32, v12
	v_dual_cndmask_b32 v13, 0x7f800000, v33 :: v_dual_fmac_f32 v14, v10, v12
	v_add_nc_u32_e32 v78, 0x400, v27
	s_delay_alu instid0(VALU_DEP_3) | instskip(NEXT) | instid1(VALU_DEP_3)
	v_and_b32_e32 v32, 0xffff, v32
	v_cvt_f16_f32_e32 v33, v13
	v_fmac_f32_e32 v15, v11, v13
	s_delay_alu instid0(VALU_DEP_3) | instskip(NEXT) | instid1(VALU_DEP_3)
	v_mul_u32_u24_e32 v114, 0x10001, v32
	v_and_b32_e32 v33, 0xffff, v33
	s_delay_alu instid0(VALU_DEP_2) | instskip(NEXT) | instid1(VALU_DEP_2)
	v_pk_mul_f16 v10, v31, v114
	v_mul_u32_u24_e32 v115, 0x10001, v33
	s_delay_alu instid0(VALU_DEP_1)
	v_pk_mul_f16 v12, v30, v115
	s_wait_loadcnt_dscnt 0x0
	ds_store_b128 v21, v[0:3]
	s_wait_storecnt_dscnt 0x0
	s_barrier_signal -1
	s_barrier_wait -1
	ds_load_b128 v[0:3], v29
	ds_load_b128 v[30:33], v29 offset:16
	ds_load_2addr_b64 v[34:37], v27 offset1:18
	ds_load_b128 v[38:41], v29 offset:32
	ds_load_b128 v[42:45], v29 offset:48
	ds_load_2addr_b64 v[46:49], v27 offset0:36 offset1:54
	ds_load_2addr_b64 v[50:53], v27 offset0:72 offset1:90
	;; [unrolled: 1-line block ×3, first 2 shown]
	ds_load_b128 v[58:61], v29 offset:64
	ds_load_b128 v[62:65], v29 offset:80
	ds_load_2addr_b64 v[66:69], v27 offset0:144 offset1:162
	ds_load_2addr_b64 v[70:73], v27 offset0:180 offset1:198
	;; [unrolled: 1-line block ×8, first 2 shown]
	ds_load_b128 v[98:101], v29 offset:96
	ds_load_b128 v[102:105], v29 offset:112
	ds_load_2addr_b64 v[106:109], v110 offset0:176 offset1:194
	ds_load_2addr_b64 v[110:113], v110 offset0:212 offset1:230
	s_wait_dscnt 0x15
	v_lshrrev_b32_e32 v21, 16, v0
	v_and_b32_e32 v0, 0xffff, v0
	v_lshrrev_b32_e32 v27, 16, v1
	v_and_b32_e32 v29, 0xffff, v1
	s_wait_dscnt 0x14
	v_dual_lshrrev_b32 v122, 16, v30 :: v_dual_lshrrev_b32 v124, 16, v31
	v_mul_u32_u24_e32 v151, 0x10001, v0
	v_mul_u32_u24_e32 v21, 0x10001, v21
	v_and_b32_e32 v123, 0xffff, v30
	v_dual_lshrrev_b32 v118, 16, v2 :: v_dual_lshrrev_b32 v120, 16, v3
	s_wait_dscnt 0x13
	v_pk_mul_f16 v30, v34, v151
	v_pk_mul_f16 v34, v34, v21
	v_and_b32_e32 v119, 0xffff, v2
	v_mul_u32_u24_e32 v29, 0x10001, v29
	v_mul_u32_u24_e32 v27, 0x10001, v27
	v_pk_fma_f16 v28, v28, v114, v30
	v_pk_fma_f16 v10, v35, v151, v10
	v_pk_fma_f16 v12, v35, v21, v12
	v_pk_fma_f16 v26, v26, v115, v34
	v_and_b32_e32 v121, 0xffff, v3
	ds_load_2addr_b64 v[0:3], v116 offset0:120 offset1:138
	v_mul_u32_u24_e32 v114, 0x10001, v119
	v_mul_u32_u24_e32 v116, 0x10001, v118
	v_pk_fma_f16 v10, v37, v29, v10
	v_pk_fma_f16 v12, v37, v27, v12
	;; [unrolled: 1-line block ×4, first 2 shown]
	v_and_b32_e32 v125, 0xffff, v31
	v_dual_lshrrev_b32 v126, 16, v32 :: v_dual_lshrrev_b32 v128, 16, v33
	v_and_b32_e32 v127, 0xffff, v32
	v_and_b32_e32 v129, 0xffff, v33
	ds_load_2addr_b64 v[30:33], v117 offset0:28 offset1:46
	v_mul_u32_u24_e32 v117, 0x10001, v121
	v_mul_u32_u24_e32 v118, 0x10001, v120
	s_wait_dscnt 0x12
	v_pk_fma_f16 v10, v47, v114, v10
	v_pk_fma_f16 v12, v47, v116, v12
	;; [unrolled: 1-line block ×4, first 2 shown]
	v_mul_u32_u24_e32 v119, 0x10001, v123
	v_mul_u32_u24_e32 v120, 0x10001, v122
	v_pk_fma_f16 v10, v49, v117, v10
	v_pk_fma_f16 v12, v49, v118, v12
	;; [unrolled: 1-line block ×4, first 2 shown]
	v_mul_u32_u24_e32 v121, 0x10001, v125
	v_mul_u32_u24_e32 v122, 0x10001, v124
	s_wait_dscnt 0x11
	v_pk_fma_f16 v10, v51, v119, v10
	v_pk_fma_f16 v12, v51, v120, v12
	;; [unrolled: 1-line block ×4, first 2 shown]
	v_mul_u32_u24_e32 v123, 0x10001, v127
	v_mul_u32_u24_e32 v124, 0x10001, v126
	v_pk_fma_f16 v10, v53, v121, v10
	v_pk_fma_f16 v12, v53, v122, v12
	v_pk_fma_f16 v28, v52, v121, v28
	v_pk_fma_f16 v26, v52, v122, v26
	v_dual_lshrrev_b32 v130, 16, v38 :: v_dual_lshrrev_b32 v131, 16, v39
	v_and_b32_e32 v38, 0xffff, v38
	v_mul_u32_u24_e32 v125, 0x10001, v129
	v_mul_u32_u24_e32 v126, 0x10001, v128
	s_wait_dscnt 0x10
	v_pk_fma_f16 v10, v55, v123, v10
	v_pk_fma_f16 v12, v55, v124, v12
	v_pk_fma_f16 v28, v54, v123, v28
	v_pk_fma_f16 v26, v54, v124, v26
	v_and_b32_e32 v39, 0xffff, v39
	v_mul_u32_u24_e32 v38, 0x10001, v38
	v_mul_u32_u24_e32 v127, 0x10001, v130
	v_pk_fma_f16 v10, v57, v125, v10
	v_pk_fma_f16 v12, v57, v126, v12
	v_pk_fma_f16 v28, v56, v125, v28
	v_pk_fma_f16 v26, v56, v126, v26
	v_dual_lshrrev_b32 v132, 16, v40 :: v_dual_lshrrev_b32 v133, 16, v41
	v_and_b32_e32 v40, 0xffff, v40
	v_mul_u32_u24_e32 v39, 0x10001, v39
	v_mul_u32_u24_e32 v128, 0x10001, v131
	s_wait_dscnt 0xd
	v_pk_fma_f16 v10, v67, v38, v10
	v_pk_fma_f16 v12, v67, v127, v12
	v_pk_fma_f16 v28, v66, v38, v28
	v_pk_fma_f16 v26, v66, v127, v26
	v_and_b32_e32 v41, 0xffff, v41
	;; [unrolled: 16-line block ×8, first 2 shown]
	v_mul_u32_u24_e32 v40, 0x10001, v64
	v_mul_u32_u24_e32 v41, 0x10001, v144
	v_pk_fma_f16 v10, v93, v38, v10
	v_pk_fma_f16 v12, v93, v39, v12
	;; [unrolled: 1-line block ×4, first 2 shown]
	s_wait_dscnt 0x5
	v_dual_lshrrev_b32 v146, 16, v98 :: v_dual_lshrrev_b32 v147, 16, v99
	v_and_b32_e32 v98, 0xffff, v98
	v_mul_u32_u24_e32 v42, 0x10001, v65
	v_mul_u32_u24_e32 v43, 0x10001, v145
	v_pk_fma_f16 v10, v95, v40, v10
	v_pk_fma_f16 v12, v95, v41, v12
	v_pk_fma_f16 v28, v94, v40, v28
	v_pk_fma_f16 v21, v94, v41, v21
	v_and_b32_e32 v99, 0xffff, v99
	v_mul_u32_u24_e32 v44, 0x10001, v98
	v_mul_u32_u24_e32 v45, 0x10001, v146
	v_pk_fma_f16 v10, v97, v42, v10
	v_pk_fma_f16 v12, v97, v43, v12
	v_pk_fma_f16 v28, v96, v42, v28
	v_pk_fma_f16 v21, v96, v43, v21
	v_dual_lshrrev_b32 v148, 16, v100 :: v_dual_lshrrev_b32 v149, 16, v101
	v_and_b32_e32 v100, 0xffff, v100
	v_mul_u32_u24_e32 v26, 0x10001, v99
	v_mul_u32_u24_e32 v27, 0x10001, v147
	s_wait_dscnt 0x3
	v_pk_fma_f16 v10, v107, v44, v10
	v_pk_fma_f16 v12, v107, v45, v12
	v_pk_fma_f16 v28, v106, v44, v28
	v_pk_fma_f16 v21, v106, v45, v21
	v_and_b32_e32 v101, 0xffff, v101
	v_mul_u32_u24_e32 v29, 0x10001, v100
	v_mul_u32_u24_e32 v34, 0x10001, v148
	v_pk_fma_f16 v10, v109, v26, v10
	v_pk_fma_f16 v12, v109, v27, v12
	v_pk_fma_f16 v26, v108, v26, v28
	v_pk_fma_f16 v21, v108, v27, v21
	v_dual_lshrrev_b32 v150, 16, v102 :: v_dual_lshrrev_b32 v152, 16, v103
	v_and_b32_e32 v102, 0xffff, v102
	v_mul_u32_u24_e32 v35, 0x10001, v101
	v_mul_u32_u24_e32 v36, 0x10001, v149
	s_wait_dscnt 0x2
	;; [unrolled: 16-line block ×3, first 2 shown]
	v_pk_fma_f16 v10, v1, v37, v10
	v_pk_fma_f16 v1, v1, v38, v12
	;; [unrolled: 1-line block ×4, first 2 shown]
	v_and_b32_e32 v105, 0xffff, v105
	v_mul_u32_u24_e32 v28, 0x10001, v104
	v_mul_u32_u24_e32 v29, 0x10001, v153
	v_pk_fma_f16 v10, v3, v39, v10
	v_pk_fma_f16 v1, v3, v27, v1
	;; [unrolled: 1-line block ×4, first 2 shown]
	v_mul_u32_u24_e32 v21, 0x10001, v105
	v_mul_u32_u24_e32 v2, 0x10001, v154
	s_wait_dscnt 0x0
	v_pk_fma_f16 v10, v31, v28, v10
	v_pk_fma_f16 v1, v31, v29, v1
	;; [unrolled: 1-line block ×4, first 2 shown]
	v_mov_b64_e32 v[12:13], v[4:5]
	v_pk_fma_f16 v31, v33, v21, v10
	v_pk_fma_f16 v30, v33, v2, v1
	;; [unrolled: 1-line block ×4, first 2 shown]
	s_barrier_signal -1
	s_barrier_wait -1
.LBB59_41:
	v_cmp_lt_i32_e32 vcc_lo, v9, v18
	s_cmp_eq_u64 s[12:13], 0
	s_cselect_b32 s3, -1, 0
	s_cmp_lg_u32 s20, 0
	v_cndmask_b32_e32 v0, v25, v9, vcc_lo
	v_cmp_lt_i32_e32 vcc_lo, v16, v18
	s_cselect_b32 s4, -1, 0
	s_delay_alu instid0(SALU_CYCLE_1) | instskip(SKIP_3) | instid1(VALU_DEP_3)
	s_or_b32 s3, s4, s3
	v_cndmask_b32_e32 v2, v25, v16, vcc_lo
	v_lshlrev_b32_e32 v1, 2, v0
	v_cmp_lt_i32_e32 vcc_lo, v17, v18
	v_lshlrev_b32_e32 v3, 2, v2
	ds_bpermute_b32 v0, v1, v14
	ds_bpermute_b32 v1, v1, v15
	v_cndmask_b32_e32 v4, v25, v17, vcc_lo
	v_cmp_lt_i32_e32 vcc_lo, v19, v18
	s_delay_alu instid0(VALU_DEP_2)
	v_lshlrev_b32_e32 v4, 2, v4
	s_wait_dscnt 0x0
	v_pk_add_f32 v[0:1], v[14:15], v[0:1]
	ds_bpermute_b32 v2, v3, v0
	ds_bpermute_b32 v3, v3, v1
	s_wait_dscnt 0x0
	v_pk_add_f32 v[0:1], v[0:1], v[2:3]
	ds_bpermute_b32 v2, v4, v0
	ds_bpermute_b32 v3, v4, v1
	v_cndmask_b32_e32 v4, v25, v19, vcc_lo
	v_cmp_lt_i32_e32 vcc_lo, v20, v18
	s_delay_alu instid0(VALU_DEP_2)
	v_lshlrev_b32_e32 v4, 2, v4
	s_wait_dscnt 0x0
	v_pk_add_f32 v[0:1], v[0:1], v[2:3]
	ds_bpermute_b32 v2, v4, v0
	ds_bpermute_b32 v3, v4, v1
	v_cndmask_b32_e32 v4, v25, v20, vcc_lo
	s_and_b32 vcc_lo, exec_lo, s3
	s_delay_alu instid0(VALU_DEP_1)
	v_lshlrev_b32_e32 v4, 2, v4
	s_wait_dscnt 0x0
	v_pk_add_f32 v[0:1], v[0:1], v[2:3]
	ds_bpermute_b32 v2, v4, v0
	ds_bpermute_b32 v3, v4, v1
	s_wait_dscnt 0x0
	v_pk_add_f32 v[0:1], v[0:1], v[2:3]
	s_cbranch_vccnz .LBB59_43
; %bb.42:
	v_dual_mov_b32 v2, s31 :: v_dual_max_num_f32 v5, v13, v13
	global_load_b32 v4, v2, s[12:13] scale_offset
	s_wait_xcnt 0x0
	v_max_num_f32_e32 v2, v12, v12
	s_wait_loadcnt 0x0
	v_max_num_f32_e32 v3, v4, v4
	s_delay_alu instid0(VALU_DEP_1) | instskip(NEXT) | instid1(VALU_DEP_1)
	v_dual_max_num_f32 v2, v2, v3 :: v_dual_max_num_f32 v3, v5, v3
	v_dual_sub_f32 v5, v12, v2 :: v_dual_sub_f32 v10, v13, v3
	v_dual_sub_f32 v9, v4, v2 :: v_dual_sub_f32 v11, v4, v3
	s_delay_alu instid0(VALU_DEP_2) | instskip(SKIP_1) | instid1(VALU_DEP_2)
	v_dual_mul_f32 v4, 0x3fb8aa3b, v5 :: v_dual_mul_f32 v13, 0x3fb8aa3b, v10
	v_cmp_ngt_f32_e32 vcc_lo, 0xc2ce8ed0, v5
	v_fma_f32 v15, 0x3fb8aa3b, v5, -v4
	v_rndne_f32_e32 v16, v4
	s_delay_alu instid0(VALU_DEP_4) | instskip(SKIP_2) | instid1(VALU_DEP_4)
	v_fma_f32 v19, 0x3fb8aa3b, v10, -v13
	v_rndne_f32_e32 v20, v13
	v_mul_f32_e32 v12, 0x3fb8aa3b, v9
	v_dual_fmac_f32 v15, 0x32a5705f, v5 :: v_dual_sub_f32 v4, v4, v16
	s_delay_alu instid0(VALU_DEP_4) | instskip(NEXT) | instid1(VALU_DEP_4)
	v_fmac_f32_e32 v19, 0x32a5705f, v10
	v_sub_f32_e32 v13, v13, v20
	s_delay_alu instid0(VALU_DEP_4) | instskip(SKIP_4) | instid1(VALU_DEP_4)
	v_fma_f32 v17, 0x3fb8aa3b, v9, -v12
	v_rndne_f32_e32 v18, v12
	v_add_f32_e32 v4, v4, v15
	v_cvt_i32_f32_e32 v16, v16
	v_add_f32_e32 v13, v13, v19
	v_dual_fmac_f32 v17, 0x32a5705f, v9 :: v_dual_sub_f32 v12, v12, v18
	s_delay_alu instid0(VALU_DEP_4) | instskip(SKIP_1) | instid1(VALU_DEP_3)
	v_exp_f32_e32 v4, v4
	v_cvt_i32_f32_e32 v15, v18
	v_exp_f32_e32 v13, v13
	s_delay_alu instid0(TRANS32_DEP_2) | instskip(SKIP_2) | instid1(VALU_DEP_3)
	v_ldexp_f32 v4, v4, v16
	v_add_f32_e32 v12, v12, v17
	v_cvt_i32_f32_e32 v17, v20
	v_cndmask_b32_e32 v4, 0, v4, vcc_lo
	v_cmp_ngt_f32_e32 vcc_lo, 0xc2ce8ed0, v10
	s_delay_alu instid0(TRANS32_DEP_1) | instid1(VALU_DEP_3)
	v_ldexp_f32 v13, v13, v17
	v_mul_f32_e32 v14, 0x3fb8aa3b, v11
	v_exp_f32_e32 v12, v12
	s_delay_alu instid0(VALU_DEP_2) | instskip(SKIP_1) | instid1(VALU_DEP_3)
	v_cndmask_b32_e32 v13, 0, v13, vcc_lo
	v_cmp_nlt_f32_e32 vcc_lo, 0x42b17218, v5
	v_fma_f32 v21, 0x3fb8aa3b, v11, -v14
	v_rndne_f32_e32 v25, v14
	s_delay_alu instid0(TRANS32_DEP_1) | instskip(SKIP_2) | instid1(VALU_DEP_4)
	v_ldexp_f32 v12, v12, v15
	v_cndmask_b32_e32 v4, 0x7f800000, v4, vcc_lo
	v_cmp_nlt_f32_e32 vcc_lo, 0x42b17218, v10
	v_sub_f32_e32 v14, v14, v25
	v_cvt_i32_f32_e32 v18, v25
	v_cndmask_b32_e32 v5, 0x7f800000, v13, vcc_lo
	v_cmp_ngt_f32_e32 vcc_lo, 0xc2ce8ed0, v9
	v_fmac_f32_e32 v21, 0x32a5705f, v11
	v_cvt_f16_f32_e32 v13, v4
	v_cndmask_b32_e32 v12, 0, v12, vcc_lo
	v_cmp_ngt_f32_e32 vcc_lo, 0xc2ce8ed0, v11
	s_delay_alu instid0(VALU_DEP_4) | instskip(NEXT) | instid1(VALU_DEP_4)
	v_add_f32_e32 v14, v14, v21
	v_and_b32_e32 v13, 0xffff, v13
	s_delay_alu instid0(VALU_DEP_2) | instskip(SKIP_1) | instid1(TRANS32_DEP_1)
	v_exp_f32_e32 v14, v14
	v_nop
	v_ldexp_f32 v10, v14, v18
	v_cvt_f16_f32_e32 v14, v5
	s_delay_alu instid0(VALU_DEP_2) | instskip(SKIP_1) | instid1(VALU_DEP_3)
	v_cndmask_b32_e32 v15, 0, v10, vcc_lo
	v_cmp_nlt_f32_e32 vcc_lo, 0x42b17218, v9
	v_and_b32_e32 v9, 0xffff, v14
	v_cndmask_b32_e32 v10, 0x7f800000, v12, vcc_lo
	v_cmp_nlt_f32_e32 vcc_lo, 0x42b17218, v11
	v_mul_u32_u24_e32 v12, 0x10001, v13
	s_delay_alu instid0(VALU_DEP_4) | instskip(SKIP_1) | instid1(VALU_DEP_3)
	v_mul_u32_u24_e32 v9, 0x10001, v9
	v_cndmask_b32_e32 v11, 0x7f800000, v15, vcc_lo
	v_pk_mul_f16 v28, v28, v12
	v_pk_mul_f16 v31, v31, v12
	v_mov_b64_e32 v[12:13], v[2:3]
	v_pk_mul_f16 v26, v26, v9
	v_pk_fma_f32 v[0:1], v[0:1], v[4:5], v[10:11]
	v_pk_mul_f16 v30, v30, v9
.LBB59_43:
	s_mov_b32 s3, exec_lo
	v_cmpx_gt_i32_e64 s22, v8
	s_cbranch_execz .LBB59_57
; %bb.44:
	s_load_b32 s0, s[0:1], 0xd4
	v_mov_b32_e32 v2, 1.0
	s_wait_kmcnt 0x0
	s_cmp_lg_u32 s0, 1
	s_cselect_b32 s4, -1, 0
	s_cmp_eq_u32 s0, 1
	s_cselect_b32 s1, -1, 0
	s_and_b32 vcc_lo, exec_lo, s4
	s_cbranch_vccnz .LBB59_46
; %bb.45:
	v_div_scale_f32 v2, null, v0, v0, 1.0
	s_delay_alu instid0(VALU_DEP_1) | instskip(SKIP_1) | instid1(TRANS32_DEP_1)
	v_rcp_f32_e32 v3, v2
	v_nop
	v_fma_f32 v4, -v2, v3, 1.0
	s_delay_alu instid0(VALU_DEP_1) | instskip(SKIP_1) | instid1(VALU_DEP_1)
	v_fmac_f32_e32 v3, v4, v3
	v_div_scale_f32 v4, vcc_lo, 1.0, v0, 1.0
	v_mul_f32_e32 v5, v4, v3
	s_delay_alu instid0(VALU_DEP_1) | instskip(NEXT) | instid1(VALU_DEP_1)
	v_fma_f32 v8, -v2, v5, v4
	v_fmac_f32_e32 v5, v8, v3
	s_delay_alu instid0(VALU_DEP_1) | instskip(NEXT) | instid1(VALU_DEP_1)
	v_fma_f32 v2, -v2, v5, v4
	v_div_fmas_f32 v2, v2, v3, v5
	s_delay_alu instid0(VALU_DEP_1)
	v_div_fixup_f32 v2, v2, v0, 1.0
.LBB59_46:
	s_mul_i32 s3, s34, s22
	s_delay_alu instid0(SALU_CYCLE_1) | instskip(NEXT) | instid1(SALU_CYCLE_1)
	s_add_co_i32 s3, s3, s33
	v_add_nc_u32_e32 v3, s3, v24
	s_delay_alu instid0(VALU_DEP_1) | instskip(NEXT) | instid1(VALU_DEP_1)
	v_mad_u32 v3, v3, s23, s31
	v_mad_u32 v3, s0, v3, s20
	s_and_saveexec_b32 s5, s2
	s_cbranch_execz .LBB59_48
; %bb.47:
	s_delay_alu instid0(VALU_DEP_1) | instskip(SKIP_4) | instid1(VALU_DEP_4)
	v_mad_u32 v4, 0x48, v3, v7
	v_dual_lshrrev_b32 v9, 16, v28 :: v_dual_lshrrev_b32 v11, 16, v31
	v_mov_b32_e32 v5, 0
	v_cvt_f32_f16_e32 v8, v28
	v_cvt_f32_f16_e32 v10, v31
	;; [unrolled: 1-line block ×4, first 2 shown]
	s_delay_alu instid0(VALU_DEP_2) | instskip(SKIP_1) | instid1(VALU_DEP_3)
	v_pk_mul_f32 v[8:9], v[2:3], v[8:9] op_sel_hi:[0,1]
	v_lshl_add_u64 v[4:5], v[4:5], 2, s[16:17]
	v_pk_mul_f32 v[10:11], v[2:3], v[10:11] op_sel_hi:[0,1]
	global_store_b128 v[4:5], v[8:11], off
.LBB59_48:
	s_wait_xcnt 0x0
	s_or_b32 exec_lo, exec_lo, s5
	v_cmp_eq_u32_e32 vcc_lo, 0, v22
	s_and_b32 s4, vcc_lo, s4
	s_delay_alu instid0(SALU_CYCLE_1)
	s_and_saveexec_b32 s5, s4
	s_cbranch_execz .LBB59_50
; %bb.49:
	v_dual_mov_b32 v4, v12 :: v_dual_mov_b32 v5, v0
	global_store_b64 v3, v[4:5], s[18:19] scale_offset
.LBB59_50:
	s_wait_xcnt 0x0
	s_or_b32 exec_lo, exec_lo, s5
	v_cmp_gt_i32_e32 vcc_lo, s22, v6
	s_and_b32 exec_lo, exec_lo, vcc_lo
	s_cbranch_execz .LBB59_57
; %bb.51:
	v_mov_b32_e32 v0, 1.0
	s_and_not1_b32 vcc_lo, exec_lo, s1
	s_cbranch_vccnz .LBB59_53
; %bb.52:
	v_div_scale_f32 v0, null, v1, v1, 1.0
	s_delay_alu instid0(VALU_DEP_1) | instskip(SKIP_1) | instid1(TRANS32_DEP_1)
	v_rcp_f32_e32 v2, v0
	v_nop
	v_fma_f32 v3, -v0, v2, 1.0
	s_delay_alu instid0(VALU_DEP_1) | instskip(SKIP_1) | instid1(VALU_DEP_1)
	v_fmac_f32_e32 v2, v3, v2
	v_div_scale_f32 v3, vcc_lo, 1.0, v1, 1.0
	v_mul_f32_e32 v4, v3, v2
	s_delay_alu instid0(VALU_DEP_1) | instskip(NEXT) | instid1(VALU_DEP_1)
	v_fma_f32 v5, -v0, v4, v3
	v_fmac_f32_e32 v4, v5, v2
	s_delay_alu instid0(VALU_DEP_1) | instskip(NEXT) | instid1(VALU_DEP_1)
	v_fma_f32 v0, -v0, v4, v3
	v_div_fmas_f32 v0, v0, v2, v4
	s_delay_alu instid0(VALU_DEP_1)
	v_div_fixup_f32 v0, v0, v1, 1.0
.LBB59_53:
	v_add_nc_u32_e32 v2, s3, v23
	s_delay_alu instid0(VALU_DEP_1) | instskip(NEXT) | instid1(VALU_DEP_1)
	v_mad_u32 v2, v2, s23, s31
	v_mad_u32 v2, s0, v2, s20
	s_and_saveexec_b32 s0, s2
	s_cbranch_execz .LBB59_55
; %bb.54:
	s_delay_alu instid0(VALU_DEP_1) | instskip(SKIP_4) | instid1(VALU_DEP_4)
	v_mad_u32 v6, 0x48, v2, v7
	v_dual_lshrrev_b32 v3, 16, v26 :: v_dual_mov_b32 v7, 0
	v_lshrrev_b32_e32 v9, 16, v30
	v_cvt_f32_f16_e32 v4, v26
	v_cvt_f32_f16_e32 v8, v30
	v_cvt_f32_f16_e32 v5, v3
	s_delay_alu instid0(VALU_DEP_4) | instskip(NEXT) | instid1(VALU_DEP_2)
	v_cvt_f32_f16_e32 v9, v9
	v_pk_mul_f32 v[4:5], v[0:1], v[4:5] op_sel_hi:[0,1]
	v_lshl_add_u64 v[10:11], v[6:7], 2, s[16:17]
	s_delay_alu instid0(VALU_DEP_3)
	v_pk_mul_f32 v[6:7], v[0:1], v[8:9] op_sel_hi:[0,1]
	global_store_b128 v[10:11], v[4:7], off
.LBB59_55:
	s_wait_xcnt 0x0
	s_or_b32 exec_lo, exec_lo, s0
	s_delay_alu instid0(SALU_CYCLE_1)
	s_and_b32 exec_lo, exec_lo, s4
	s_cbranch_execz .LBB59_57
; %bb.56:
	v_mov_b32_e32 v0, v13
	global_store_b64 v2, v[0:1], s[18:19] scale_offset
.LBB59_57:
	s_sendmsg sendmsg(MSG_DEALLOC_VGPRS)
	s_endpgm
	.section	.rodata,"a",@progbits
	.p2align	6, 0x0
	.amdhsa_kernel _ZL15flash_attn_tileILi72ELi72ELi16ELi1ELb0EEvPKcS1_S1_S1_S1_PKiPfP15HIP_vector_typeIfLj2EEffffjfiS5_IjLj3EEiiiiiiiiiiiliiliiiiil
		.amdhsa_group_segment_fixed_size 8672
		.amdhsa_private_segment_fixed_size 32
		.amdhsa_kernarg_size 464
		.amdhsa_user_sgpr_count 2
		.amdhsa_user_sgpr_dispatch_ptr 0
		.amdhsa_user_sgpr_queue_ptr 0
		.amdhsa_user_sgpr_kernarg_segment_ptr 1
		.amdhsa_user_sgpr_dispatch_id 0
		.amdhsa_user_sgpr_kernarg_preload_length 0
		.amdhsa_user_sgpr_kernarg_preload_offset 0
		.amdhsa_user_sgpr_private_segment_size 0
		.amdhsa_wavefront_size32 1
		.amdhsa_uses_dynamic_stack 0
		.amdhsa_enable_private_segment 1
		.amdhsa_system_sgpr_workgroup_id_x 1
		.amdhsa_system_sgpr_workgroup_id_y 1
		.amdhsa_system_sgpr_workgroup_id_z 1
		.amdhsa_system_sgpr_workgroup_info 0
		.amdhsa_system_vgpr_workitem_id 1
		.amdhsa_next_free_vgpr 155
		.amdhsa_next_free_sgpr 48
		.amdhsa_named_barrier_count 0
		.amdhsa_reserve_vcc 1
		.amdhsa_float_round_mode_32 0
		.amdhsa_float_round_mode_16_64 0
		.amdhsa_float_denorm_mode_32 3
		.amdhsa_float_denorm_mode_16_64 3
		.amdhsa_fp16_overflow 0
		.amdhsa_memory_ordered 1
		.amdhsa_forward_progress 1
		.amdhsa_inst_pref_size 104
		.amdhsa_round_robin_scheduling 0
		.amdhsa_exception_fp_ieee_invalid_op 0
		.amdhsa_exception_fp_denorm_src 0
		.amdhsa_exception_fp_ieee_div_zero 0
		.amdhsa_exception_fp_ieee_overflow 0
		.amdhsa_exception_fp_ieee_underflow 0
		.amdhsa_exception_fp_ieee_inexact 0
		.amdhsa_exception_int_div_zero 0
	.end_amdhsa_kernel
	.section	.text._ZL15flash_attn_tileILi72ELi72ELi16ELi1ELb0EEvPKcS1_S1_S1_S1_PKiPfP15HIP_vector_typeIfLj2EEffffjfiS5_IjLj3EEiiiiiiiiiiiliiliiiiil,"axG",@progbits,_ZL15flash_attn_tileILi72ELi72ELi16ELi1ELb0EEvPKcS1_S1_S1_S1_PKiPfP15HIP_vector_typeIfLj2EEffffjfiS5_IjLj3EEiiiiiiiiiiiliiliiiiil,comdat
.Lfunc_end59:
	.size	_ZL15flash_attn_tileILi72ELi72ELi16ELi1ELb0EEvPKcS1_S1_S1_S1_PKiPfP15HIP_vector_typeIfLj2EEffffjfiS5_IjLj3EEiiiiiiiiiiiliiliiiiil, .Lfunc_end59-_ZL15flash_attn_tileILi72ELi72ELi16ELi1ELb0EEvPKcS1_S1_S1_S1_PKiPfP15HIP_vector_typeIfLj2EEffffjfiS5_IjLj3EEiiiiiiiiiiiliiliiiiil
                                        ; -- End function
	.set _ZL15flash_attn_tileILi72ELi72ELi16ELi1ELb0EEvPKcS1_S1_S1_S1_PKiPfP15HIP_vector_typeIfLj2EEffffjfiS5_IjLj3EEiiiiiiiiiiiliiliiiiil.num_vgpr, 155
	.set _ZL15flash_attn_tileILi72ELi72ELi16ELi1ELb0EEvPKcS1_S1_S1_S1_PKiPfP15HIP_vector_typeIfLj2EEffffjfiS5_IjLj3EEiiiiiiiiiiiliiliiiiil.num_agpr, 0
	.set _ZL15flash_attn_tileILi72ELi72ELi16ELi1ELb0EEvPKcS1_S1_S1_S1_PKiPfP15HIP_vector_typeIfLj2EEffffjfiS5_IjLj3EEiiiiiiiiiiiliiliiiiil.numbered_sgpr, 48
	.set _ZL15flash_attn_tileILi72ELi72ELi16ELi1ELb0EEvPKcS1_S1_S1_S1_PKiPfP15HIP_vector_typeIfLj2EEffffjfiS5_IjLj3EEiiiiiiiiiiiliiliiiiil.num_named_barrier, 0
	.set _ZL15flash_attn_tileILi72ELi72ELi16ELi1ELb0EEvPKcS1_S1_S1_S1_PKiPfP15HIP_vector_typeIfLj2EEffffjfiS5_IjLj3EEiiiiiiiiiiiliiliiiiil.private_seg_size, 32
	.set _ZL15flash_attn_tileILi72ELi72ELi16ELi1ELb0EEvPKcS1_S1_S1_S1_PKiPfP15HIP_vector_typeIfLj2EEffffjfiS5_IjLj3EEiiiiiiiiiiiliiliiiiil.uses_vcc, 1
	.set _ZL15flash_attn_tileILi72ELi72ELi16ELi1ELb0EEvPKcS1_S1_S1_S1_PKiPfP15HIP_vector_typeIfLj2EEffffjfiS5_IjLj3EEiiiiiiiiiiiliiliiiiil.uses_flat_scratch, 1
	.set _ZL15flash_attn_tileILi72ELi72ELi16ELi1ELb0EEvPKcS1_S1_S1_S1_PKiPfP15HIP_vector_typeIfLj2EEffffjfiS5_IjLj3EEiiiiiiiiiiiliiliiiiil.has_dyn_sized_stack, 0
	.set _ZL15flash_attn_tileILi72ELi72ELi16ELi1ELb0EEvPKcS1_S1_S1_S1_PKiPfP15HIP_vector_typeIfLj2EEffffjfiS5_IjLj3EEiiiiiiiiiiiliiliiiiil.has_recursion, 0
	.set _ZL15flash_attn_tileILi72ELi72ELi16ELi1ELb0EEvPKcS1_S1_S1_S1_PKiPfP15HIP_vector_typeIfLj2EEffffjfiS5_IjLj3EEiiiiiiiiiiiliiliiiiil.has_indirect_call, 0
	.section	.AMDGPU.csdata,"",@progbits
; Kernel info:
; codeLenInByte = 13220
; TotalNumSgprs: 50
; NumVgprs: 155
; ScratchSize: 32
; MemoryBound: 0
; FloatMode: 240
; IeeeMode: 1
; LDSByteSize: 8672 bytes/workgroup (compile time only)
; SGPRBlocks: 0
; VGPRBlocks: 9
; NumSGPRsForWavesPerEU: 50
; NumVGPRsForWavesPerEU: 155
; NamedBarCnt: 0
; Occupancy: 6
; WaveLimiterHint : 1
; COMPUTE_PGM_RSRC2:SCRATCH_EN: 1
; COMPUTE_PGM_RSRC2:USER_SGPR: 2
; COMPUTE_PGM_RSRC2:TRAP_HANDLER: 0
; COMPUTE_PGM_RSRC2:TGID_X_EN: 1
; COMPUTE_PGM_RSRC2:TGID_Y_EN: 1
; COMPUTE_PGM_RSRC2:TGID_Z_EN: 1
; COMPUTE_PGM_RSRC2:TIDIG_COMP_CNT: 1
	.section	.text._ZL33flash_attn_stream_k_fixup_uniformILi72ELi16ELi1EEvPfPK15HIP_vector_typeIfLj2EEiiiiiiS1_IjLj3EES5_S5_,"axG",@progbits,_ZL33flash_attn_stream_k_fixup_uniformILi72ELi16ELi1EEvPfPK15HIP_vector_typeIfLj2EEiiiiiiS1_IjLj3EES5_S5_,comdat
	.globl	_ZL33flash_attn_stream_k_fixup_uniformILi72ELi16ELi1EEvPfPK15HIP_vector_typeIfLj2EEiiiiiiS1_IjLj3EES5_S5_ ; -- Begin function _ZL33flash_attn_stream_k_fixup_uniformILi72ELi16ELi1EEvPfPK15HIP_vector_typeIfLj2EEiiiiiiS1_IjLj3EES5_S5_
	.p2align	8
	.type	_ZL33flash_attn_stream_k_fixup_uniformILi72ELi16ELi1EEvPfPK15HIP_vector_typeIfLj2EEiiiiiiS1_IjLj3EES5_S5_,@function
_ZL33flash_attn_stream_k_fixup_uniformILi72ELi16ELi1EEvPfPK15HIP_vector_typeIfLj2EEiiiiiiS1_IjLj3EES5_S5_: ; @_ZL33flash_attn_stream_k_fixup_uniformILi72ELi16ELi1EEvPfPK15HIP_vector_typeIfLj2EEiiiiiiS1_IjLj3EES5_S5_
; %bb.0:
	s_load_b256 s[4:11], s[0:1], 0x1c
	s_bfe_u32 s2, ttmp6, 0x40014
	s_lshr_b32 s3, ttmp7, 16
	s_add_co_i32 s2, s2, 1
	s_bfe_u32 s13, ttmp6, 0x40010
	s_mul_i32 s2, s3, s2
	s_bfe_u32 s12, ttmp6, 0x40008
	s_and_b32 s14, ttmp7, 0xffff
	s_add_co_i32 s13, s13, 1
	s_bfe_u32 s15, ttmp6, 0x4000c
	s_add_co_i32 s2, s12, s2
	s_mul_i32 s12, s14, s13
	s_bfe_u32 s13, ttmp6, 0x40004
	s_add_co_i32 s15, s15, 1
	s_add_co_i32 s13, s13, s12
	s_and_b32 s12, ttmp6, 15
	s_mul_i32 s15, ttmp9, s15
	s_getreg_b32 s20, hwreg(HW_REG_IB_STS2, 6, 4)
	s_add_co_i32 s12, s12, s15
	s_load_b128 s[16:19], s[0:1], 0x3c
	s_cmp_eq_u32 s20, 0
	s_cselect_b32 s12, ttmp9, s12
	s_cselect_b32 s13, s14, s13
	s_wait_kmcnt 0x0
	s_mul_hi_u32 s7, s7, s12
	s_cselect_b32 s14, s3, s2
	s_add_co_i32 s2, s12, s7
	s_delay_alu instid0(SALU_CYCLE_1) | instskip(NEXT) | instid1(SALU_CYCLE_1)
	s_lshr_b32 s7, s2, s8
	s_mul_i32 s2, s7, s9
	s_delay_alu instid0(SALU_CYCLE_1) | instskip(NEXT) | instid1(SALU_CYCLE_1)
	s_sub_co_i32 s8, s12, s2
	s_mul_hi_u32 s2, s8, s10
	s_delay_alu instid0(SALU_CYCLE_1) | instskip(SKIP_2) | instid1(SALU_CYCLE_1)
	s_add_co_i32 s9, s8, s2
	s_load_b64 s[2:3], s[0:1], 0x10
	s_lshr_b32 s15, s9, s11
	s_mul_i32 s9, s15, s16
	s_delay_alu instid0(SALU_CYCLE_1) | instskip(NEXT) | instid1(SALU_CYCLE_1)
	s_sub_co_i32 s8, s8, s9
	s_mul_hi_u32 s9, s8, s17
	s_delay_alu instid0(SALU_CYCLE_1) | instskip(NEXT) | instid1(SALU_CYCLE_1)
	s_add_co_i32 s9, s8, s9
	s_lshr_b32 s17, s9, s18
	s_delay_alu instid0(SALU_CYCLE_1) | instskip(NEXT) | instid1(SALU_CYCLE_1)
	s_mul_i32 s9, s17, s19
	s_sub_co_i32 s16, s8, s9
	s_delay_alu instid0(SALU_CYCLE_1) | instskip(NEXT) | instid1(SALU_CYCLE_1)
	s_lshl_b32 s8, s16, 4
	s_add_co_i32 s8, s8, s13
	s_wait_kmcnt 0x0
	s_cmp_lt_i32 s8, s2
	s_cselect_b32 s8, -1, 0
	s_add_co_i32 s17, s17, s14
	s_delay_alu instid0(SALU_CYCLE_1) | instskip(SKIP_1) | instid1(SALU_CYCLE_1)
	s_cmp_lt_i32 s17, s5
	s_cselect_b32 s9, -1, 0
	s_and_b32 s8, s8, s9
	s_delay_alu instid0(SALU_CYCLE_1)
	s_and_not1_b32 vcc_lo, exec_lo, s8
	s_cbranch_vccnz .LBB60_6
; %bb.1:
	s_load_b128 s[8:11], s[0:1], 0x0
	s_wait_xcnt 0x0
	s_mul_i32 s0, s7, s2
	s_mul_i32 s15, s15, s5
	s_add_co_i32 s0, s0, s13
	s_add_co_i32 s1, s17, s15
	s_mul_i32 s0, s0, s3
	s_mul_i32 s2, s3, s16
	s_add_co_i32 s0, s1, s0
	s_mulk_i32 s2, 0x480
	s_mulk_i32 s0, 0x48
	s_mul_i32 s7, s6, s12
	v_add3_u32 v4, s0, s2, v0
	s_add_co_i32 s5, s7, s6
	s_add_co_i32 s13, s13, s14
	s_lshl_b32 s0, s5, 4
	s_add_co_i32 s2, s5, -2
	s_add_co_i32 s0, s13, s0
	v_ashrrev_i32_e32 v5, 31, v4
	s_add_co_i32 s0, s0, -16
	s_delay_alu instid0(SALU_CYCLE_1)
	s_ashr_i32 s1, s0, 31
	s_wait_kmcnt 0x0
	global_load_b32 v3, v4, s[8:9] scale_offset
	s_lshl_b64 s[0:1], s[0:1], 3
	s_cmp_lt_i32 s2, s7
	s_add_nc_u64 s[0:1], s[10:11], s[0:1]
	s_load_b32 s14, s[0:1], 0x4
	s_cbranch_scc1 .LBB60_4
; %bb.2:
	s_wait_xcnt 0x0
	s_load_b32 s0, s[0:1], 0x0
	s_add_co_i32 s12, s12, 1
	s_lshl_b32 s2, s4, 6
	s_wait_xcnt 0x0
	s_mul_i32 s1, s6, s12
	s_mul_i32 s6, s13, 0x48
	s_lshl_b32 s12, s1, 4
	s_mulk_i32 s1, 0x480
	s_ashr_i32 s3, s2, 31
	s_add_co_i32 s6, s6, s1
	s_add_co_i32 s12, s13, s12
	s_lshl_b32 s1, s4, 4
	v_add3_u32 v0, s6, v0, 0xfffff700
	s_wait_kmcnt 0x0
	v_mov_b32_e32 v2, s14
	s_lshl_b64 s[2:3], s[2:3], 2
	s_add_co_i32 s12, s12, s1
	s_add_nc_u64 s[2:3], s[10:11], s[2:3]
	s_add_co_i32 s1, s5, -1
	s_sub_co_i32 s4, s12, 32
.LBB60_3:                               ; =>This Inner Loop Header: Depth=1
	global_load_b32 v7, v0, s[2:3] scale_offset
	s_ashr_i32 s5, s4, 31
	v_max_num_f32_e64 v1, s0, s0
	s_lshl_b64 s[12:13], s[4:5], 3
	s_delay_alu instid0(SALU_CYCLE_1) | instskip(SKIP_1) | instid1(VALU_DEP_1)
	s_add_nc_u64 s[12:13], s[10:11], s[12:13]
	s_load_b64 s[12:13], s[12:13], 0x0
	v_readfirstlane_b32 s5, v1
	v_add_nc_u32_e32 v0, 0xfffffb80, v0
	s_wait_kmcnt 0x0
	v_max_num_f32_e64 v1, s12, s12
	s_delay_alu instid0(VALU_DEP_1) | instskip(SKIP_1) | instid1(SALU_CYCLE_3)
	v_readfirstlane_b32 s6, v1
	s_max_num_f32 s5, s5, s6
	s_sub_f32 s0, s0, s5
	s_sub_f32 s6, s12, s5
	s_delay_alu instid0(SALU_CYCLE_2) | instskip(NEXT) | instid1(SALU_CYCLE_2)
	s_mul_f32 s12, s0, 0x3fb8aa3b
	s_mul_f32 s14, s6, 0x3fb8aa3b
	s_delay_alu instid0(SALU_CYCLE_2)
	s_xor_b32 s15, s12, 0x80000000
	s_rndne_f32 s16, s12
	s_fmamk_f32 s15, s0, 0x3fb8aa3b, s15
	s_cmp_nlt_f32 s0, 0xc2ce8ed0
	s_rndne_f32 s17, s14
	s_sub_f32 s12, s12, s16
	s_fmamk_f32 s15, s0, 0x32a5705f, s15
	s_cselect_b32 vcc_lo, -1, 0
	s_cmp_ngt_f32 s0, 0x42b17218
	s_delay_alu instid0(SALU_CYCLE_1) | instskip(SKIP_2) | instid1(SALU_CYCLE_1)
	s_add_f32 s12, s12, s15
	s_cvt_i32_f32 s15, s16
	s_sub_f32 s16, s14, s17
	v_s_exp_f32 s12, s12
	v_nop
	s_delay_alu instid0(TRANS32_DEP_1) | instskip(SKIP_1) | instid1(VALU_DEP_1)
	v_ldexp_f32 v1, s12, s15
	s_cvt_i32_f32 s12, s17
	v_cndmask_b32_e32 v1, 0, v1, vcc_lo
	s_cselect_b32 vcc_lo, -1, 0
	s_cmp_ge_f32 s0, 0xc1a00000
	s_delay_alu instid0(VALU_DEP_1)
	v_cndmask_b32_e32 v1, 0x7f800000, v1, vcc_lo
	s_cselect_b32 vcc_lo, -1, 0
	s_xor_b32 s0, s14, 0x80000000
	s_cmp_nlt_f32 s6, 0xc2ce8ed0
	s_fmamk_f32 s0, s6, 0x3fb8aa3b, s0
	v_cndmask_b32_e32 v10, 0, v1, vcc_lo
	s_delay_alu instid0(SALU_CYCLE_2) | instskip(NEXT) | instid1(SALU_CYCLE_3)
	s_fmamk_f32 s0, s6, 0x32a5705f, s0
	s_add_f32 s0, s16, s0
	s_delay_alu instid0(SALU_CYCLE_3) | instskip(SKIP_1) | instid1(TRANS32_DEP_1)
	v_s_exp_f32 s0, s0
	v_nop
	v_ldexp_f32 v6, s0, s12
	s_cselect_b32 s0, -1, 0
	s_cmp_ngt_f32 s6, 0x42b17218
	s_delay_alu instid0(VALU_DEP_1) | instskip(SKIP_2) | instid1(VALU_DEP_1)
	v_cndmask_b32_e64 v6, 0, v6, s0
	s_cselect_b32 s0, -1, 0
	s_cmp_ge_f32 s6, 0xc1a00000
	v_cndmask_b32_e64 v8, 0x7f800000, v6, s0
	s_cselect_b32 s0, -1, 0
	v_mov_b32_e32 v6, s13
	s_add_co_i32 s1, s1, -1
	s_add_co_i32 s4, s4, -16
	v_cndmask_b32_e64 v8, 0, v8, s0
	s_cmp_le_i32 s1, s7
	s_mov_b32 s0, s5
	s_wait_loadcnt 0x0
	s_delay_alu instid0(VALU_DEP_1) | instskip(NEXT) | instid1(VALU_DEP_1)
	v_pk_mul_f32 v[6:7], v[6:7], v[8:9] op_sel_hi:[1,0]
	v_pk_fma_f32 v[2:3], v[2:3], v[10:11], v[6:7] op_sel_hi:[1,0,1]
	s_cbranch_scc0 .LBB60_3
	s_branch .LBB60_5
.LBB60_4:
	s_wait_kmcnt 0x0
	v_mov_b32_e32 v2, s14
.LBB60_5:
	v_lshl_add_u64 v[0:1], v[4:5], 2, s[8:9]
	s_wait_loadcnt 0x0
	s_delay_alu instid0(VALU_DEP_2) | instskip(NEXT) | instid1(VALU_DEP_1)
	v_div_scale_f32 v4, null, v2, v2, v3
	v_rcp_f32_e32 v5, v4
	v_nop
	s_delay_alu instid0(TRANS32_DEP_1) | instskip(NEXT) | instid1(VALU_DEP_1)
	v_fma_f32 v6, -v4, v5, 1.0
	v_fmac_f32_e32 v5, v6, v5
	v_div_scale_f32 v6, vcc_lo, v3, v2, v3
	s_delay_alu instid0(VALU_DEP_1) | instskip(NEXT) | instid1(VALU_DEP_1)
	v_mul_f32_e32 v7, v6, v5
	v_fma_f32 v8, -v4, v7, v6
	s_delay_alu instid0(VALU_DEP_1) | instskip(NEXT) | instid1(VALU_DEP_1)
	v_fmac_f32_e32 v7, v8, v5
	v_fma_f32 v4, -v4, v7, v6
	s_delay_alu instid0(VALU_DEP_1) | instskip(NEXT) | instid1(VALU_DEP_1)
	v_div_fmas_f32 v4, v4, v5, v7
	v_div_fixup_f32 v2, v4, v2, v3
	global_store_b32 v[0:1], v2, off
.LBB60_6:
	s_endpgm
	.section	.rodata,"a",@progbits
	.p2align	6, 0x0
	.amdhsa_kernel _ZL33flash_attn_stream_k_fixup_uniformILi72ELi16ELi1EEvPfPK15HIP_vector_typeIfLj2EEiiiiiiS1_IjLj3EES5_S5_
		.amdhsa_group_segment_fixed_size 0
		.amdhsa_private_segment_fixed_size 0
		.amdhsa_kernarg_size 76
		.amdhsa_user_sgpr_count 2
		.amdhsa_user_sgpr_dispatch_ptr 0
		.amdhsa_user_sgpr_queue_ptr 0
		.amdhsa_user_sgpr_kernarg_segment_ptr 1
		.amdhsa_user_sgpr_dispatch_id 0
		.amdhsa_user_sgpr_kernarg_preload_length 0
		.amdhsa_user_sgpr_kernarg_preload_offset 0
		.amdhsa_user_sgpr_private_segment_size 0
		.amdhsa_wavefront_size32 1
		.amdhsa_uses_dynamic_stack 0
		.amdhsa_enable_private_segment 0
		.amdhsa_system_sgpr_workgroup_id_x 1
		.amdhsa_system_sgpr_workgroup_id_y 1
		.amdhsa_system_sgpr_workgroup_id_z 1
		.amdhsa_system_sgpr_workgroup_info 0
		.amdhsa_system_vgpr_workitem_id 0
		.amdhsa_next_free_vgpr 12
		.amdhsa_next_free_sgpr 21
		.amdhsa_named_barrier_count 0
		.amdhsa_reserve_vcc 1
		.amdhsa_float_round_mode_32 0
		.amdhsa_float_round_mode_16_64 0
		.amdhsa_float_denorm_mode_32 3
		.amdhsa_float_denorm_mode_16_64 3
		.amdhsa_fp16_overflow 0
		.amdhsa_memory_ordered 1
		.amdhsa_forward_progress 1
		.amdhsa_inst_pref_size 9
		.amdhsa_round_robin_scheduling 0
		.amdhsa_exception_fp_ieee_invalid_op 0
		.amdhsa_exception_fp_denorm_src 0
		.amdhsa_exception_fp_ieee_div_zero 0
		.amdhsa_exception_fp_ieee_overflow 0
		.amdhsa_exception_fp_ieee_underflow 0
		.amdhsa_exception_fp_ieee_inexact 0
		.amdhsa_exception_int_div_zero 0
	.end_amdhsa_kernel
	.section	.text._ZL33flash_attn_stream_k_fixup_uniformILi72ELi16ELi1EEvPfPK15HIP_vector_typeIfLj2EEiiiiiiS1_IjLj3EES5_S5_,"axG",@progbits,_ZL33flash_attn_stream_k_fixup_uniformILi72ELi16ELi1EEvPfPK15HIP_vector_typeIfLj2EEiiiiiiS1_IjLj3EES5_S5_,comdat
.Lfunc_end60:
	.size	_ZL33flash_attn_stream_k_fixup_uniformILi72ELi16ELi1EEvPfPK15HIP_vector_typeIfLj2EEiiiiiiS1_IjLj3EES5_S5_, .Lfunc_end60-_ZL33flash_attn_stream_k_fixup_uniformILi72ELi16ELi1EEvPfPK15HIP_vector_typeIfLj2EEiiiiiiS1_IjLj3EES5_S5_
                                        ; -- End function
	.set _ZL33flash_attn_stream_k_fixup_uniformILi72ELi16ELi1EEvPfPK15HIP_vector_typeIfLj2EEiiiiiiS1_IjLj3EES5_S5_.num_vgpr, 12
	.set _ZL33flash_attn_stream_k_fixup_uniformILi72ELi16ELi1EEvPfPK15HIP_vector_typeIfLj2EEiiiiiiS1_IjLj3EES5_S5_.num_agpr, 0
	.set _ZL33flash_attn_stream_k_fixup_uniformILi72ELi16ELi1EEvPfPK15HIP_vector_typeIfLj2EEiiiiiiS1_IjLj3EES5_S5_.numbered_sgpr, 21
	.set _ZL33flash_attn_stream_k_fixup_uniformILi72ELi16ELi1EEvPfPK15HIP_vector_typeIfLj2EEiiiiiiS1_IjLj3EES5_S5_.num_named_barrier, 0
	.set _ZL33flash_attn_stream_k_fixup_uniformILi72ELi16ELi1EEvPfPK15HIP_vector_typeIfLj2EEiiiiiiS1_IjLj3EES5_S5_.private_seg_size, 0
	.set _ZL33flash_attn_stream_k_fixup_uniformILi72ELi16ELi1EEvPfPK15HIP_vector_typeIfLj2EEiiiiiiS1_IjLj3EES5_S5_.uses_vcc, 1
	.set _ZL33flash_attn_stream_k_fixup_uniformILi72ELi16ELi1EEvPfPK15HIP_vector_typeIfLj2EEiiiiiiS1_IjLj3EES5_S5_.uses_flat_scratch, 0
	.set _ZL33flash_attn_stream_k_fixup_uniformILi72ELi16ELi1EEvPfPK15HIP_vector_typeIfLj2EEiiiiiiS1_IjLj3EES5_S5_.has_dyn_sized_stack, 0
	.set _ZL33flash_attn_stream_k_fixup_uniformILi72ELi16ELi1EEvPfPK15HIP_vector_typeIfLj2EEiiiiiiS1_IjLj3EES5_S5_.has_recursion, 0
	.set _ZL33flash_attn_stream_k_fixup_uniformILi72ELi16ELi1EEvPfPK15HIP_vector_typeIfLj2EEiiiiiiS1_IjLj3EES5_S5_.has_indirect_call, 0
	.section	.AMDGPU.csdata,"",@progbits
; Kernel info:
; codeLenInByte = 1072
; TotalNumSgprs: 23
; NumVgprs: 12
; ScratchSize: 0
; MemoryBound: 0
; FloatMode: 240
; IeeeMode: 1
; LDSByteSize: 0 bytes/workgroup (compile time only)
; SGPRBlocks: 0
; VGPRBlocks: 0
; NumSGPRsForWavesPerEU: 23
; NumVGPRsForWavesPerEU: 12
; NamedBarCnt: 0
; Occupancy: 16
; WaveLimiterHint : 0
; COMPUTE_PGM_RSRC2:SCRATCH_EN: 0
; COMPUTE_PGM_RSRC2:USER_SGPR: 2
; COMPUTE_PGM_RSRC2:TRAP_HANDLER: 0
; COMPUTE_PGM_RSRC2:TGID_X_EN: 1
; COMPUTE_PGM_RSRC2:TGID_Y_EN: 1
; COMPUTE_PGM_RSRC2:TGID_Z_EN: 1
; COMPUTE_PGM_RSRC2:TIDIG_COMP_CNT: 0
	.section	.text._ZL33flash_attn_stream_k_fixup_generalILi72ELi16ELi1EEvPfPK15HIP_vector_typeIfLj2EEiiiiS1_IjLj3EES5_S5_S5_,"axG",@progbits,_ZL33flash_attn_stream_k_fixup_generalILi72ELi16ELi1EEvPfPK15HIP_vector_typeIfLj2EEiiiiS1_IjLj3EES5_S5_S5_,comdat
	.globl	_ZL33flash_attn_stream_k_fixup_generalILi72ELi16ELi1EEvPfPK15HIP_vector_typeIfLj2EEiiiiS1_IjLj3EES5_S5_S5_ ; -- Begin function _ZL33flash_attn_stream_k_fixup_generalILi72ELi16ELi1EEvPfPK15HIP_vector_typeIfLj2EEiiiiS1_IjLj3EES5_S5_S5_
	.p2align	8
	.type	_ZL33flash_attn_stream_k_fixup_generalILi72ELi16ELi1EEvPfPK15HIP_vector_typeIfLj2EEiiiiS1_IjLj3EES5_S5_S5_,@function
_ZL33flash_attn_stream_k_fixup_generalILi72ELi16ELi1EEvPfPK15HIP_vector_typeIfLj2EEiiiiS1_IjLj3EES5_S5_S5_: ; @_ZL33flash_attn_stream_k_fixup_generalILi72ELi16ELi1EEvPfPK15HIP_vector_typeIfLj2EEiiiiS1_IjLj3EES5_S5_S5_
; %bb.0:
	s_clause 0x1
	s_load_b128 s[4:7], s[0:1], 0x10
	s_load_b32 s16, s[0:1], 0x50
	s_bfe_u32 s2, ttmp6, 0x4000c
	s_and_b32 s3, ttmp6, 15
	s_add_co_i32 s2, s2, 1
	s_getreg_b32 s15, hwreg(HW_REG_IB_STS2, 6, 4)
	s_mul_i32 s2, ttmp9, s2
	s_mov_b32 s17, 0
	s_add_co_i32 s3, s3, s2
	s_cmp_eq_u32 s15, 0
	s_cselect_b32 s2, ttmp9, s3
	s_delay_alu instid0(SALU_CYCLE_1) | instskip(SKIP_3) | instid1(SALU_CYCLE_1)
	s_ashr_i32 s3, s2, 31
	s_wait_kmcnt 0x0
	s_ashr_i32 s19, s7, 31
	s_mov_b32 s18, s7
	s_mul_u64 s[8:9], s[18:19], s[2:3]
	s_delay_alu instid0(SALU_CYCLE_1) | instskip(NEXT) | instid1(SALU_CYCLE_1)
	s_and_b64 s[10:11], s[8:9], 0xffffffff00000000
	s_cmp_lg_u64 s[10:11], 0
	s_cbranch_scc0 .LBB61_21
; %bb.1:
	s_add_nc_u64 s[10:11], s[16:17], 0
	s_mov_b32 s23, s17
	s_xor_b64 s[10:11], s[10:11], 0
	s_mov_b32 s27, s17
	s_cvt_f32_u32 s3, s10
	s_cvt_f32_u32 s7, s11
	s_sub_nc_u64 s[20:21], 0, s[10:11]
	s_delay_alu instid0(SALU_CYCLE_2) | instskip(NEXT) | instid1(SALU_CYCLE_3)
	s_fmamk_f32 s3, s7, 0x4f800000, s3
	v_s_rcp_f32 s3, s3
	s_delay_alu instid0(TRANS32_DEP_1) | instskip(NEXT) | instid1(SALU_CYCLE_3)
	s_mul_f32 s3, s3, 0x5f7ffffc
	s_mul_f32 s7, s3, 0x2f800000
	s_delay_alu instid0(SALU_CYCLE_3) | instskip(NEXT) | instid1(SALU_CYCLE_3)
	s_trunc_f32 s7, s7
	s_fmamk_f32 s3, s7, 0xcf800000, s3
	s_cvt_u32_f32 s13, s7
	s_delay_alu instid0(SALU_CYCLE_2) | instskip(NEXT) | instid1(SALU_CYCLE_3)
	s_cvt_u32_f32 s12, s3
	s_mul_u64 s[24:25], s[20:21], s[12:13]
	s_delay_alu instid0(SALU_CYCLE_1)
	s_mul_hi_u32 s29, s12, s25
	s_mul_i32 s28, s12, s25
	s_mul_hi_u32 s22, s12, s24
	s_mul_i32 s7, s13, s24
	s_add_nc_u64 s[22:23], s[22:23], s[28:29]
	s_mul_hi_u32 s3, s13, s24
	s_mul_hi_u32 s14, s13, s25
	s_add_co_u32 s7, s22, s7
	s_add_co_ci_u32 s26, s23, s3
	s_mul_i32 s24, s13, s25
	s_add_co_ci_u32 s25, s14, 0
	s_delay_alu instid0(SALU_CYCLE_1) | instskip(SKIP_3) | instid1(SALU_CYCLE_1)
	s_add_nc_u64 s[22:23], s[26:27], s[24:25]
	s_mov_b32 s25, s17
	s_add_co_u32 s12, s12, s22
	s_cselect_b32 s3, -1, 0
	s_cmp_lg_u32 s3, 0
	s_add_co_ci_u32 s13, s13, s23
	s_mov_b32 s23, s17
	s_mul_u64 s[20:21], s[20:21], s[12:13]
	s_delay_alu instid0(SALU_CYCLE_1)
	s_mul_hi_u32 s27, s12, s21
	s_mul_i32 s26, s12, s21
	s_mul_hi_u32 s22, s12, s20
	s_mul_i32 s7, s13, s20
	s_add_nc_u64 s[22:23], s[22:23], s[26:27]
	s_mul_hi_u32 s3, s13, s20
	s_mul_hi_u32 s14, s13, s21
	s_add_co_u32 s7, s22, s7
	s_add_co_ci_u32 s24, s23, s3
	s_mul_i32 s20, s13, s21
	s_add_co_ci_u32 s21, s14, 0
	s_mov_b32 s23, s17
	s_add_nc_u64 s[20:21], s[24:25], s[20:21]
	s_delay_alu instid0(SALU_CYCLE_1) | instskip(SKIP_1) | instid1(SALU_CYCLE_1)
	s_add_co_u32 s3, s12, s20
	s_cselect_b32 s7, -1, 0
	s_cmp_lg_u32 s7, 0
	s_add_co_ci_u32 s7, s13, s21
	s_ashr_i32 s12, s9, 31
	s_delay_alu instid0(SALU_CYCLE_1) | instskip(NEXT) | instid1(SALU_CYCLE_1)
	s_mov_b32 s13, s12
	s_add_nc_u64 s[20:21], s[8:9], s[12:13]
	s_delay_alu instid0(SALU_CYCLE_1) | instskip(NEXT) | instid1(SALU_CYCLE_1)
	s_xor_b64 s[20:21], s[20:21], s[12:13]
	s_mul_hi_u32 s27, s20, s7
	s_mul_i32 s26, s20, s7
	s_mul_hi_u32 s22, s20, s3
	s_mul_hi_u32 s14, s21, s3
	s_mul_i32 s3, s21, s3
	s_add_nc_u64 s[22:23], s[22:23], s[26:27]
	s_mul_hi_u32 s9, s21, s7
	s_add_co_u32 s3, s22, s3
	s_add_co_ci_u32 s24, s23, s14
	s_mul_i32 s26, s21, s7
	s_add_co_ci_u32 s27, s9, 0
	s_delay_alu instid0(SALU_CYCLE_1) | instskip(NEXT) | instid1(SALU_CYCLE_1)
	s_add_nc_u64 s[22:23], s[24:25], s[26:27]
	s_and_b64 s[24:25], s[22:23], 0xffffffff00000000
	s_delay_alu instid0(SALU_CYCLE_1) | instskip(NEXT) | instid1(SALU_CYCLE_1)
	s_or_b32 s24, s24, s22
	s_mul_u64 s[22:23], s[10:11], s[24:25]
	s_add_nc_u64 s[26:27], s[24:25], 1
	s_sub_co_u32 s3, s20, s22
	s_cselect_b32 s7, -1, 0
	s_sub_co_i32 s9, s21, s23
	s_cmp_lg_u32 s7, 0
	s_add_nc_u64 s[28:29], s[24:25], 2
	s_sub_co_ci_u32 s9, s9, s11
	s_sub_co_u32 s14, s3, s10
	s_cselect_b32 s20, -1, 0
	s_delay_alu instid0(SALU_CYCLE_1) | instskip(SKIP_1) | instid1(SALU_CYCLE_1)
	s_cmp_lg_u32 s20, 0
	s_sub_co_ci_u32 s9, s9, 0
	s_cmp_ge_u32 s9, s11
	s_cselect_b32 s20, -1, 0
	s_cmp_ge_u32 s14, s10
	s_cselect_b32 s14, -1, 0
	s_cmp_eq_u32 s9, s11
	s_cselect_b32 s9, s14, s20
	s_delay_alu instid0(SALU_CYCLE_1) | instskip(SKIP_4) | instid1(SALU_CYCLE_1)
	s_cmp_lg_u32 s9, 0
	s_cselect_b32 s9, s28, s26
	s_cselect_b32 s14, s29, s27
	s_cmp_lg_u32 s7, 0
	s_sub_co_ci_u32 s7, s21, s23
	s_cmp_ge_u32 s7, s11
	s_cselect_b32 s20, -1, 0
	s_cmp_ge_u32 s3, s10
	s_cselect_b32 s3, -1, 0
	s_cmp_eq_u32 s7, s11
	s_cselect_b32 s3, s3, s20
	s_delay_alu instid0(SALU_CYCLE_1) | instskip(SKIP_4) | instid1(SALU_CYCLE_1)
	s_cmp_lg_u32 s3, 0
	s_mov_b32 s3, s17
	s_cselect_b32 s11, s14, s25
	s_cselect_b32 s10, s9, s24
	s_xor_b64 s[12:13], s[12:13], 0
	s_xor_b64 s[10:11], s[10:11], s[12:13]
	s_delay_alu instid0(SALU_CYCLE_1)
	s_sub_nc_u64 s[20:21], s[10:11], s[12:13]
	s_and_not1_b32 vcc_lo, exec_lo, s3
	s_cbranch_vccnz .LBB61_3
.LBB61_2:
	v_cvt_f32_u32_e32 v1, s16
	s_sub_co_i32 s7, 0, s16
	s_mov_b32 s21, 0
	s_delay_alu instid0(VALU_DEP_1) | instskip(SKIP_1) | instid1(TRANS32_DEP_1)
	v_rcp_iflag_f32_e32 v1, v1
	v_nop
	v_mul_f32_e32 v1, 0x4f7ffffe, v1
	s_delay_alu instid0(VALU_DEP_1) | instskip(NEXT) | instid1(VALU_DEP_1)
	v_cvt_u32_f32_e32 v1, v1
	v_readfirstlane_b32 s3, v1
	s_mul_i32 s7, s7, s3
	s_delay_alu instid0(SALU_CYCLE_1) | instskip(NEXT) | instid1(SALU_CYCLE_1)
	s_mul_hi_u32 s7, s3, s7
	s_add_co_i32 s3, s3, s7
	s_delay_alu instid0(SALU_CYCLE_1) | instskip(NEXT) | instid1(SALU_CYCLE_1)
	s_mul_hi_u32 s3, s8, s3
	s_mul_i32 s7, s3, s16
	s_delay_alu instid0(SALU_CYCLE_1)
	s_sub_co_i32 s7, s8, s7
	s_add_co_i32 s8, s3, 1
	s_sub_co_i32 s9, s7, s16
	s_cmp_ge_u32 s7, s16
	s_cselect_b32 s3, s8, s3
	s_cselect_b32 s7, s9, s7
	s_add_co_i32 s8, s3, 1
	s_cmp_ge_u32 s7, s16
	s_cselect_b32 s20, s8, s3
.LBB61_3:
	s_add_co_i32 s8, s2, 1
	s_delay_alu instid0(SALU_CYCLE_1) | instskip(NEXT) | instid1(SALU_CYCLE_1)
	s_ashr_i32 s9, s8, 31
	s_mul_u64 s[8:9], s[18:19], s[8:9]
	s_delay_alu instid0(SALU_CYCLE_1) | instskip(NEXT) | instid1(SALU_CYCLE_1)
	s_and_b64 s[10:11], s[8:9], 0xffffffff00000000
	s_cmp_lg_u64 s[10:11], 0
	s_cbranch_scc0 .LBB61_22
; %bb.4:
	s_add_nc_u64 s[10:11], s[16:17], 0
	s_delay_alu instid0(SALU_CYCLE_1) | instskip(SKIP_4) | instid1(SALU_CYCLE_2)
	s_xor_b64 s[12:13], s[10:11], 0
	s_mov_b32 s11, 0
	s_cvt_f32_u32 s3, s12
	s_cvt_f32_u32 s7, s13
	s_sub_nc_u64 s[24:25], 0, s[12:13]
	s_fmamk_f32 s3, s7, 0x4f800000, s3
	s_delay_alu instid0(SALU_CYCLE_3) | instskip(NEXT) | instid1(TRANS32_DEP_1)
	v_s_rcp_f32 s3, s3
	s_mul_f32 s3, s3, 0x5f7ffffc
	s_delay_alu instid0(SALU_CYCLE_3) | instskip(NEXT) | instid1(SALU_CYCLE_3)
	s_mul_f32 s7, s3, 0x2f800000
	s_trunc_f32 s7, s7
	s_delay_alu instid0(SALU_CYCLE_3) | instskip(SKIP_1) | instid1(SALU_CYCLE_2)
	s_fmamk_f32 s3, s7, 0xcf800000, s3
	s_cvt_u32_f32 s23, s7
	s_cvt_u32_f32 s22, s3
	s_delay_alu instid0(SALU_CYCLE_3) | instskip(NEXT) | instid1(SALU_CYCLE_1)
	s_mul_u64 s[26:27], s[24:25], s[22:23]
	s_mul_hi_u32 s29, s22, s27
	s_mul_i32 s28, s22, s27
	s_mul_hi_u32 s10, s22, s26
	s_mul_i32 s7, s23, s26
	s_add_nc_u64 s[28:29], s[10:11], s[28:29]
	s_mul_hi_u32 s3, s23, s26
	s_mul_hi_u32 s14, s23, s27
	s_add_co_u32 s7, s28, s7
	s_add_co_ci_u32 s10, s29, s3
	s_mul_i32 s26, s23, s27
	s_add_co_ci_u32 s27, s14, 0
	s_delay_alu instid0(SALU_CYCLE_1) | instskip(NEXT) | instid1(SALU_CYCLE_1)
	s_add_nc_u64 s[26:27], s[10:11], s[26:27]
	s_add_co_u32 s22, s22, s26
	s_cselect_b32 s3, -1, 0
	s_delay_alu instid0(SALU_CYCLE_1) | instskip(SKIP_1) | instid1(SALU_CYCLE_1)
	s_cmp_lg_u32 s3, 0
	s_add_co_ci_u32 s23, s23, s27
	s_mul_u64 s[24:25], s[24:25], s[22:23]
	s_delay_alu instid0(SALU_CYCLE_1)
	s_mul_hi_u32 s27, s22, s25
	s_mul_i32 s26, s22, s25
	s_mul_hi_u32 s10, s22, s24
	s_mul_i32 s7, s23, s24
	s_add_nc_u64 s[26:27], s[10:11], s[26:27]
	s_mul_hi_u32 s3, s23, s24
	s_mul_hi_u32 s14, s23, s25
	s_add_co_u32 s7, s26, s7
	s_add_co_ci_u32 s10, s27, s3
	s_mul_i32 s24, s23, s25
	s_add_co_ci_u32 s25, s14, 0
	s_delay_alu instid0(SALU_CYCLE_1) | instskip(NEXT) | instid1(SALU_CYCLE_1)
	s_add_nc_u64 s[24:25], s[10:11], s[24:25]
	s_add_co_u32 s3, s22, s24
	s_cselect_b32 s7, -1, 0
	s_delay_alu instid0(SALU_CYCLE_1) | instskip(SKIP_2) | instid1(SALU_CYCLE_1)
	s_cmp_lg_u32 s7, 0
	s_add_co_ci_u32 s7, s23, s25
	s_ashr_i32 s22, s9, 31
	s_mov_b32 s23, s22
	s_delay_alu instid0(SALU_CYCLE_1) | instskip(NEXT) | instid1(SALU_CYCLE_1)
	s_add_nc_u64 s[24:25], s[8:9], s[22:23]
	s_xor_b64 s[24:25], s[24:25], s[22:23]
	s_delay_alu instid0(SALU_CYCLE_1)
	s_mul_hi_u32 s27, s24, s7
	s_mul_i32 s26, s24, s7
	s_mul_hi_u32 s10, s24, s3
	s_mul_hi_u32 s14, s25, s3
	s_mul_i32 s3, s25, s3
	s_add_nc_u64 s[26:27], s[10:11], s[26:27]
	s_mul_hi_u32 s9, s25, s7
	s_add_co_u32 s3, s26, s3
	s_add_co_ci_u32 s10, s27, s14
	s_mul_i32 s28, s25, s7
	s_add_co_ci_u32 s29, s9, 0
	s_delay_alu instid0(SALU_CYCLE_1) | instskip(NEXT) | instid1(SALU_CYCLE_1)
	s_add_nc_u64 s[26:27], s[10:11], s[28:29]
	s_and_b64 s[28:29], s[26:27], 0xffffffff00000000
	s_delay_alu instid0(SALU_CYCLE_1) | instskip(NEXT) | instid1(SALU_CYCLE_1)
	s_or_b32 s28, s28, s26
	s_mul_u64 s[26:27], s[12:13], s[28:29]
	s_add_nc_u64 s[30:31], s[28:29], 1
	s_sub_co_u32 s3, s24, s26
	s_cselect_b32 s7, -1, 0
	s_sub_co_i32 s9, s25, s27
	s_cmp_lg_u32 s7, 0
	s_add_nc_u64 s[34:35], s[28:29], 2
	s_sub_co_ci_u32 s9, s9, s13
	s_sub_co_u32 s10, s3, s12
	s_cselect_b32 s14, -1, 0
	s_delay_alu instid0(SALU_CYCLE_1) | instskip(SKIP_1) | instid1(SALU_CYCLE_1)
	s_cmp_lg_u32 s14, 0
	s_sub_co_ci_u32 s9, s9, 0
	s_cmp_ge_u32 s9, s13
	s_cselect_b32 s14, -1, 0
	s_cmp_ge_u32 s10, s12
	s_cselect_b32 s10, -1, 0
	s_cmp_eq_u32 s9, s13
	s_cselect_b32 s9, s10, s14
	s_delay_alu instid0(SALU_CYCLE_1) | instskip(SKIP_4) | instid1(SALU_CYCLE_1)
	s_cmp_lg_u32 s9, 0
	s_cselect_b32 s9, s34, s30
	s_cselect_b32 s10, s35, s31
	s_cmp_lg_u32 s7, 0
	s_sub_co_ci_u32 s7, s25, s27
	s_cmp_ge_u32 s7, s13
	s_cselect_b32 s14, -1, 0
	s_cmp_ge_u32 s3, s12
	s_cselect_b32 s3, -1, 0
	s_cmp_eq_u32 s7, s13
	s_cselect_b32 s3, s3, s14
	s_delay_alu instid0(SALU_CYCLE_1) | instskip(SKIP_3) | instid1(SALU_CYCLE_1)
	s_cmp_lg_u32 s3, 0
	s_cselect_b32 s13, s10, s29
	s_cselect_b32 s12, s9, s28
	s_xor_b64 s[22:23], s[22:23], 0
	s_xor_b64 s[12:13], s[12:13], s[22:23]
	s_delay_alu instid0(SALU_CYCLE_1)
	s_sub_nc_u64 s[24:25], s[12:13], s[22:23]
	s_load_b96 s[12:14], s[0:1], 0x44
	s_cbranch_execnz .LBB61_6
.LBB61_5:
	v_cvt_f32_u32_e32 v1, s16
	s_sub_co_i32 s7, 0, s16
	s_delay_alu instid0(VALU_DEP_1) | instskip(SKIP_1) | instid1(TRANS32_DEP_1)
	v_rcp_iflag_f32_e32 v1, v1
	v_nop
	v_mul_f32_e32 v1, 0x4f7ffffe, v1
	s_delay_alu instid0(VALU_DEP_1) | instskip(NEXT) | instid1(VALU_DEP_1)
	v_cvt_u32_f32_e32 v1, v1
	v_readfirstlane_b32 s3, v1
	s_mul_i32 s7, s7, s3
	s_delay_alu instid0(SALU_CYCLE_1) | instskip(NEXT) | instid1(SALU_CYCLE_1)
	s_mul_hi_u32 s7, s3, s7
	s_add_co_i32 s3, s3, s7
	s_delay_alu instid0(SALU_CYCLE_1) | instskip(NEXT) | instid1(SALU_CYCLE_1)
	s_mul_hi_u32 s3, s8, s3
	s_mul_i32 s7, s3, s16
	s_delay_alu instid0(SALU_CYCLE_1)
	s_sub_co_i32 s7, s8, s7
	s_add_co_i32 s8, s3, 1
	s_sub_co_i32 s9, s7, s16
	s_cmp_ge_u32 s7, s16
	s_cselect_b32 s3, s8, s3
	s_cselect_b32 s7, s9, s7
	s_add_co_i32 s8, s3, 1
	s_cmp_ge_u32 s7, s16
	s_cselect_b32 s24, s8, s3
.LBB61_6:
	s_delay_alu instid0(SALU_CYCLE_1)
	s_cmp_eq_u32 s20, s24
	s_mov_b64 s[8:9], 0xffffffff
	s_cselect_b32 s3, -1, 0
	s_and_b64 s[8:9], s[20:21], s[8:9]
	s_mov_b32 s23, 0
	s_wait_kmcnt 0x0
	s_mov_b32 s22, s12
	s_mov_b32 s25, s23
	s_mul_u64 s[10:11], s[8:9], s[22:23]
	s_delay_alu instid0(SALU_CYCLE_1) | instskip(SKIP_2) | instid1(SALU_CYCLE_1)
	s_add_co_i32 s7, s11, s20
	s_mul_u64 s[10:11], s[24:25], s[22:23]
	s_lshr_b32 s12, s7, s13
	s_mul_i32 s7, s12, s14
	s_delay_alu instid0(SALU_CYCLE_1) | instskip(SKIP_2) | instid1(SALU_CYCLE_1)
	s_cmp_eq_u32 s7, s20
	s_cselect_b32 s7, -1, 0
	s_add_co_i32 s10, s11, s24
	s_lshr_b32 s10, s10, s13
	s_delay_alu instid0(SALU_CYCLE_1)
	s_cmp_eq_u32 s12, s10
	s_mul_i32 s10, s10, s14
	s_cselect_b32 s11, -1, 0
	s_cmp_lg_u32 s10, s24
	s_cselect_b32 s10, -1, 0
	s_or_b32 s3, s3, s7
	s_and_b32 s10, s11, s10
	s_delay_alu instid0(SALU_CYCLE_1) | instskip(NEXT) | instid1(SALU_CYCLE_1)
	s_or_b32 s3, s3, s10
	s_and_b32 vcc_lo, exec_lo, s3
	s_cbranch_vccnz .LBB61_24
; %bb.7:
	s_load_b256 s[24:31], s[0:1], 0x20
	s_bfe_u32 s7, ttmp6, 0x40014
	s_bfe_u32 s33, ttmp6, 0x40010
	s_lshr_b32 s3, ttmp7, 16
	s_add_co_i32 s7, s7, 1
	s_and_b32 s21, ttmp7, 0xffff
	s_add_co_i32 s33, s33, 1
	s_bfe_u32 s10, ttmp6, 0x40008
	s_mul_i32 s7, s3, s7
	s_bfe_u32 s34, ttmp6, 0x40004
	s_mul_i32 s33, s21, s33
	s_mov_b32 s11, s23
	s_add_co_i32 s7, s10, s7
	s_add_co_i32 s34, s34, s33
	s_cmp_eq_u32 s15, 0
	s_cselect_b32 s15, s21, s34
	s_cselect_b32 s3, s3, s7
	s_wait_kmcnt 0x0
	s_mov_b32 s10, s24
	s_delay_alu instid0(SALU_CYCLE_1) | instskip(SKIP_2) | instid1(SALU_CYCLE_1)
	s_mul_u64 s[8:9], s[8:9], s[10:11]
	s_load_b32 s8, s[0:1], 0x40
	s_add_co_i32 s7, s9, s20
	s_lshr_b32 s7, s7, s25
	s_delay_alu instid0(SALU_CYCLE_1) | instskip(NEXT) | instid1(SALU_CYCLE_1)
	s_mul_i32 s9, s7, s26
	s_sub_co_i32 s9, s20, s9
	s_delay_alu instid0(SALU_CYCLE_1) | instskip(NEXT) | instid1(SALU_CYCLE_1)
	s_mul_hi_u32 s10, s9, s27
	s_add_co_i32 s10, s9, s10
	s_delay_alu instid0(SALU_CYCLE_1) | instskip(NEXT) | instid1(SALU_CYCLE_1)
	s_lshr_b32 s21, s10, s28
	s_mul_i32 s10, s21, s29
	s_delay_alu instid0(SALU_CYCLE_1) | instskip(NEXT) | instid1(SALU_CYCLE_1)
	s_sub_co_i32 s10, s9, s10
	s_mul_hi_u32 s9, s10, s30
	s_delay_alu instid0(SALU_CYCLE_1) | instskip(NEXT) | instid1(SALU_CYCLE_1)
	s_add_co_i32 s9, s10, s9
	s_lshr_b32 s25, s9, s31
	s_mov_b32 s9, s23
	s_wait_kmcnt 0x0
	s_mul_i32 s8, s25, s8
	s_delay_alu instid0(SALU_CYCLE_1) | instskip(NEXT) | instid1(SALU_CYCLE_1)
	s_sub_co_i32 s8, s10, s8
	s_mul_u64 s[10:11], s[8:9], s[22:23]
	s_delay_alu instid0(SALU_CYCLE_1) | instskip(NEXT) | instid1(SALU_CYCLE_1)
	s_add_co_i32 s8, s8, s11
	s_lshr_b32 s24, s8, s13
	s_delay_alu instid0(SALU_CYCLE_1) | instskip(NEXT) | instid1(SALU_CYCLE_1)
	s_lshl_b32 s8, s24, 4
	s_add_co_i32 s8, s8, s15
	s_delay_alu instid0(SALU_CYCLE_1) | instskip(SKIP_2) | instid1(SALU_CYCLE_1)
	s_cmp_lt_i32 s8, s4
	s_cselect_b32 s8, -1, 0
	s_add_co_i32 s25, s25, s3
	s_cmp_lt_i32 s25, s6
	s_cselect_b32 s9, -1, 0
	s_delay_alu instid0(SALU_CYCLE_1) | instskip(NEXT) | instid1(SALU_CYCLE_1)
	s_and_b32 s8, s8, s9
	s_and_not1_b32 vcc_lo, exec_lo, s8
	s_cbranch_vccnz .LBB61_24
; %bb.8:
	s_load_b128 s[8:11], s[0:1], 0x0
	s_wait_xcnt 0x0
	s_mul_i32 s0, s7, s4
	s_mul_i32 s21, s21, s6
	s_add_co_i32 s0, s0, s15
	s_add_co_i32 s1, s25, s21
	s_mul_i32 s0, s0, s5
	s_mul_i32 s4, s5, s24
	s_add_co_i32 s0, s1, s0
	s_mulk_i32 s4, 0x480
	s_mulk_i32 s0, 0x48
	s_add_co_i32 s15, s15, s3
	v_add3_u32 v2, s4, s0, v0
	s_add_nc_u64 s[0:1], s[16:17], 0
	v_cvt_f32_u32_e32 v4, s16
	s_xor_b64 s[6:7], s[0:1], 0
	s_lshl_b32 s0, s2, 4
	s_cvt_f32_u32 s3, s6
	s_cvt_f32_u32 s4, s7
	s_add_co_i32 s0, s0, s15
	v_rcp_iflag_f32_e32 v4, v4
	s_wait_kmcnt 0x0
	global_load_b32 v1, v2, s[8:9] scale_offset
	s_fmamk_f32 s3, s4, 0x4f800000, s3
	s_ashr_i32 s1, s0, 31
	s_lshl_b32 s24, s16, 6
	s_lshl_b64 s[0:1], s[0:1], 3
	v_s_rcp_f32 s3, s3
	s_add_nc_u64 s[0:1], s[10:11], s[0:1]
	s_mov_b32 s25, 0
	s_load_b64 s[28:29], s[0:1], 0x0
	v_mad_u32 v6, 0x48, s15, v0
	v_dual_mul_f32 v4, 0x4f7ffffe, v4 :: v_dual_ashrrev_i32 v3, 31, v2
	s_wait_xcnt 0x0
	s_lshl_b64 s[0:1], s[24:25], 2
	s_mul_f32 s3, s3, 0x5f7ffffc
	s_add_nc_u64 s[26:27], s[10:11], s[0:1]
	v_lshl_add_u64 v[2:3], v[2:3], 2, s[8:9]
	v_cvt_u32_f32_e32 v7, v4
	s_mul_f32 s4, s3, 0x2f800000
	s_mov_b64 s[8:9], 0xffffffff
	s_add_co_i32 s36, s2, -1
	s_sub_nc_u64 s[34:35], 0, s[6:7]
	s_trunc_f32 s4, s4
	s_delay_alu instid0(SALU_CYCLE_3)
	s_fmamk_f32 s0, s4, 0xcf800000, s3
	s_cvt_u32_f32 s31, s4
	s_wait_kmcnt 0x0
	v_mov_b32_e32 v0, s29
	s_cvt_u32_f32 s30, s0
.LBB61_9:                               ; =>This Inner Loop Header: Depth=1
	s_ashr_i32 s37, s36, 31
                                        ; implicit-def: $sgpr40_sgpr41
	s_delay_alu instid0(SALU_CYCLE_1) | instskip(NEXT) | instid1(SALU_CYCLE_1)
	s_mul_u64 s[0:1], s[36:37], s[18:19]
	s_and_b64 s[2:3], s[0:1], 0xffffffff00000000
	s_delay_alu instid0(SALU_CYCLE_1)
	s_cmp_lg_u64 s[2:3], 0
	s_mov_b32 s2, -1
	s_cbranch_scc0 .LBB61_11
; %bb.10:                               ;   in Loop: Header=BB61_9 Depth=1
	s_mul_u64 s[2:3], s[34:35], s[30:31]
	s_delay_alu instid0(SALU_CYCLE_1)
	s_mul_hi_u32 s5, s30, s3
	s_mul_i32 s4, s30, s3
	s_mul_hi_u32 s24, s30, s2
	s_mul_hi_u32 s17, s31, s2
	s_add_nc_u64 s[4:5], s[24:25], s[4:5]
	s_mul_i32 s2, s31, s2
	s_mul_hi_u32 s21, s31, s3
	s_add_co_u32 s2, s4, s2
	s_add_co_ci_u32 s24, s5, s17
	s_add_co_ci_u32 s5, s21, 0
	s_mul_i32 s4, s31, s3
	s_delay_alu instid0(SALU_CYCLE_1) | instskip(NEXT) | instid1(SALU_CYCLE_1)
	s_add_nc_u64 s[2:3], s[24:25], s[4:5]
	s_add_co_u32 s2, s30, s2
	s_cselect_b32 s4, -1, 0
	s_delay_alu instid0(SALU_CYCLE_1) | instskip(SKIP_1) | instid1(SALU_CYCLE_1)
	s_cmp_lg_u32 s4, 0
	s_add_co_ci_u32 s3, s31, s3
	s_mul_u64 s[4:5], s[34:35], s[2:3]
	s_delay_alu instid0(SALU_CYCLE_1)
	s_mul_hi_u32 s39, s2, s5
	s_mul_i32 s38, s2, s5
	s_mul_hi_u32 s24, s2, s4
	s_mul_hi_u32 s17, s3, s4
	s_mul_i32 s4, s3, s4
	s_add_nc_u64 s[38:39], s[24:25], s[38:39]
	s_mul_hi_u32 s21, s3, s5
	s_add_co_u32 s4, s38, s4
	s_add_co_ci_u32 s24, s39, s17
	s_mul_i32 s4, s3, s5
	s_add_co_ci_u32 s5, s21, 0
	s_delay_alu instid0(SALU_CYCLE_1) | instskip(NEXT) | instid1(SALU_CYCLE_1)
	s_add_nc_u64 s[4:5], s[24:25], s[4:5]
	s_add_co_u32 s17, s2, s4
	s_cselect_b32 s2, -1, 0
	s_delay_alu instid0(SALU_CYCLE_1) | instskip(SKIP_2) | instid1(SALU_CYCLE_1)
	s_cmp_lg_u32 s2, 0
	s_add_co_ci_u32 s21, s3, s5
	s_ashr_i32 s2, s1, 31
	s_mov_b32 s3, s2
	s_delay_alu instid0(SALU_CYCLE_1) | instskip(NEXT) | instid1(SALU_CYCLE_1)
	s_add_nc_u64 s[4:5], s[0:1], s[2:3]
	s_xor_b64 s[4:5], s[4:5], s[2:3]
	s_delay_alu instid0(SALU_CYCLE_1)
	s_mul_hi_u32 s39, s4, s21
	s_mul_i32 s38, s4, s21
	s_mul_hi_u32 s24, s4, s17
	s_mul_hi_u32 s29, s5, s17
	s_mul_i32 s17, s5, s17
	s_add_nc_u64 s[38:39], s[24:25], s[38:39]
	s_mul_hi_u32 s1, s5, s21
	s_add_co_u32 s17, s38, s17
	s_add_co_ci_u32 s24, s39, s29
	s_mul_i32 s40, s5, s21
	s_add_co_ci_u32 s41, s1, 0
	s_delay_alu instid0(SALU_CYCLE_1) | instskip(NEXT) | instid1(SALU_CYCLE_1)
	s_add_nc_u64 s[38:39], s[24:25], s[40:41]
	s_and_b64 s[40:41], s[38:39], 0xffffffff00000000
	s_delay_alu instid0(SALU_CYCLE_1) | instskip(NEXT) | instid1(SALU_CYCLE_1)
	s_or_b32 s40, s40, s38
	s_mul_u64 s[38:39], s[6:7], s[40:41]
	s_add_nc_u64 s[42:43], s[40:41], 1
	s_sub_co_u32 s1, s4, s38
	s_cselect_b32 s4, -1, 0
	s_sub_co_i32 s17, s5, s39
	s_cmp_lg_u32 s4, 0
	s_add_nc_u64 s[44:45], s[40:41], 2
	s_sub_co_ci_u32 s17, s17, s7
	s_sub_co_u32 s21, s1, s6
	s_cselect_b32 s24, -1, 0
	s_delay_alu instid0(SALU_CYCLE_1) | instskip(SKIP_1) | instid1(SALU_CYCLE_1)
	s_cmp_lg_u32 s24, 0
	s_sub_co_ci_u32 s17, s17, 0
	s_cmp_ge_u32 s17, s7
	s_cselect_b32 s24, -1, 0
	s_cmp_ge_u32 s21, s6
	s_cselect_b32 s21, -1, 0
	s_cmp_eq_u32 s17, s7
	s_cselect_b32 s17, s21, s24
	s_delay_alu instid0(SALU_CYCLE_1) | instskip(SKIP_4) | instid1(SALU_CYCLE_1)
	s_cmp_lg_u32 s17, 0
	s_cselect_b32 s17, s44, s42
	s_cselect_b32 s21, s45, s43
	s_cmp_lg_u32 s4, 0
	s_sub_co_ci_u32 s4, s5, s39
	s_cmp_ge_u32 s4, s7
	s_cselect_b32 s5, -1, 0
	s_cmp_ge_u32 s1, s6
	s_cselect_b32 s1, -1, 0
	s_cmp_eq_u32 s4, s7
	s_cselect_b32 s1, s1, s5
	s_delay_alu instid0(SALU_CYCLE_1) | instskip(SKIP_3) | instid1(SALU_CYCLE_1)
	s_cmp_lg_u32 s1, 0
	s_cselect_b32 s5, s21, s41
	s_cselect_b32 s4, s17, s40
	s_xor_b64 s[2:3], s[2:3], 0
	s_xor_b64 s[4:5], s[4:5], s[2:3]
	s_delay_alu instid0(SALU_CYCLE_1)
	s_sub_nc_u64 s[40:41], s[4:5], s[2:3]
	s_mov_b32 s2, 0
.LBB61_11:                              ;   in Loop: Header=BB61_9 Depth=1
	s_delay_alu instid0(SALU_CYCLE_1)
	s_and_not1_b32 vcc_lo, exec_lo, s2
	s_cbranch_vccnz .LBB61_13
; %bb.12:                               ;   in Loop: Header=BB61_9 Depth=1
	v_readfirstlane_b32 s1, v7
	s_sub_co_i32 s2, 0, s16
	s_delay_alu instid0(SALU_CYCLE_1) | instskip(NEXT) | instid1(SALU_CYCLE_1)
	s_mul_i32 s2, s2, s1
	s_mul_hi_u32 s2, s1, s2
	s_delay_alu instid0(SALU_CYCLE_1) | instskip(NEXT) | instid1(SALU_CYCLE_1)
	s_add_co_i32 s1, s1, s2
	s_mul_hi_u32 s1, s0, s1
	s_delay_alu instid0(SALU_CYCLE_1) | instskip(NEXT) | instid1(SALU_CYCLE_1)
	s_mul_i32 s2, s1, s16
	s_sub_co_i32 s0, s0, s2
	s_add_co_i32 s2, s1, 1
	s_sub_co_i32 s3, s0, s16
	s_cmp_ge_u32 s0, s16
	s_cselect_b32 s1, s2, s1
	s_cselect_b32 s0, s3, s0
	s_add_co_i32 s2, s1, 1
	s_cmp_ge_u32 s0, s16
	s_cselect_b32 s24, s2, s1
	s_delay_alu instid0(SALU_CYCLE_1)
	s_mov_b64 s[40:41], s[24:25]
.LBB61_13:                              ;   in Loop: Header=BB61_9 Depth=1
	s_delay_alu instid0(SALU_CYCLE_1)
	s_cmp_lg_u32 s20, s40
	s_mov_b32 s0, -1
                                        ; implicit-def: $vgpr4_vgpr5
                                        ; implicit-def: $sgpr24
                                        ; implicit-def: $sgpr17
                                        ; implicit-def: $sgpr21
                                        ; implicit-def: $sgpr29
	s_cbranch_scc0 .LBB61_18
; %bb.14:                               ;   in Loop: Header=BB61_9 Depth=1
	s_add_co_i32 s0, s36, s16
	v_max_num_f32_e64 v4, s28, s28
	s_lshl_b32 s0, s0, 4
	s_mov_b32 s29, s20
	s_add_co_i32 s0, s0, s15
	s_load_b64 s[38:39], s[10:11], s0 offset:0x0 scale_offset
	s_wait_xcnt 0x0
	v_readfirstlane_b32 s0, v4
	s_wait_kmcnt 0x0
	v_max_num_f32_e64 v5, s38, s38
	s_delay_alu instid0(VALU_DEP_1) | instskip(SKIP_1) | instid1(SALU_CYCLE_3)
	v_readfirstlane_b32 s1, v5
	s_max_num_f32 s17, s0, s1
	s_sub_f32 s33, s28, s17
	s_sub_f32 s37, s38, s17
	s_delay_alu instid0(SALU_CYCLE_2)
	s_cmp_nlt_f32 s33, 0xc2ce8ed0
	s_cselect_b32 s1, -1, 0
	s_cmp_ngt_f32 s33, 0x42b17218
	s_cselect_b32 s2, -1, 0
	s_cmp_ge_f32 s33, 0xc1a00000
	s_cselect_b32 s0, -1, 0
	s_cmp_nlt_f32 s37, 0xc2ce8ed0
	s_cselect_b32 s3, -1, 0
	s_cmp_ngt_f32 s37, 0x42b17218
	s_cselect_b32 s4, -1, 0
	s_cmp_ge_f32 s37, 0xc1a00000
	s_cselect_b32 s5, -1, 0
	s_and_b64 s[42:43], s[40:41], s[8:9]
	s_delay_alu instid0(SALU_CYCLE_1) | instskip(NEXT) | instid1(SALU_CYCLE_1)
	s_mul_u64 s[42:43], s[42:43], s[22:23]
	s_add_co_i32 s21, s43, s40
	s_delay_alu instid0(SALU_CYCLE_1) | instskip(NEXT) | instid1(SALU_CYCLE_1)
	s_lshr_b32 s21, s21, s13
	s_mul_i32 s24, s21, s14
	s_delay_alu instid0(SALU_CYCLE_1) | instskip(SKIP_3) | instid1(SALU_CYCLE_1)
	s_cmp_eq_u32 s24, s40
	s_cselect_b32 s24, -1, 0
	s_cmp_lt_u32 s21, s12
	s_cselect_b32 s21, -1, 0
	s_or_b32 s21, s21, s24
	s_mov_b32 s24, -1
	s_and_b32 vcc_lo, exec_lo, s21
	s_mov_b32 s21, s36
	s_cbranch_vccnz .LBB61_16
; %bb.15:                               ;   in Loop: Header=BB61_9 Depth=1
	s_add_co_i32 s21, s36, -1
	s_mov_b32 s24, 0
	s_mov_b32 s29, s40
.LBB61_16:                              ;   in Loop: Header=BB61_9 Depth=1
	v_mad_u32 v4, 0x480, s36, v6
	s_mul_f32 s40, s33, 0x3fb8aa3b
	s_mul_f32 s38, s37, 0x3fb8aa3b
	s_delay_alu instid0(SALU_CYCLE_2)
	s_xor_b32 s42, s40, 0x80000000
	s_rndne_f32 s44, s40
	s_fmamk_f32 s42, s33, 0x3fb8aa3b, s42
	s_xor_b32 s41, s38, 0x80000000
	s_rndne_f32 s43, s38
	s_sub_f32 s40, s40, s44
	global_load_b32 v5, v4, s[26:27] scale_offset
	s_fmamk_f32 s33, s33, 0x32a5705f, s42
	s_fmamk_f32 s41, s37, 0x3fb8aa3b, s41
	s_sub_f32 s38, s38, s43
	s_delay_alu instid0(SALU_CYCLE_1) | instskip(NEXT) | instid1(SALU_CYCLE_1)
	s_add_f32 s33, s40, s33
	s_fmamk_f32 s37, s37, 0x32a5705f, s41
	s_cvt_i32_f32 s40, s44
	s_delay_alu instid0(SALU_CYCLE_1) | instskip(NEXT) | instid1(SALU_CYCLE_1)
	v_s_exp_f32 s33, s33
	s_add_f32 s37, s38, s37
	s_cvt_i32_f32 s38, s43
	s_delay_alu instid0(SALU_CYCLE_2) | instskip(NEXT) | instid1(TRANS32_DEP_2)
	v_s_exp_f32 s37, s37
	v_ldexp_f32 v8, s33, s40
	s_wait_xcnt 0x0
	s_delay_alu instid0(TRANS32_DEP_1) | instskip(NEXT) | instid1(VALU_DEP_2)
	v_ldexp_f32 v4, s37, s38
	v_cndmask_b32_e64 v8, 0, v8, s1
	s_delay_alu instid0(VALU_DEP_1) | instskip(NEXT) | instid1(VALU_DEP_1)
	v_cndmask_b32_e64 v9, 0x7f800000, v8, s2
	v_dual_cndmask_b32 v4, 0, v4, s3 :: v_dual_cndmask_b32 v10, 0, v9, s0
	s_delay_alu instid0(VALU_DEP_1) | instskip(NEXT) | instid1(VALU_DEP_1)
	v_cndmask_b32_e64 v4, 0x7f800000, v4, s4
	v_dual_cndmask_b32 v8, 0, v4, s5 :: v_dual_mov_b32 v4, s39
	s_wait_loadcnt 0x0
	s_delay_alu instid0(VALU_DEP_1) | instskip(NEXT) | instid1(VALU_DEP_1)
	v_pk_mul_f32 v[4:5], v[4:5], v[8:9] op_sel_hi:[1,0]
	v_pk_fma_f32 v[4:5], v[0:1], v[10:11], v[4:5] op_sel_hi:[1,0,1]
	s_cbranch_execz .LBB61_19
.LBB61_17:                              ;   in Loop: Header=BB61_9 Depth=1
	s_and_not1_b32 vcc_lo, exec_lo, s24
	s_cbranch_vccnz .LBB61_20
	s_branch .LBB61_23
.LBB61_18:                              ;   in Loop: Header=BB61_9 Depth=1
	s_and_not1_b32 vcc_lo, exec_lo, s0
	s_cbranch_vccnz .LBB61_17
.LBB61_19:                              ;   in Loop: Header=BB61_9 Depth=1
	s_wait_loadcnt 0x0
	v_mov_b64_e32 v[4:5], v[0:1]
	s_add_co_i32 s21, s36, -1
	s_mov_b32 s29, s20
	s_mov_b32 s17, s28
	s_cbranch_execz .LBB61_23
.LBB61_20:                              ;   in Loop: Header=BB61_9 Depth=1
	s_wait_loadcnt 0x0
	s_delay_alu instid0(VALU_DEP_1)
	v_mov_b64_e32 v[0:1], v[4:5]
	s_mov_b32 s20, s29
	s_mov_b32 s36, s21
	;; [unrolled: 1-line block ×3, first 2 shown]
	s_branch .LBB61_9
.LBB61_21:
                                        ; implicit-def: $sgpr20_sgpr21
	s_branch .LBB61_2
.LBB61_22:
                                        ; implicit-def: $sgpr24_sgpr25
	s_load_b96 s[12:14], s[0:1], 0x44
	s_branch .LBB61_5
.LBB61_23:
	s_delay_alu instid0(VALU_DEP_1) | instskip(SKIP_1) | instid1(VALU_DEP_1)
	v_div_scale_f32 v0, null, v4, v4, v5
	s_wait_loadcnt 0x0
	v_rcp_f32_e32 v1, v0
	v_nop
	s_delay_alu instid0(TRANS32_DEP_1) | instskip(NEXT) | instid1(VALU_DEP_1)
	v_fma_f32 v6, -v0, v1, 1.0
	v_fmac_f32_e32 v1, v6, v1
	v_div_scale_f32 v6, vcc_lo, v5, v4, v5
	s_delay_alu instid0(VALU_DEP_1) | instskip(NEXT) | instid1(VALU_DEP_1)
	v_mul_f32_e32 v7, v6, v1
	v_fma_f32 v8, -v0, v7, v6
	s_delay_alu instid0(VALU_DEP_1) | instskip(NEXT) | instid1(VALU_DEP_1)
	v_fmac_f32_e32 v7, v8, v1
	v_fma_f32 v0, -v0, v7, v6
	s_delay_alu instid0(VALU_DEP_1) | instskip(NEXT) | instid1(VALU_DEP_1)
	v_div_fmas_f32 v0, v0, v1, v7
	v_div_fixup_f32 v0, v0, v4, v5
	global_store_b32 v[2:3], v0, off
.LBB61_24:
	s_endpgm
	.section	.rodata,"a",@progbits
	.p2align	6, 0x0
	.amdhsa_kernel _ZL33flash_attn_stream_k_fixup_generalILi72ELi16ELi1EEvPfPK15HIP_vector_typeIfLj2EEiiiiS1_IjLj3EES5_S5_S5_
		.amdhsa_group_segment_fixed_size 0
		.amdhsa_private_segment_fixed_size 0
		.amdhsa_kernarg_size 336
		.amdhsa_user_sgpr_count 2
		.amdhsa_user_sgpr_dispatch_ptr 0
		.amdhsa_user_sgpr_queue_ptr 0
		.amdhsa_user_sgpr_kernarg_segment_ptr 1
		.amdhsa_user_sgpr_dispatch_id 0
		.amdhsa_user_sgpr_kernarg_preload_length 0
		.amdhsa_user_sgpr_kernarg_preload_offset 0
		.amdhsa_user_sgpr_private_segment_size 0
		.amdhsa_wavefront_size32 1
		.amdhsa_uses_dynamic_stack 0
		.amdhsa_enable_private_segment 0
		.amdhsa_system_sgpr_workgroup_id_x 1
		.amdhsa_system_sgpr_workgroup_id_y 1
		.amdhsa_system_sgpr_workgroup_id_z 1
		.amdhsa_system_sgpr_workgroup_info 0
		.amdhsa_system_vgpr_workitem_id 0
		.amdhsa_next_free_vgpr 12
		.amdhsa_next_free_sgpr 46
		.amdhsa_named_barrier_count 0
		.amdhsa_reserve_vcc 1
		.amdhsa_float_round_mode_32 0
		.amdhsa_float_round_mode_16_64 0
		.amdhsa_float_denorm_mode_32 3
		.amdhsa_float_denorm_mode_16_64 3
		.amdhsa_fp16_overflow 0
		.amdhsa_memory_ordered 1
		.amdhsa_forward_progress 1
		.amdhsa_inst_pref_size 27
		.amdhsa_round_robin_scheduling 0
		.amdhsa_exception_fp_ieee_invalid_op 0
		.amdhsa_exception_fp_denorm_src 0
		.amdhsa_exception_fp_ieee_div_zero 0
		.amdhsa_exception_fp_ieee_overflow 0
		.amdhsa_exception_fp_ieee_underflow 0
		.amdhsa_exception_fp_ieee_inexact 0
		.amdhsa_exception_int_div_zero 0
	.end_amdhsa_kernel
	.section	.text._ZL33flash_attn_stream_k_fixup_generalILi72ELi16ELi1EEvPfPK15HIP_vector_typeIfLj2EEiiiiS1_IjLj3EES5_S5_S5_,"axG",@progbits,_ZL33flash_attn_stream_k_fixup_generalILi72ELi16ELi1EEvPfPK15HIP_vector_typeIfLj2EEiiiiS1_IjLj3EES5_S5_S5_,comdat
.Lfunc_end61:
	.size	_ZL33flash_attn_stream_k_fixup_generalILi72ELi16ELi1EEvPfPK15HIP_vector_typeIfLj2EEiiiiS1_IjLj3EES5_S5_S5_, .Lfunc_end61-_ZL33flash_attn_stream_k_fixup_generalILi72ELi16ELi1EEvPfPK15HIP_vector_typeIfLj2EEiiiiS1_IjLj3EES5_S5_S5_
                                        ; -- End function
	.set _ZL33flash_attn_stream_k_fixup_generalILi72ELi16ELi1EEvPfPK15HIP_vector_typeIfLj2EEiiiiS1_IjLj3EES5_S5_S5_.num_vgpr, 12
	.set _ZL33flash_attn_stream_k_fixup_generalILi72ELi16ELi1EEvPfPK15HIP_vector_typeIfLj2EEiiiiS1_IjLj3EES5_S5_S5_.num_agpr, 0
	.set _ZL33flash_attn_stream_k_fixup_generalILi72ELi16ELi1EEvPfPK15HIP_vector_typeIfLj2EEiiiiS1_IjLj3EES5_S5_S5_.numbered_sgpr, 46
	.set _ZL33flash_attn_stream_k_fixup_generalILi72ELi16ELi1EEvPfPK15HIP_vector_typeIfLj2EEiiiiS1_IjLj3EES5_S5_S5_.num_named_barrier, 0
	.set _ZL33flash_attn_stream_k_fixup_generalILi72ELi16ELi1EEvPfPK15HIP_vector_typeIfLj2EEiiiiS1_IjLj3EES5_S5_S5_.private_seg_size, 0
	.set _ZL33flash_attn_stream_k_fixup_generalILi72ELi16ELi1EEvPfPK15HIP_vector_typeIfLj2EEiiiiS1_IjLj3EES5_S5_S5_.uses_vcc, 1
	.set _ZL33flash_attn_stream_k_fixup_generalILi72ELi16ELi1EEvPfPK15HIP_vector_typeIfLj2EEiiiiS1_IjLj3EES5_S5_S5_.uses_flat_scratch, 0
	.set _ZL33flash_attn_stream_k_fixup_generalILi72ELi16ELi1EEvPfPK15HIP_vector_typeIfLj2EEiiiiS1_IjLj3EES5_S5_S5_.has_dyn_sized_stack, 0
	.set _ZL33flash_attn_stream_k_fixup_generalILi72ELi16ELi1EEvPfPK15HIP_vector_typeIfLj2EEiiiiS1_IjLj3EES5_S5_S5_.has_recursion, 0
	.set _ZL33flash_attn_stream_k_fixup_generalILi72ELi16ELi1EEvPfPK15HIP_vector_typeIfLj2EEiiiiS1_IjLj3EES5_S5_S5_.has_indirect_call, 0
	.section	.AMDGPU.csdata,"",@progbits
; Kernel info:
; codeLenInByte = 3344
; TotalNumSgprs: 48
; NumVgprs: 12
; ScratchSize: 0
; MemoryBound: 0
; FloatMode: 240
; IeeeMode: 1
; LDSByteSize: 0 bytes/workgroup (compile time only)
; SGPRBlocks: 0
; VGPRBlocks: 0
; NumSGPRsForWavesPerEU: 48
; NumVGPRsForWavesPerEU: 12
; NamedBarCnt: 0
; Occupancy: 16
; WaveLimiterHint : 0
; COMPUTE_PGM_RSRC2:SCRATCH_EN: 0
; COMPUTE_PGM_RSRC2:USER_SGPR: 2
; COMPUTE_PGM_RSRC2:TRAP_HANDLER: 0
; COMPUTE_PGM_RSRC2:TGID_X_EN: 1
; COMPUTE_PGM_RSRC2:TGID_Y_EN: 1
; COMPUTE_PGM_RSRC2:TGID_Z_EN: 1
; COMPUTE_PGM_RSRC2:TIDIG_COMP_CNT: 0
	.section	.text._ZL15flash_attn_tileILi72ELi72ELi8ELi1ELb0EEvPKcS1_S1_S1_S1_PKiPfP15HIP_vector_typeIfLj2EEffffjfiS5_IjLj3EEiiiiiiiiiiiliiliiiiil,"axG",@progbits,_ZL15flash_attn_tileILi72ELi72ELi8ELi1ELb0EEvPKcS1_S1_S1_S1_PKiPfP15HIP_vector_typeIfLj2EEffffjfiS5_IjLj3EEiiiiiiiiiiiliiliiiiil,comdat
	.globl	_ZL15flash_attn_tileILi72ELi72ELi8ELi1ELb0EEvPKcS1_S1_S1_S1_PKiPfP15HIP_vector_typeIfLj2EEffffjfiS5_IjLj3EEiiiiiiiiiiiliiliiiiil ; -- Begin function _ZL15flash_attn_tileILi72ELi72ELi8ELi1ELb0EEvPKcS1_S1_S1_S1_PKiPfP15HIP_vector_typeIfLj2EEffffjfiS5_IjLj3EEiiiiiiiiiiiliiliiiiil
	.p2align	8
	.type	_ZL15flash_attn_tileILi72ELi72ELi8ELi1ELb0EEvPKcS1_S1_S1_S1_PKiPfP15HIP_vector_typeIfLj2EEffffjfiS5_IjLj3EEiiiiiiiiiiiliiliiiiil,@function
_ZL15flash_attn_tileILi72ELi72ELi8ELi1ELb0EEvPKcS1_S1_S1_S1_PKiPfP15HIP_vector_typeIfLj2EEffffjfiS5_IjLj3EEiiiiiiiiiiiliiliiiiil: ; @_ZL15flash_attn_tileILi72ELi72ELi8ELi1ELb0EEvPKcS1_S1_S1_S1_PKiPfP15HIP_vector_typeIfLj2EEffffjfiS5_IjLj3EEiiiiiiiiiiiliiliiiiil
; %bb.0:
	s_clause 0x1
	s_load_b128 s[20:23], s[0:1], 0x5c
	s_load_b64 s[34:35], s[0:1], 0x80
	s_bfe_u32 s4, ttmp6, 0x40014
	s_lshr_b32 s3, ttmp7, 16
	s_add_co_i32 s4, s4, 1
	s_bfe_u32 s5, ttmp6, 0x40008
	s_mul_i32 s4, s3, s4
	s_getreg_b32 s38, hwreg(HW_REG_IB_STS2, 6, 4)
	s_add_co_i32 s5, s5, s4
	s_mov_b32 s37, 0
	s_mov_b64 s[30:31], 0
	s_wait_kmcnt 0x0
	s_cvt_f32_u32 s2, s23
	s_sub_co_i32 s6, 0, s23
	s_delay_alu instid0(SALU_CYCLE_2) | instskip(SKIP_1) | instid1(TRANS32_DEP_1)
	v_rcp_iflag_f32_e32 v1, s2
	v_nop
	v_readfirstlane_b32 s2, v1
	s_mul_f32 s2, s2, 0x4f7ffffe
	s_delay_alu instid0(SALU_CYCLE_3) | instskip(NEXT) | instid1(SALU_CYCLE_3)
	s_cvt_u32_f32 s2, s2
	s_mul_i32 s6, s6, s2
	s_delay_alu instid0(SALU_CYCLE_1) | instskip(NEXT) | instid1(SALU_CYCLE_1)
	s_mul_hi_u32 s6, s2, s6
	s_add_co_i32 s2, s2, s6
	s_cmp_eq_u32 s38, 0
	s_cselect_b32 s3, s3, s5
	s_delay_alu instid0(SALU_CYCLE_1) | instskip(NEXT) | instid1(SALU_CYCLE_1)
	s_mul_hi_u32 s2, s3, s2
	s_mul_i32 s4, s2, s23
	s_add_co_i32 s5, s2, 1
	s_sub_co_i32 s4, s3, s4
	s_delay_alu instid0(SALU_CYCLE_1)
	s_sub_co_i32 s6, s4, s23
	s_cmp_ge_u32 s4, s23
	s_cselect_b32 s2, s5, s2
	s_cselect_b32 s4, s6, s4
	s_add_co_i32 s5, s2, 1
	s_cmp_ge_u32 s4, s23
	s_cselect_b32 s28, s5, s2
	s_abs_i32 s2, s35
	s_abs_i32 s7, s23
	s_cvt_f32_u32 s4, s2
	s_sub_co_i32 s5, 0, s2
	s_xor_b32 s6, s23, s35
	s_delay_alu instid0(SALU_CYCLE_1) | instskip(SKIP_2) | instid1(TRANS32_DEP_1)
	v_rcp_iflag_f32_e32 v1, s4
	s_ashr_i32 s6, s6, 31
	v_nop
	v_readfirstlane_b32 s4, v1
	s_mul_f32 s4, s4, 0x4f7ffffe
	s_delay_alu instid0(SALU_CYCLE_3) | instskip(NEXT) | instid1(SALU_CYCLE_3)
	s_cvt_u32_f32 s4, s4
	s_mul_i32 s5, s5, s4
	s_delay_alu instid0(SALU_CYCLE_1) | instskip(NEXT) | instid1(SALU_CYCLE_1)
	s_mul_hi_u32 s5, s4, s5
	s_add_co_i32 s4, s4, s5
	s_mul_i32 s5, s28, s23
	s_mul_hi_u32 s4, s7, s4
	s_sub_co_i32 s33, s3, s5
	s_mul_i32 s8, s4, s2
	s_add_co_i32 s5, s4, 1
	s_sub_co_i32 s3, s7, s8
	s_delay_alu instid0(SALU_CYCLE_1)
	s_sub_co_i32 s7, s3, s2
	s_cmp_ge_u32 s3, s2
	s_cselect_b32 s4, s5, s4
	s_cselect_b32 s3, s7, s3
	s_add_co_i32 s5, s4, 1
	s_cmp_ge_u32 s3, s2
	s_cselect_b32 s2, s5, s4
	s_delay_alu instid0(SALU_CYCLE_1) | instskip(NEXT) | instid1(SALU_CYCLE_1)
	s_xor_b32 s2, s2, s6
	s_sub_co_i32 s29, s2, s6
	s_delay_alu instid0(SALU_CYCLE_1) | instskip(NEXT) | instid1(SALU_CYCLE_1)
	s_abs_i32 s39, s29
	s_cvt_f32_u32 s2, s39
	s_delay_alu instid0(SALU_CYCLE_3) | instskip(SKIP_4) | instid1(TRANS32_DEP_1)
	v_rcp_iflag_f32_e32 v1, s2
	s_clause 0x1
	s_load_b512 s[4:19], s[0:1], 0x0
	s_load_b64 s[2:3], s[0:1], 0xb8
	v_nop
	v_readfirstlane_b32 s24, v1
	s_mul_f32 s24, s24, 0x4f7ffffe
	s_delay_alu instid0(SALU_CYCLE_3) | instskip(SKIP_4) | instid1(SALU_CYCLE_1)
	s_cvt_u32_f32 s35, s24
	s_sub_co_i32 s24, 0, s39
	s_wait_kmcnt 0x0
	s_cmp_eq_u64 s[10:11], 0
	s_mul_i32 s24, s24, s35
	s_mul_hi_u32 s40, s35, s24
	s_cbranch_scc1 .LBB62_2
; %bb.1:
	s_abs_i32 s2, s2
	s_abs_i32 s26, s28
	s_cvt_f32_u32 s24, s2
	s_sub_co_i32 s25, 0, s2
	s_delay_alu instid0(SALU_CYCLE_2) | instskip(SKIP_1) | instid1(TRANS32_DEP_1)
	v_rcp_iflag_f32_e32 v1, s24
	v_nop
	v_readfirstlane_b32 s24, v1
	s_mul_f32 s24, s24, 0x4f7ffffe
	s_delay_alu instid0(SALU_CYCLE_3) | instskip(NEXT) | instid1(SALU_CYCLE_3)
	s_cvt_u32_f32 s24, s24
	s_mul_i32 s25, s25, s24
	s_delay_alu instid0(SALU_CYCLE_1) | instskip(NEXT) | instid1(SALU_CYCLE_1)
	s_mul_hi_u32 s25, s24, s25
	s_add_co_i32 s24, s24, s25
	s_delay_alu instid0(SALU_CYCLE_1) | instskip(SKIP_2) | instid1(SALU_CYCLE_1)
	s_mul_hi_u32 s27, s26, s24
	s_load_b64 s[24:25], s[0:1], 0xc8
	s_mul_i32 s27, s27, s2
	s_sub_co_i32 s26, s26, s27
	s_ashr_i32 s27, s28, 31
	s_sub_co_i32 s30, s26, s2
	s_cmp_ge_u32 s26, s2
	s_cselect_b32 s26, s30, s26
	s_delay_alu instid0(SALU_CYCLE_1) | instskip(SKIP_2) | instid1(SALU_CYCLE_1)
	s_sub_co_i32 s30, s26, s2
	s_cmp_ge_u32 s26, s2
	s_cselect_b32 s2, s30, s26
	s_xor_b32 s2, s2, s27
	s_delay_alu instid0(SALU_CYCLE_1) | instskip(NEXT) | instid1(SALU_CYCLE_1)
	s_sub_co_i32 s26, s2, s27
	s_ashr_i32 s27, s26, 31
	s_wait_kmcnt 0x0
	s_mul_u64 s[24:25], s[24:25], s[26:27]
	s_delay_alu instid0(SALU_CYCLE_1)
	s_add_nc_u64 s[30:31], s[10:11], s[24:25]
.LBB62_2:
	s_clause 0x1
	s_load_b128 s[24:27], s[0:1], 0x40
	s_load_b32 s2, s[0:1], 0x50
	s_abs_i32 s36, s33
	s_add_co_i32 s10, s35, s40
	v_mov_b32_e32 v15, 1.0
	s_wait_kmcnt 0x0
	s_cmp_le_f32 s25, 0
	s_cbranch_scc1 .LBB62_4
; %bb.3:
	v_sub_co_u32 v1, s2, s33, s2
	s_and_b32 s35, s2, exec_lo
	s_cselect_b32 s26, s26, s27
	s_add_co_i32 s27, s33, 1
	v_readfirstlane_b32 s11, v1
	s_lshl_b32 s11, s11, 1
	s_delay_alu instid0(SALU_CYCLE_1) | instskip(SKIP_4) | instid1(SALU_CYCLE_3)
	s_or_b32 s11, s11, 1
	s_and_b32 s2, s2, exec_lo
	s_cselect_b32 s2, s27, s11
	s_cmp_neq_f32 s26, 1.0
	s_cvt_f32_i32 s2, s2
	s_cselect_b32 s11, s2, 1.0
	s_delay_alu instid0(SALU_CYCLE_1) | instskip(SKIP_1) | instid1(SALU_CYCLE_1)
	s_cmp_neq_f32 s11, 0
	s_cselect_b32 s2, s26, 1.0
	v_cvt_f64_f32_e64 v[2:3], |s2|
	s_delay_alu instid0(VALU_DEP_1) | instskip(SKIP_1) | instid1(VALU_DEP_1)
	v_frexp_exp_i32_f64_e32 v1, v[2:3]
	v_frexp_mant_f32_e64 v2, |s2|
	v_readfirstlane_b32 s26, v2
	s_cmp_lt_f32 s26, 0x3f2aaaab
	s_cselect_b32 vcc_lo, -1, 0
	s_delay_alu instid0(SALU_CYCLE_1) | instskip(SKIP_1) | instid1(SALU_CYCLE_1)
	s_and_b32 s27, vcc_lo, exec_lo
	s_cselect_b32 s27, 2.0, 1.0
	s_mul_f32 s26, s26, s27
	s_delay_alu instid0(SALU_CYCLE_3) | instskip(SKIP_1) | instid1(SALU_CYCLE_2)
	s_add_f32 s27, s26, 1.0
	s_add_f32 s40, s26, -1.0
	v_s_rcp_f32 s35, s27
	s_add_f32 s43, s27, -1.0
	v_subrev_co_ci_u32_e64 v1, null, 0, v1, vcc_lo
	s_delay_alu instid0(SALU_CYCLE_2) | instskip(NEXT) | instid1(TRANS32_DEP_1)
	s_sub_f32 s26, s26, s43
	s_mul_f32 s41, s40, s35
	v_cvt_f32_i32_e32 v1, v1
	s_delay_alu instid0(SALU_CYCLE_2) | instskip(NEXT) | instid1(SALU_CYCLE_3)
	s_mul_f32 s42, s27, s41
	v_dual_mov_b32 v3, s40 :: v_dual_mov_b32 v4, s42
	s_xor_b32 s44, s42, 0x80000000
	s_delay_alu instid0(SALU_CYCLE_1) | instskip(NEXT) | instid1(SALU_CYCLE_3)
	s_fmac_f32 s44, s41, s27
	s_fmac_f32 s44, s41, s26
	s_delay_alu instid0(SALU_CYCLE_3) | instskip(SKIP_2) | instid1(SALU_CYCLE_1)
	s_add_f32 s26, s42, s44
	v_mov_b32_e32 v6, s44
	s_mov_b32 s42, 0x3e76c4e1
	s_sub_f32 s27, s40, s26
	v_dual_mov_b32 v2, s26 :: v_dual_mov_b32 v7, s26
	s_delay_alu instid0(SALU_CYCLE_2) | instskip(NEXT) | instid1(VALU_DEP_1)
	v_mov_b32_e32 v5, s27
	v_pk_add_f32 v[2:3], v[2:3], v[4:5] neg_lo:[0,1] neg_hi:[0,1]
	s_delay_alu instid0(VALU_DEP_1) | instskip(NEXT) | instid1(VALU_DEP_1)
	v_pk_add_f32 v[2:3], v[2:3], v[6:7] neg_lo:[0,1] neg_hi:[0,1]
	v_readfirstlane_b32 s26, v3
	s_delay_alu instid0(VALU_DEP_2) | instskip(SKIP_1) | instid1(SALU_CYCLE_3)
	v_readfirstlane_b32 s40, v2
	s_add_f32 s26, s40, s26
	s_add_f32 s26, s27, s26
	s_delay_alu instid0(SALU_CYCLE_3) | instskip(NEXT) | instid1(SALU_CYCLE_3)
	s_mul_f32 s27, s35, s26
	s_add_f32 s26, s41, s27
	s_delay_alu instid0(SALU_CYCLE_3) | instskip(SKIP_1) | instid1(SALU_CYCLE_2)
	s_sub_f32 s35, s26, s41
	s_mul_f32 s41, s26, s26
	s_sub_f32 s35, s27, s35
	s_delay_alu instid0(SALU_CYCLE_2) | instskip(NEXT) | instid1(SALU_CYCLE_1)
	s_xor_b32 s27, s41, 0x80000000
	s_fmac_f32 s27, s26, s26
	s_delay_alu instid0(SALU_CYCLE_1) | instskip(NEXT) | instid1(SALU_CYCLE_3)
	s_add_f32 s40, s35, s35
	s_fmac_f32 s27, s26, s40
	s_delay_alu instid0(SALU_CYCLE_3) | instskip(NEXT) | instid1(SALU_CYCLE_3)
	s_add_f32 s40, s41, s27
	s_fmaak_f32 s42, s40, s42, 0x3e91f4c4
	s_sub_f32 s41, s40, s41
	s_delay_alu instid0(SALU_CYCLE_2) | instskip(NEXT) | instid1(SALU_CYCLE_2)
	s_fmaak_f32 s42, s40, s42, 0x3ecccdef
	s_sub_f32 s45, s27, s41
	s_delay_alu instid0(SALU_CYCLE_2) | instskip(NEXT) | instid1(SALU_CYCLE_3)
	s_mul_f32 s43, s40, s42
	s_xor_b32 s44, s43, 0x80000000
	s_delay_alu instid0(SALU_CYCLE_1) | instskip(NEXT) | instid1(SALU_CYCLE_3)
	s_fmac_f32 s44, s40, s42
	s_fmac_f32 s44, s45, s42
	s_delay_alu instid0(SALU_CYCLE_3) | instskip(NEXT) | instid1(SALU_CYCLE_3)
	s_add_f32 s41, s43, s44
	s_sub_f32 s27, s41, s43
	s_add_f32 s42, s41, 0x3f2aaaaa
	s_delay_alu instid0(SALU_CYCLE_2) | instskip(NEXT) | instid1(SALU_CYCLE_2)
	s_sub_f32 s27, s44, s27
	s_add_f32 s43, s42, 0xbf2aaaaa
	s_delay_alu instid0(SALU_CYCLE_2) | instskip(NEXT) | instid1(SALU_CYCLE_2)
	s_add_f32 s27, s27, 0x31739010
	s_sub_f32 s41, s41, s43
	s_delay_alu instid0(SALU_CYCLE_2) | instskip(NEXT) | instid1(SALU_CYCLE_2)
	v_mov_b64_e32 v[2:3], s[26:27]
	v_mov_b64_e32 v[4:5], s[40:41]
	s_delay_alu instid0(VALU_DEP_1) | instskip(SKIP_2) | instid1(VALU_DEP_3)
	v_pk_mul_f32 v[6:7], v[2:3], v[4:5]
	v_pk_add_f32 v[2:3], v[2:3], v[4:5]
	v_mov_b32_e32 v9, s42
	v_xor_b32_e32 v8, 0x80000000, v6
	s_delay_alu instid0(VALU_DEP_3) | instskip(NEXT) | instid1(VALU_DEP_2)
	v_mov_b32_e32 v7, v3
	v_fmac_f32_e64 v8, s40, s26
	s_delay_alu instid0(VALU_DEP_1) | instskip(NEXT) | instid1(VALU_DEP_1)
	v_fmac_f32_e64 v8, s40, s35
	v_fmac_f32_e64 v8, s45, s26
	s_delay_alu instid0(VALU_DEP_1) | instskip(NEXT) | instid1(VALU_DEP_1)
	v_pk_add_f32 v[4:5], v[6:7], v[8:9]
	v_dual_mov_b32 v2, v5 :: v_dual_sub_f32 v7, s42, v5
	v_mul_f32_e32 v12, 0x3f317218, v1
	s_delay_alu instid0(VALU_DEP_2) | instskip(NEXT) | instid1(VALU_DEP_3)
	v_pk_mul_f32 v[10:11], v[4:5], v[2:3]
	v_add_f32_e32 v3, v3, v7
	s_delay_alu instid0(VALU_DEP_3) | instskip(NEXT) | instid1(VALU_DEP_3)
	v_xor_b32_e32 v7, 0x80000000, v12
	v_xor_b32_e32 v2, 0x80000000, v10
	s_delay_alu instid0(VALU_DEP_2) | instskip(NEXT) | instid1(VALU_DEP_2)
	v_dual_sub_f32 v6, v4, v6 :: v_dual_fmac_f32 v7, 0x3f317218, v1
	v_fmac_f32_e32 v2, v4, v5
	s_delay_alu instid0(VALU_DEP_2) | instskip(NEXT) | instid1(VALU_DEP_2)
	v_sub_f32_e32 v6, v8, v6
	v_fmac_f32_e32 v2, v4, v3
	s_delay_alu instid0(VALU_DEP_1) | instskip(SKIP_3) | instid1(VALU_DEP_2)
	v_fmac_f32_e32 v2, v6, v5
	v_fmamk_f32 v4, v1, 0xb102e308, v7
	v_ldexp_f32 v5, s26, 1
	v_ldexp_f32 v1, s35, 1
	v_dual_add_f32 v13, v10, v2 :: v_dual_mov_b32 v11, v5
	s_delay_alu instid0(VALU_DEP_1) | instskip(SKIP_1) | instid1(VALU_DEP_2)
	v_pk_add_f32 v[6:7], v[12:13], v[4:5]
	v_dual_mov_b32 v8, v13 :: v_dual_mov_b32 v3, v13
	v_dual_mov_b32 v9, v7 :: v_dual_mov_b32 v5, v6
	v_mov_b32_e32 v14, v7
	s_delay_alu instid0(VALU_DEP_2) | instskip(NEXT) | instid1(VALU_DEP_1)
	v_pk_add_f32 v[8:9], v[8:9], v[10:11] neg_lo:[0,1] neg_hi:[0,1]
	v_pk_add_f32 v[2:3], v[2:3], v[8:9] neg_lo:[0,1] neg_hi:[0,1]
	s_delay_alu instid0(VALU_DEP_1) | instskip(NEXT) | instid1(VALU_DEP_1)
	v_add_f32_e32 v1, v1, v2
	v_add_f32_e32 v13, v1, v3
	s_delay_alu instid0(VALU_DEP_1) | instskip(SKIP_1) | instid1(VALU_DEP_2)
	v_pk_add_f32 v[2:3], v[6:7], v[12:13]
	v_pk_add_f32 v[8:9], v[6:7], v[12:13] neg_lo:[0,1] neg_hi:[0,1]
	v_mov_b32_e32 v9, v3
	s_delay_alu instid0(VALU_DEP_1) | instskip(SKIP_2) | instid1(VALU_DEP_3)
	v_pk_add_f32 v[10:11], v[4:5], v[8:9]
	v_pk_add_f32 v[4:5], v[4:5], v[8:9] neg_lo:[0,1] neg_hi:[0,1]
	v_dual_mov_b32 v16, v3 :: v_dual_mov_b32 v5, v6
	v_dual_mov_b32 v12, v11 :: v_dual_mov_b32 v17, v11
	s_delay_alu instid0(VALU_DEP_3) | instskip(NEXT) | instid1(VALU_DEP_2)
	v_readfirstlane_b32 s26, v4
	v_pk_add_f32 v[8:9], v[12:13], v[6:7] neg_lo:[0,1] neg_hi:[0,1]
	s_delay_alu instid0(VALU_DEP_2) | instskip(NEXT) | instid1(VALU_DEP_2)
	v_dual_mov_b32 v4, v13 :: v_dual_mov_b32 v10, s26
	v_dual_mov_b32 v15, v8 :: v_dual_mov_b32 v1, v8
	s_delay_alu instid0(VALU_DEP_1) | instskip(NEXT) | instid1(VALU_DEP_2)
	v_pk_add_f32 v[6:7], v[16:17], v[14:15] neg_lo:[0,1] neg_hi:[0,1]
	v_pk_add_f32 v[2:3], v[2:3], v[0:1] neg_lo:[0,1] neg_hi:[0,1]
	v_mov_b32_e32 v2, s26
	s_delay_alu instid0(VALU_DEP_3) | instskip(NEXT) | instid1(VALU_DEP_1)
	v_pk_add_f32 v[4:5], v[4:5], v[6:7] neg_lo:[0,1] neg_hi:[0,1]
	v_pk_add_f32 v[2:3], v[2:3], v[4:5]
	s_delay_alu instid0(VALU_DEP_1) | instskip(NEXT) | instid1(VALU_DEP_2)
	v_readfirstlane_b32 s27, v2
	v_mov_b32_e32 v6, v3
	s_delay_alu instid0(VALU_DEP_1) | instskip(NEXT) | instid1(VALU_DEP_3)
	v_pk_add_f32 v[6:7], v[2:3], v[6:7]
	v_mov_b32_e32 v2, s27
	s_delay_alu instid0(VALU_DEP_2) | instskip(SKIP_1) | instid1(VALU_DEP_2)
	v_pk_add_f32 v[8:9], v[12:13], v[6:7]
	v_mov_b32_e32 v5, v6
	v_readfirstlane_b32 s35, v8
	s_delay_alu instid0(VALU_DEP_1) | instskip(NEXT) | instid1(VALU_DEP_1)
	v_mov_b32_e32 v3, s35
	v_pk_add_f32 v[2:3], v[2:3], v[10:11] neg_lo:[0,1] neg_hi:[0,1]
	s_delay_alu instid0(VALU_DEP_1) | instskip(NEXT) | instid1(VALU_DEP_2)
	v_readfirstlane_b32 s40, v2
	v_pk_add_f32 v[2:3], v[4:5], v[2:3] neg_lo:[0,1] neg_hi:[0,1]
	s_sub_f32 s27, s27, s40
	s_delay_alu instid0(VALU_DEP_1) | instskip(NEXT) | instid1(SALU_CYCLE_2)
	v_readfirstlane_b32 s40, v2
	s_sub_f32 s26, s26, s27
	v_readfirstlane_b32 s27, v3
	s_delay_alu instid0(SALU_CYCLE_2) | instskip(NEXT) | instid1(SALU_CYCLE_3)
	s_add_f32 s26, s40, s26
	s_add_f32 s26, s26, s27
	s_delay_alu instid0(SALU_CYCLE_3) | instskip(NEXT) | instid1(SALU_CYCLE_3)
	s_add_f32 s27, s35, s26
	s_mul_f32 s40, s11, s27
	s_sub_f32 s35, s27, s35
	s_delay_alu instid0(SALU_CYCLE_2) | instskip(NEXT) | instid1(SALU_CYCLE_2)
	s_xor_b32 s41, s40, 0x80000000
	s_sub_f32 s26, s26, s35
	s_fmac_f32 s41, s11, s27
	s_delay_alu instid0(SALU_CYCLE_3) | instskip(SKIP_1) | instid1(SALU_CYCLE_2)
	s_fmac_f32 s41, s11, s26
	v_cmp_class_f32_e64 s26, s40, 0x204
	s_add_f32 s27, s40, s41
	s_and_b32 s26, s26, exec_lo
	s_delay_alu instid0(SALU_CYCLE_2) | instskip(SKIP_1) | instid1(SALU_CYCLE_1)
	s_sub_f32 s26, s27, s40
	s_cselect_b32 s27, s40, s27
	s_and_b32 s35, s27, 0x7fffffff
	s_delay_alu instid0(SALU_CYCLE_1) | instskip(SKIP_1) | instid1(SALU_CYCLE_2)
	s_sub_f32 s26, s41, s26
	s_cmp_neq_f32 s35, 0x7f800000
	s_cselect_b32 s26, s26, 0
	s_cmp_eq_f32 s27, 0x42b17218
	s_cselect_b32 s35, 0x37000000, 0
	s_delay_alu instid0(SALU_CYCLE_1) | instskip(SKIP_1) | instid1(SALU_CYCLE_2)
	s_sub_f32 s27, s27, s35
	s_add_f32 s26, s35, s26
	s_mul_f32 s40, s27, 0x3fb8aa3b
	s_delay_alu instid0(SALU_CYCLE_3) | instskip(SKIP_3) | instid1(SALU_CYCLE_1)
	s_xor_b32 s41, s40, 0x80000000
	s_rndne_f32 s42, s40
	s_fmamk_f32 s41, s27, 0x3fb8aa3b, s41
	s_cmp_nlt_f32 s27, 0xc2ce8ed0
	s_sub_f32 s40, s40, s42
	s_delay_alu instid0(SALU_CYCLE_1)
	s_fmamk_f32 s41, s27, 0x32a5705f, s41
	s_cselect_b32 vcc_lo, -1, 0
	s_cmp_ngt_f32 s27, 0x42b17218
	s_trunc_f32 s27, s11
	s_add_f32 s40, s40, s41
	s_cvt_i32_f32 s41, s42
	s_delay_alu instid0(SALU_CYCLE_2)
	v_s_exp_f32 s40, s40
	v_nop
	s_delay_alu instid0(TRANS32_DEP_1) | instid1(SALU_CYCLE_1)
	v_ldexp_f32 v1, s40, s41
	s_mul_f32 s40, s11, 0.5
	s_delay_alu instid0(VALU_DEP_1) | instskip(SKIP_3) | instid1(VALU_DEP_1)
	v_cndmask_b32_e32 v1, 0, v1, vcc_lo
	s_cselect_b32 vcc_lo, -1, 0
	s_cmp_eq_f32 s27, s11
	s_trunc_f32 s41, s40
	v_cndmask_b32_e32 v1, 0x7f800000, v1, vcc_lo
	s_cselect_b32 s42, -1, 0
	s_delay_alu instid0(SALU_CYCLE_1) | instskip(NEXT) | instid1(VALU_DEP_1)
	s_cmp_neq_f32 s41, s40
	v_fma_f32 v2, s26, v1, v1
	v_cmp_class_f32_e64 vcc_lo, v1, 0x204
	s_cselect_b32 s35, -1, 0
	s_delay_alu instid0(SALU_CYCLE_1)
	s_and_b32 s26, s42, s35
	v_cndmask_b32_e32 v1, v2, v1, vcc_lo
	s_and_b32 s35, s26, exec_lo
	s_cselect_b32 s35, s2, 1.0
	s_cmp_eq_f32 s27, s11
	v_cmp_class_f32_e64 s27, s2, 0x204
	v_bfi_b32 v1, 0x7fffffff, v1, s35
	s_cselect_b32 vcc_lo, -1, 0
	s_cmp_lt_f32 s2, 0
	s_delay_alu instid0(VALU_DEP_1) | instskip(SKIP_2) | instid1(VALU_DEP_1)
	v_cndmask_b32_e32 v2, 0x7fc00000, v1, vcc_lo
	s_cselect_b32 vcc_lo, -1, 0
	s_cmp_eq_f32 s2, 0
	v_cndmask_b32_e32 v1, v1, v2, vcc_lo
	s_cselect_b32 s35, -1, 0
	s_delay_alu instid0(SALU_CYCLE_1) | instskip(SKIP_2) | instid1(SALU_CYCLE_1)
	s_or_b32 vcc_lo, s35, s27
	s_cmp_lt_f32 s11, 0
	s_cselect_b32 s11, -1, 0
	s_xor_b32 s11, s11, s35
	s_delay_alu instid0(SALU_CYCLE_1)
	s_and_b32 s11, s11, exec_lo
	s_cselect_b32 s11, 0, 0x7f800000
	s_and_b32 s26, s26, exec_lo
	s_cselect_b32 s26, s2, 0
	s_cmp_o_f32 s2, s2
	v_mov_b32_e32 v2, s26
	s_delay_alu instid0(VALU_DEP_1) | instskip(NEXT) | instid1(VALU_DEP_1)
	v_bfi_b32 v2, 0x7fffffff, s11, v2
	v_cndmask_b32_e32 v1, v1, v2, vcc_lo
	s_cselect_b32 vcc_lo, -1, 0
	s_delay_alu instid0(VALU_DEP_1)
	v_cndmask_b32_e32 v15, 0x7fc00000, v1, vcc_lo
.LBB62_4:
	s_bfe_u32 s2, ttmp6, 0x4000c
	s_and_b32 s11, ttmp6, 15
	s_add_co_i32 s2, s2, 1
	v_bfe_u32 v22, v0, 10, 10
	s_mul_i32 s2, ttmp9, s2
	v_and_b32_e32 v10, 0x3ff, v0
	s_add_co_i32 s11, s11, s2
	s_cmp_eq_u32 s38, 0
	s_movk_i32 s27, 0x90
	s_cselect_b32 s26, ttmp9, s11
	v_cmp_gt_u32_e64 s2, 18, v10
	s_lshl_b32 s11, s26, 3
	v_mad_u32_u24 v18, v22, s27, 0x14e0
	v_lshlrev_b32_e32 v12, 3, v10
	v_add_nc_u32_e32 v11, s11, v22
	s_mov_b32 s11, s37
	s_and_saveexec_b32 s27, s2
	s_cbranch_execz .LBB62_6
; %bb.5:
	s_delay_alu instid0(VALU_DEP_1) | instskip(SKIP_1) | instid1(VALU_DEP_1)
	v_mul_hi_u32 v0, s20, v11
	s_load_b96 s[40:42], s[0:1], 0x70
	v_dual_mov_b32 v1, 0 :: v_dual_add_nc_u32 v0, v11, v0
	s_delay_alu instid0(VALU_DEP_1) | instskip(SKIP_2) | instid1(VALU_DEP_1)
	v_lshrrev_b32_e32 v0, s21, v0
	s_wait_kmcnt 0x0
	s_mul_i32 s44, s33, s41
	v_mul_lo_u32 v0, v0, s22
	s_ashr_i32 s41, s40, 31
	s_ashr_i32 s45, s44, 31
	s_lshr_b64 s[40:41], s[40:41], 2
	s_delay_alu instid0(VALU_DEP_1) | instskip(NEXT) | instid1(VALU_DEP_1)
	v_sub_nc_u32_e32 v0, v11, v0
	v_mul_u64_e32 v[2:3], s[40:41], v[0:1]
	s_mul_i32 s40, s28, s42
	v_lshlrev_b32_e32 v0, 4, v10
	s_ashr_i32 s41, s40, 31
	s_delay_alu instid0(SALU_CYCLE_1) | instskip(NEXT) | instid1(SALU_CYCLE_1)
	s_add_nc_u64 s[4:5], s[4:5], s[40:41]
	s_add_nc_u64 s[4:5], s[4:5], s[44:45]
	s_delay_alu instid0(VALU_DEP_2) | instid1(SALU_CYCLE_1)
	v_lshl_add_u64 v[2:3], v[2:3], 2, s[4:5]
	s_delay_alu instid0(VALU_DEP_1) | instskip(SKIP_4) | instid1(VALU_DEP_1)
	v_add_nc_u64_e32 v[0:1], v[2:3], v[0:1]
	global_load_b128 v[0:3], v[0:1], off
	s_wait_loadcnt 0x0
	v_fma_mixlo_f16 v4, s24, v0, 0
	v_mov_b32_e32 v0, v3
	v_pk_mul_f32 v[0:1], s[24:25], v[0:1] op_sel_hi:[0,1]
	s_delay_alu instid0(VALU_DEP_1) | instskip(SKIP_2) | instid1(VALU_DEP_3)
	v_cvt_pk_f16_f32 v0, v0, v1
	v_fma_mixlo_f16 v1, s24, v2, 0
	v_and_b32_e32 v2, 0xffff, v4
	v_and_b32_e32 v3, 0xffff0000, v0
	s_delay_alu instid0(VALU_DEP_3) | instskip(NEXT) | instid1(VALU_DEP_2)
	v_and_b32_e32 v1, 0xffff, v1
	v_dual_lshlrev_b32 v0, 16, v0 :: v_dual_bitop2_b32 v2, v3, v2 bitop3:0x54
	v_add_nc_u32_e32 v3, v18, v12
	s_delay_alu instid0(VALU_DEP_2) | instskip(NEXT) | instid1(VALU_DEP_3)
	v_or3_b32 v1, v0, v1, 0
	v_or3_b32 v0, 0, 0, v2
	ds_store_b64 v3, v[0:1]
.LBB62_6:
	s_or_b32 exec_lo, exec_lo, s27
	s_ashr_i32 s40, s33, 31
	s_ashr_i32 s41, s29, 31
	s_mul_u64 s[4:5], s[36:37], s[10:11]
	s_cmp_eq_u64 s[14:15], 0
	s_wait_dscnt 0x0
	s_barrier_signal -1
	s_barrier_wait -1
	s_cbranch_scc1 .LBB62_8
; %bb.7:
	s_load_b32 s4, s[0:1], 0xd0
	s_wait_kmcnt 0x0
	s_mul_i32 s4, s4, s28
	s_delay_alu instid0(SALU_CYCLE_1)
	s_add_co_i32 s4, s4, s26
	s_load_b32 s34, s[14:15], s4 offset:0x0 scale_offset
.LBB62_8:
	s_clause 0x1
	s_load_b64 s[10:11], s[0:1], 0x8c
	s_load_b128 s[24:27], s[0:1], 0x98
	s_wait_xcnt 0x0
	s_load_b64 s[14:15], s[0:1], 0xa8
	s_mul_i32 s4, s5, s39
	s_ashr_i32 s35, s3, 1
	s_sub_co_i32 s4, s36, s4
	s_ashr_i32 s29, s28, 31
	s_xor_b32 s3, s40, s41
	s_add_co_i32 s37, s5, 1
	s_sub_co_i32 s42, s4, s39
	v_lshl_add_u32 v17, v22, 5, v10
	v_lshrrev_b32_e32 v24, 3, v10
	v_mul_u32_u24_e32 v21, 0xa0, v10
	v_lshl_add_u32 v14, v22, 6, 0x1960
	v_mbcnt_lo_u32_b32 v13, -1, 0
	s_wait_kmcnt 0x0
	s_ashr_i32 s36, s10, 2
	s_ashr_i32 s10, s26, 2
	s_cmp_ge_u32 s4, s39
	s_mul_u64 s[40:41], s[14:15], s[28:29]
	s_cselect_b32 s14, s37, s5
	s_cselect_b32 s4, s42, s4
	s_add_co_i32 s15, s14, 1
	s_mul_u64 s[24:25], s[24:25], s[28:29]
	s_cmp_ge_u32 s4, s39
	s_add_nc_u64 s[4:5], s[6:7], s[24:25]
	s_cselect_b32 s6, s15, s14
	s_bfe_u32 s7, ttmp6, 0x40010
	s_xor_b32 s6, s6, s3
	s_and_b32 s14, ttmp7, 0xffff
	s_add_co_i32 s7, s7, 1
	s_sub_co_i32 s3, s6, s3
	s_bfe_u32 s15, ttmp6, 0x40004
	s_mul_i32 s7, s14, s7
	s_mul_i32 s6, s3, s11
	;; [unrolled: 1-line block ×3, first 2 shown]
	s_add_co_i32 s15, s15, s7
	s_ashr_i32 s7, s6, 31
	s_ashr_i32 s43, s42, 31
	s_cmp_eq_u32 s38, 0
	s_add_nc_u64 s[24:25], s[4:5], s[6:7]
	s_cselect_b32 s26, s14, s15
	s_sub_co_i32 s27, s34, 32
	s_lshl_b32 s14, s26, 5
	s_add_nc_u64 s[4:5], s[8:9], s[40:41]
	s_cmp_ge_i32 s14, s27
	s_add_nc_u64 s[6:7], s[4:5], s[42:43]
	s_cbranch_scc1 .LBB62_19
; %bb.9:
	v_mul_hi_u32 v0, s20, v11
	v_mul_lo_u32 v4, s10, v17
	v_lshl_add_u32 v7, v22, 2, v24
	v_mul_lo_u32 v2, s36, v17
	s_movk_i32 s4, 0x80
	s_movk_i32 s5, 0x90
	s_ashr_i32 s37, s36, 31
	v_mul_lo_u32 v6, s36, v7
	v_mul_lo_u32 v8, s10, v7
	v_cmp_gt_u32_e64 s3, 32, v17
	v_lshl_add_u32 v25, v10, 1, v14
	v_dual_add_nc_u32 v0, v11, v0 :: v_dual_lshlrev_b32 v3, 2, v10
	v_mov_b32_e32 v1, 0
	v_mad_u32_u24 v26, 0xa0, v17, s4
	v_mad_u32_u24 v27, v17, s5, 0x80
	s_delay_alu instid0(VALU_DEP_4)
	v_lshrrev_b32_e32 v0, s21, v0
	v_mbcnt_lo_u32_b32 v31, -1, 0
	s_cmp_lg_u64 s[30:31], 0
	s_add_nc_u64 s[4:5], s[0:1], 0xd0
	s_cselect_b32 s29, -1, 0
	v_mul_lo_u32 v9, v0, s22
	v_dual_ashrrev_i32 v5, 31, v4 :: v_dual_bitop2_b32 v0, 28, v3 bitop3:0x40
	v_ashrrev_i32_e32 v3, 31, v2
	v_dual_mov_b32 v33, 0xfeffffff :: v_dual_mov_b32 v20, v1
	s_ashr_i32 s11, s10, 31
	s_delay_alu instid0(VALU_DEP_3) | instskip(SKIP_1) | instid1(VALU_DEP_2)
	v_dual_lshlrev_b32 v16, 2, v0 :: v_dual_lshlrev_b32 v0, 2, v0
	v_dual_mov_b32 v32, v1 :: v_dual_sub_nc_u32 v19, v11, v9
	v_mad_u32_u24 v28, 0xa0, v7, v16
	v_mad_u32_u24 v29, 0x90, v7, v16
	v_dual_ashrrev_i32 v7, 31, v6 :: v_dual_ashrrev_i32 v9, 31, v8
	s_delay_alu instid0(VALU_DEP_4)
	v_mad_u32 v30, v19, s35, v10
	v_mov_b32_e32 v19, v1
.LBB62_10:                              ; =>This Inner Loop Header: Depth=1
	s_ashr_i32 s15, s14, 31
	s_delay_alu instid0(SALU_CYCLE_1) | instskip(NEXT) | instid1(SALU_CYCLE_1)
	s_mul_u64 s[8:9], s[14:15], s[36:37]
	s_lshl_b64 s[8:9], s[8:9], 2
	s_delay_alu instid0(SALU_CYCLE_1)
	s_add_nc_u64 s[8:9], s[24:25], s[8:9]
	s_and_saveexec_b32 s38, s3
	s_cbranch_execz .LBB62_12
; %bb.11:                               ;   in Loop: Header=BB62_10 Depth=1
	v_lshl_add_u64 v[34:35], v[2:3], 2, s[8:9]
	global_load_b128 v[34:37], v[34:35], off offset:128
	s_wait_loadcnt 0x0
	ds_store_b128 v26, v[34:37]
.LBB62_12:                              ;   in Loop: Header=BB62_10 Depth=1
	s_or_b32 exec_lo, exec_lo, s38
	v_lshl_add_u64 v[34:35], v[6:7], 2, s[8:9]
	v_mov_b32_e32 v23, 0
	s_and_not1_b32 vcc_lo, exec_lo, s29
	s_delay_alu instid0(VALU_DEP_2)
	v_add_nc_u64_e32 v[34:35], v[34:35], v[0:1]
	global_load_b128 v[34:37], v[34:35], off
	s_wait_loadcnt 0x0
	ds_store_b128 v28, v[34:37]
	s_wait_dscnt 0x0
	s_barrier_signal -1
	s_barrier_wait -1
	ds_load_b128 v[34:37], v21
	ds_load_b128 v[38:41], v18
	s_wait_dscnt 0x0
	;;#ASMSTART
	v_dot2_f32_f16 v23, v34, v38, v23
	;;#ASMEND
	;;#ASMSTART
	v_dot2_f32_f16 v23, v35, v39, v23
	;;#ASMEND
	;;#ASMSTART
	v_dot2_f32_f16 v23, v36, v40, v23
	;;#ASMEND
	;;#ASMSTART
	v_dot2_f32_f16 v23, v37, v41, v23
	;;#ASMEND
	ds_load_b128 v[34:37], v21 offset:16
	ds_load_b128 v[38:41], v18 offset:16
	s_wait_dscnt 0x0
	;;#ASMSTART
	v_dot2_f32_f16 v23, v34, v38, v23
	;;#ASMEND
	;;#ASMSTART
	v_dot2_f32_f16 v23, v35, v39, v23
	;;#ASMEND
	;;#ASMSTART
	v_dot2_f32_f16 v23, v36, v40, v23
	;;#ASMEND
	;;#ASMSTART
	v_dot2_f32_f16 v23, v37, v41, v23
	;;#ASMEND
	ds_load_b128 v[34:37], v21 offset:32
	ds_load_b128 v[38:41], v18 offset:32
	;; [unrolled: 15-line block ×8, first 2 shown]
	s_wait_dscnt 0x0
	;;#ASMSTART
	v_dot2_f32_f16 v23, v34, v38, v23
	;;#ASMEND
	;;#ASMSTART
	v_dot2_f32_f16 v23, v35, v39, v23
	;;#ASMEND
	;; [unrolled: 3-line block ×4, first 2 shown]
	s_cbranch_vccnz .LBB62_14
; %bb.13:                               ;   in Loop: Header=BB62_10 Depth=1
	v_add_nc_u32_e32 v16, s14, v30
	global_load_u16 v16, v16, s[30:31] scale_offset
	s_wait_loadcnt 0x0
	v_cvt_f32_f16_e32 v16, v16
	s_delay_alu instid0(VALU_DEP_1)
	v_mul_f32_e32 v16, v15, v16
	s_branch .LBB62_15
.LBB62_14:                              ;   in Loop: Header=BB62_10 Depth=1
	v_mov_b32_e32 v16, 0
.LBB62_15:                              ;   in Loop: Header=BB62_10 Depth=1
	s_delay_alu instid0(VALU_DEP_1) | instskip(SKIP_1) | instid1(SALU_CYCLE_1)
	v_dual_add_f32 v16, v23, v16 :: v_dual_bitop2_b32 v34, 16, v31 bitop3:0x14
	s_mul_u64 s[8:9], s[14:15], s[10:11]
	s_lshl_b64 s[8:9], s[8:9], 2
	s_delay_alu instid0(VALU_DEP_1)
	v_cmp_gt_i32_e32 vcc_lo, 32, v34
	v_max_num_f32_e32 v23, v33, v33
	s_add_nc_u64 s[8:9], s[6:7], s[8:9]
	s_barrier_signal -1
	s_barrier_wait -1
	v_dual_cndmask_b32 v34, v31, v34 :: v_dual_add_f32 v35, 0x40051340, v16
	s_delay_alu instid0(VALU_DEP_1) | instskip(SKIP_3) | instid1(VALU_DEP_1)
	v_dual_max_num_f32 v23, v23, v35 :: v_dual_lshlrev_b32 v34, 2, v34
	ds_bpermute_b32 v34, v34, v23
	s_wait_dscnt 0x0
	v_dual_max_num_f32 v34, v34, v34 :: v_dual_bitop2_b32 v35, 8, v31 bitop3:0x14
	v_max_num_f32_e32 v23, v23, v34
	s_delay_alu instid0(VALU_DEP_2) | instskip(SKIP_1) | instid1(VALU_DEP_1)
	v_cmp_gt_i32_e32 vcc_lo, 32, v35
	v_cndmask_b32_e32 v35, v31, v35, vcc_lo
	v_lshlrev_b32_e32 v35, 2, v35
	ds_bpermute_b32 v34, v35, v23
	v_xor_b32_e32 v35, 4, v31
	s_delay_alu instid0(VALU_DEP_1) | instskip(SKIP_2) | instid1(VALU_DEP_1)
	v_cmp_gt_i32_e32 vcc_lo, 32, v35
	s_wait_dscnt 0x0
	v_dual_cndmask_b32 v35, v31, v35 :: v_dual_max_num_f32 v34, v34, v34
	v_dual_max_num_f32 v23, v23, v34 :: v_dual_lshlrev_b32 v35, 2, v35
	ds_bpermute_b32 v34, v35, v23
	s_wait_dscnt 0x0
	v_max_num_f32_e32 v34, v34, v34
	s_delay_alu instid0(VALU_DEP_1) | instskip(NEXT) | instid1(VALU_DEP_1)
	v_dual_max_num_f32 v23, v23, v34 :: v_dual_bitop2_b32 v35, 2, v31 bitop3:0x14
	v_cmp_gt_i32_e32 vcc_lo, 32, v35
	v_cndmask_b32_e32 v35, v31, v35, vcc_lo
	s_delay_alu instid0(VALU_DEP_1) | instskip(SKIP_2) | instid1(VALU_DEP_1)
	v_lshlrev_b32_e32 v35, 2, v35
	ds_bpermute_b32 v34, v35, v23
	v_xor_b32_e32 v35, 1, v31
	v_cmp_gt_i32_e32 vcc_lo, 32, v35
	v_cndmask_b32_e32 v35, v31, v35, vcc_lo
	s_wait_dscnt 0x0
	s_delay_alu instid0(VALU_DEP_1) | instskip(NEXT) | instid1(VALU_DEP_1)
	v_dual_max_num_f32 v34, v34, v34 :: v_dual_lshlrev_b32 v35, 2, v35
	v_max_num_f32_e32 v23, v23, v34
	ds_bpermute_b32 v34, v35, v23
	s_wait_dscnt 0x0
	v_max_num_f32_e32 v34, v34, v34
	s_delay_alu instid0(VALU_DEP_1) | instskip(NEXT) | instid1(VALU_DEP_1)
	v_max_num_f32_e32 v23, v23, v34
	v_sub_f32_e32 v16, v16, v23
	s_delay_alu instid0(VALU_DEP_1) | instskip(SKIP_1) | instid1(VALU_DEP_2)
	v_mul_f32_e32 v34, 0x3fb8aa3b, v16
	v_cmp_ngt_f32_e32 vcc_lo, 0xc2ce8ed0, v16
	v_fma_f32 v35, 0x3fb8aa3b, v16, -v34
	v_rndne_f32_e32 v36, v34
	s_delay_alu instid0(VALU_DEP_2) | instskip(NEXT) | instid1(VALU_DEP_2)
	v_fmac_f32_e32 v35, 0x32a5705f, v16
	v_sub_f32_e32 v34, v34, v36
	s_delay_alu instid0(VALU_DEP_1) | instskip(SKIP_1) | instid1(VALU_DEP_2)
	v_add_f32_e32 v34, v34, v35
	v_cvt_i32_f32_e32 v35, v36
	v_exp_f32_e32 v34, v34
	v_nop
	s_delay_alu instid0(TRANS32_DEP_1) | instskip(NEXT) | instid1(VALU_DEP_1)
	v_ldexp_f32 v34, v34, v35
	v_cndmask_b32_e32 v34, 0, v34, vcc_lo
	v_cmp_nlt_f32_e32 vcc_lo, 0x42b17218, v16
	s_delay_alu instid0(VALU_DEP_2) | instskip(NEXT) | instid1(VALU_DEP_1)
	v_cndmask_b32_e32 v16, 0x7f800000, v34, vcc_lo
	v_cvt_f16_f32_e32 v34, v16
	ds_store_b16 v25, v34
	s_and_saveexec_b32 s15, s3
	s_cbranch_execz .LBB62_17
; %bb.16:                               ;   in Loop: Header=BB62_10 Depth=1
	v_lshl_add_u64 v[34:35], v[4:5], 2, s[8:9]
	global_load_b128 v[34:37], v[34:35], off offset:128
	s_wait_loadcnt 0x0
	ds_store_b128 v27, v[34:37]
.LBB62_17:                              ;   in Loop: Header=BB62_10 Depth=1
	s_or_b32 exec_lo, exec_lo, s15
	v_lshl_add_u64 v[34:35], v[8:9], 2, s[8:9]
	v_dual_sub_f32 v33, v33, v23 :: v_dual_add_nc_u32 v58, 0x800, v12
	s_delay_alu instid0(VALU_DEP_2)
	v_add_nc_u64_e32 v[34:35], v[34:35], v[0:1]
	global_load_b128 v[34:37], v[34:35], off
	s_wait_loadcnt 0x0
	ds_store_b128 v29, v[34:37]
	s_wait_dscnt 0x0
	s_barrier_signal -1
	s_barrier_wait -1
	ds_load_b128 v[34:37], v14
	v_mul_f32_e32 v38, 0x3fb8aa3b, v33
	s_delay_alu instid0(VALU_DEP_1) | instskip(SKIP_1) | instid1(VALU_DEP_1)
	v_fma_f32 v39, 0x3fb8aa3b, v33, -v38
	v_rndne_f32_e32 v40, v38
	v_sub_f32_e32 v38, v38, v40
	v_cmp_ngt_f32_e32 vcc_lo, 0xc2ce8ed0, v33
	s_delay_alu instid0(VALU_DEP_4) | instskip(NEXT) | instid1(VALU_DEP_1)
	v_fmac_f32_e32 v39, 0x32a5705f, v33
	v_add_f32_e32 v38, v38, v39
	v_cvt_i32_f32_e32 v39, v40
	s_delay_alu instid0(VALU_DEP_2) | instskip(SKIP_1) | instid1(TRANS32_DEP_1)
	v_exp_f32_e32 v38, v38
	v_nop
	v_ldexp_f32 v38, v38, v39
	s_delay_alu instid0(VALU_DEP_1)
	v_cndmask_b32_e32 v42, 0, v38, vcc_lo
	ds_load_2addr_b64 v[38:41], v12 offset1:18
	v_cmp_nlt_f32_e32 vcc_lo, 0x42b17218, v33
	v_cndmask_b32_e32 v33, 0x7f800000, v42, vcc_lo
	ds_load_b128 v[42:45], v14 offset:16
	s_wait_dscnt 0x2
	v_and_b32_e32 v50, 0xffff, v34
	v_lshrrev_b32_e32 v34, 16, v34
	v_and_b32_e32 v55, 0xffff, v35
	v_cvt_f16_f32_e32 v46, v33
	v_lshrrev_b32_e32 v35, 16, v35
	v_mul_u32_u24_e32 v50, 0x10001, v50
	v_mul_u32_u24_e32 v34, 0x10001, v34
	v_dual_fmac_f32 v16, v32, v33 :: v_dual_add_nc_u32 v59, 0xc00, v12
	v_and_b32_e32 v51, 0xffff, v46
	ds_load_2addr_b64 v[46:49], v12 offset0:36 offset1:54
	v_mul_u32_u24_e32 v35, 0x10001, v35
	s_wait_dscnt 0x2
	v_pk_mul_f16 v38, v38, v50
	v_pk_mul_f16 v39, v39, v50
	v_mul_u32_u24_e32 v54, 0x10001, v51
	ds_load_2addr_b64 v[50:53], v12 offset0:72 offset1:90
	v_pk_fma_f16 v20, v20, v54, v38
	v_pk_fma_f16 v19, v19, v54, v39
	v_mul_u32_u24_e32 v54, 0x10001, v55
	s_wait_dscnt 0x2
	v_and_b32_e32 v55, 0xffff, v43
	v_lshrrev_b32_e32 v43, 16, v43
	v_pk_fma_f16 v20, v40, v34, v20
	v_pk_fma_f16 v19, v41, v34, v19
	ds_load_2addr_b64 v[38:41], v12 offset0:108 offset1:126
	v_and_b32_e32 v34, 0xffff, v36
	v_lshrrev_b32_e32 v36, 16, v36
	v_mul_u32_u24_e32 v55, 0x10001, v55
	s_wait_dscnt 0x2
	v_pk_fma_f16 v20, v46, v54, v20
	v_pk_fma_f16 v19, v47, v54, v19
	v_mul_u32_u24_e32 v34, 0x10001, v34
	v_mul_u32_u24_e32 v36, 0x10001, v36
	v_add_nc_u32_e32 v54, 0x400, v12
	v_pk_fma_f16 v20, v48, v35, v20
	v_pk_fma_f16 v19, v49, v35, v19
	ds_load_2addr_b64 v[46:49], v12 offset0:144 offset1:162
	v_and_b32_e32 v35, 0xffff, v37
	s_wait_dscnt 0x2
	v_pk_fma_f16 v20, v50, v34, v20
	v_pk_fma_f16 v19, v51, v34, v19
	v_lshrrev_b32_e32 v50, 16, v37
	v_mul_u32_u24_e32 v51, 0x10001, v35
	s_delay_alu instid0(VALU_DEP_4) | instskip(NEXT) | instid1(VALU_DEP_4)
	v_pk_fma_f16 v20, v52, v36, v20
	v_pk_fma_f16 v19, v53, v36, v19
	ds_load_2addr_b64 v[34:37], v12 offset0:180 offset1:198
	v_and_b32_e32 v52, 0xffff, v42
	v_lshrrev_b32_e32 v42, 16, v42
	v_mul_u32_u24_e32 v50, 0x10001, v50
	s_wait_dscnt 0x2
	v_pk_fma_f16 v20, v38, v51, v20
	v_pk_fma_f16 v19, v39, v51, v19
	v_mul_u32_u24_e32 v51, 0x10001, v52
	v_mul_u32_u24_e32 v42, 0x10001, v42
	s_delay_alu instid0(VALU_DEP_4) | instskip(NEXT) | instid1(VALU_DEP_4)
	v_pk_fma_f16 v20, v40, v50, v20
	v_pk_fma_f16 v19, v41, v50, v19
	ds_load_2addr_b64 v[38:41], v12 offset0:216 offset1:234
	s_wait_dscnt 0x2
	v_pk_fma_f16 v20, v46, v51, v20
	v_pk_fma_f16 v19, v47, v51, v19
	ds_load_b128 v[50:53], v14 offset:32
	v_pk_fma_f16 v20, v48, v42, v20
	v_pk_fma_f16 v19, v49, v42, v19
	ds_load_2addr_b64 v[46:49], v54 offset0:124 offset1:142
	v_and_b32_e32 v42, 0xffff, v44
	v_lshrrev_b32_e32 v44, 16, v44
	v_mul_u32_u24_e32 v43, 0x10001, v43
	s_wait_dscnt 0x3
	v_pk_fma_f16 v20, v34, v55, v20
	v_pk_fma_f16 v19, v35, v55, v19
	v_mul_u32_u24_e32 v42, 0x10001, v42
	v_mul_u32_u24_e32 v44, 0x10001, v44
	ds_load_b128 v[54:57], v14 offset:48
	v_pk_fma_f16 v20, v36, v43, v20
	v_pk_fma_f16 v19, v37, v43, v19
	ds_load_2addr_b64 v[34:37], v58 offset0:32 offset1:50
	v_and_b32_e32 v43, 0xffff, v45
	s_wait_dscnt 0x4
	v_pk_fma_f16 v20, v38, v42, v20
	v_pk_fma_f16 v19, v39, v42, v19
	v_lshrrev_b32_e32 v42, 16, v45
	v_mul_u32_u24_e32 v43, 0x10001, v43
	s_wait_dscnt 0x3
	v_and_b32_e32 v62, 0xffff, v53
	v_pk_fma_f16 v20, v40, v44, v20
	v_pk_fma_f16 v19, v41, v44, v19
	ds_load_2addr_b64 v[38:41], v58 offset0:68 offset1:86
	v_and_b32_e32 v44, 0xffff, v50
	s_wait_dscnt 0x3
	v_pk_fma_f16 v20, v46, v43, v20
	v_pk_fma_f16 v19, v47, v43, v19
	v_lshrrev_b32_e32 v46, 16, v50
	v_mul_u32_u24_e32 v42, 0x10001, v42
	v_mul_u32_u24_e32 v47, 0x10001, v44
	v_add_nc_u32_e32 v50, 0x1000, v12
	s_delay_alu instid0(VALU_DEP_4) | instskip(NEXT) | instid1(VALU_DEP_4)
	v_mul_u32_u24_e32 v46, 0x10001, v46
	v_pk_fma_f16 v20, v48, v42, v20
	v_pk_fma_f16 v19, v49, v42, v19
	ds_load_2addr_b64 v[42:45], v58 offset0:104 offset1:122
	v_and_b32_e32 v48, 0xffff, v51
	s_wait_dscnt 0x2
	v_pk_fma_f16 v20, v34, v47, v20
	v_pk_fma_f16 v19, v35, v47, v19
	v_lshrrev_b32_e32 v47, 16, v51
	v_mul_u32_u24_e32 v48, 0x10001, v48
	v_and_b32_e32 v51, 0xffff, v52
	v_pk_fma_f16 v20, v36, v46, v20
	v_pk_fma_f16 v19, v37, v46, v19
	ds_load_2addr_b64 v[34:37], v58 offset0:140 offset1:158
	v_lshrrev_b32_e32 v52, 16, v52
	v_mul_u32_u24_e32 v60, 0x10001, v47
	s_wait_dscnt 0x2
	v_pk_fma_f16 v20, v38, v48, v20
	v_pk_fma_f16 v19, v39, v48, v19
	v_mul_u32_u24_e32 v51, 0x10001, v51
	ds_load_2addr_b64 v[46:49], v58 offset0:176 offset1:194
	v_mul_u32_u24_e32 v52, 0x10001, v52
	v_pk_fma_f16 v20, v40, v60, v20
	v_pk_fma_f16 v19, v41, v60, v19
	ds_load_2addr_b64 v[38:41], v58 offset0:212 offset1:230
	ds_load_2addr_b64 v[58:61], v59 offset0:120 offset1:138
	s_wait_dscnt 0x4
	v_pk_fma_f16 v20, v42, v51, v20
	v_pk_fma_f16 v19, v43, v51, v19
	v_lshrrev_b32_e32 v51, 16, v53
	v_mul_u32_u24_e32 v53, 0x10001, v62
	s_delay_alu instid0(VALU_DEP_4) | instskip(NEXT) | instid1(VALU_DEP_4)
	v_pk_fma_f16 v20, v44, v52, v20
	v_pk_fma_f16 v19, v45, v52, v19
	ds_load_2addr_b64 v[42:45], v50 offset0:28 offset1:46
	v_and_b32_e32 v50, 0xffff, v54
	s_wait_dscnt 0x0
	v_pk_fma_f16 v20, v34, v53, v20
	v_pk_fma_f16 v19, v35, v53, v19
	v_lshrrev_b32_e32 v34, 16, v54
	v_mul_u32_u24_e32 v51, 0x10001, v51
	v_mul_u32_u24_e32 v35, 0x10001, v50
	s_barrier_signal -1
	s_barrier_wait -1
	v_mul_u32_u24_e32 v34, 0x10001, v34
	v_pk_fma_f16 v20, v36, v51, v20
	v_pk_fma_f16 v19, v37, v51, v19
	v_and_b32_e32 v36, 0xffff, v55
	s_load_b32 s8, s[4:5], 0x4
	s_delay_alu instid0(VALU_DEP_3) | instskip(NEXT) | instid1(VALU_DEP_3)
	v_pk_fma_f16 v20, v46, v35, v20
	v_pk_fma_f16 v19, v47, v35, v19
	v_lshrrev_b32_e32 v35, 16, v55
	v_mul_u32_u24_e32 v36, 0x10001, v36
	s_delay_alu instid0(VALU_DEP_4) | instskip(NEXT) | instid1(VALU_DEP_4)
	v_pk_fma_f16 v20, v48, v34, v20
	v_pk_fma_f16 v19, v49, v34, v19
	v_and_b32_e32 v34, 0xffff, v56
	s_delay_alu instid0(VALU_DEP_3) | instskip(NEXT) | instid1(VALU_DEP_3)
	v_pk_fma_f16 v20, v38, v36, v20
	v_pk_fma_f16 v19, v39, v36, v19
	v_lshrrev_b32_e32 v36, 16, v56
	v_mul_u32_u24_e32 v35, 0x10001, v35
	v_mul_u32_u24_e32 v34, 0x10001, v34
	s_delay_alu instid0(VALU_DEP_3) | instskip(NEXT) | instid1(VALU_DEP_3)
	v_mul_u32_u24_e32 v36, 0x10001, v36
	v_pk_fma_f16 v20, v40, v35, v20
	v_pk_fma_f16 v19, v41, v35, v19
	v_and_b32_e32 v35, 0xffff, v57
	s_wait_kmcnt 0x0
	s_lshl_b32 s8, s8, 5
	v_pk_fma_f16 v20, v58, v34, v20
	v_pk_fma_f16 v19, v59, v34, v19
	v_lshrrev_b32_e32 v34, 16, v57
	v_mul_u32_u24_e32 v35, 0x10001, v35
	s_add_co_i32 s14, s8, s14
	v_pk_fma_f16 v20, v60, v36, v20
	v_pk_fma_f16 v19, v61, v36, v19
	v_mul_u32_u24_e32 v34, 0x10001, v34
	s_cmp_lt_i32 s14, s27
	s_delay_alu instid0(VALU_DEP_3) | instskip(NEXT) | instid1(VALU_DEP_3)
	v_pk_fma_f16 v20, v42, v35, v20
	v_pk_fma_f16 v19, v43, v35, v19
	s_delay_alu instid0(VALU_DEP_2) | instskip(NEXT) | instid1(VALU_DEP_2)
	v_pk_fma_f16 v20, v44, v34, v20
	v_pk_fma_f16 v19, v45, v34, v19
	s_cbranch_scc0 .LBB62_20
; %bb.18:                               ;   in Loop: Header=BB62_10 Depth=1
	v_dual_mov_b32 v33, v23 :: v_dual_mov_b32 v32, v16
	s_branch .LBB62_10
.LBB62_19:
	v_dual_mov_b32 v19, 0 :: v_dual_mov_b32 v16, 0
	v_dual_mov_b32 v23, 0xfeffffff :: v_dual_mov_b32 v20, 0
.LBB62_20:
	s_cmp_gt_i32 s34, s14
	s_cbranch_scc1 .LBB62_23
; %bb.21:
	v_mbcnt_lo_u32_b32 v0, -1, 0
	v_mov_b32_e32 v9, 32
	s_delay_alu instid0(VALU_DEP_2)
	v_xor_b32_e32 v3, 16, v0
	v_xor_b32_e32 v5, 8, v0
	v_xor_b32_e32 v6, 4, v0
	v_xor_b32_e32 v7, 2, v0
	v_xor_b32_e32 v8, 1, v0
	s_cbranch_execz .LBB62_24
; %bb.22:
	v_dual_mov_b32 v4, v23 :: v_dual_mov_b32 v13, v0
	s_branch .LBB62_33
.LBB62_23:
                                        ; implicit-def: $vgpr0
                                        ; implicit-def: $vgpr9
                                        ; implicit-def: $vgpr3
                                        ; implicit-def: $vgpr5
                                        ; implicit-def: $vgpr6
                                        ; implicit-def: $vgpr7
                                        ; implicit-def: $vgpr8
.LBB62_24:
	s_ashr_i32 s15, s14, 31
	s_ashr_i32 s37, s36, 31
	v_cmp_gt_u32_e64 s4, 32, v17
	s_mul_u64 s[8:9], s[14:15], s[36:37]
	s_sub_co_i32 s11, s34, s14
	s_lshl_b64 s[8:9], s[8:9], 2
	v_cmp_gt_i32_e32 vcc_lo, s11, v17
	s_add_nc_u64 s[8:9], s[24:25], s[8:9]
	s_and_saveexec_b32 s3, s4
	s_cbranch_execz .LBB62_26
; %bb.25:
	v_mul_lo_u32 v0, s36, v17
	v_mbcnt_lo_u32_b32 v3, -1, 0
	s_delay_alu instid0(VALU_DEP_1) | instskip(NEXT) | instid1(VALU_DEP_3)
	v_dual_mov_b32 v2, 0 :: v_dual_lshlrev_b32 v3, 20, v3
	v_ashrrev_i32_e32 v1, 31, v0
	s_delay_alu instid0(VALU_DEP_1) | instskip(NEXT) | instid1(VALU_DEP_1)
	v_lshl_add_u64 v[0:1], v[0:1], 2, s[8:9]
	v_add_nc_u64_e32 v[6:7], 0x80, v[0:1]
	v_mov_b32_e32 v0, 0
	v_add_nc_u64_e32 v[4:5], src_flat_scratch_base_lo, v[2:3]
	s_delay_alu instid0(VALU_DEP_2)
	v_dual_mov_b32 v1, v0 :: v_dual_mov_b32 v2, v0
	s_clause 0x1
	scratch_store_b32 off, v0, off
	scratch_store_b96 off, v[0:2], off offset:4
	v_dual_cndmask_b32 v5, v5, v7 :: v_dual_cndmask_b32 v4, v4, v6
	flat_load_b128 v[0:3], v[4:5]
	s_wait_xcnt 0x0
	v_mul_u32_u24_e32 v4, 0xa0, v17
	s_wait_loadcnt_dscnt 0x0
	ds_store_b128 v4, v[0:3] offset:128
.LBB62_26:
	s_or_b32 exec_lo, exec_lo, s3
	v_lshl_add_u32 v22, v22, 2, v24
	v_dual_lshlrev_b32 v0, 2, v10 :: v_dual_mov_b32 v2, 0
	v_dual_mov_b32 v6, 0 :: v_dual_lshlrev_b32 v7, 20, v13
	s_delay_alu instid0(VALU_DEP_3) | instskip(NEXT) | instid1(VALU_DEP_3)
	v_mul_lo_u32 v4, s36, v22
	v_dual_mov_b32 v1, v2 :: v_dual_bitop2_b32 v0, 28, v0 bitop3:0x40
	v_cmp_gt_i32_e64 s3, s11, v22
	v_mov_b32_e32 v3, v2
	v_add_nc_u64_e32 v[6:7], src_flat_scratch_base_lo, v[6:7]
	s_delay_alu instid0(VALU_DEP_4) | instskip(SKIP_1) | instid1(VALU_DEP_1)
	v_lshlrev_b32_e32 v0, 2, v0
	v_ashrrev_i32_e32 v5, 31, v4
	v_lshl_add_u64 v[4:5], v[4:5], 2, s[8:9]
	s_mov_b32 s8, exec_lo
	s_delay_alu instid0(VALU_DEP_1)
	v_add_nc_u64_e32 v[8:9], v[4:5], v[0:1]
	v_mov_b32_e32 v4, v2
	v_mad_u32_u24 v1, 0xa0, v22, v0
	s_clause 0x1
	scratch_store_b32 off, v2, off
	scratch_store_b96 off, v[2:4], off offset:4
	v_dual_cndmask_b32 v7, v7, v9, s3 :: v_dual_cndmask_b32 v6, v6, v8, s3
	v_mov_b32_e32 v9, v2
	flat_load_b128 v[4:7], v[6:7]
	s_wait_loadcnt_dscnt 0x0
	ds_store_b128 v1, v[4:7]
	s_wait_storecnt_dscnt 0x0
	s_barrier_signal -1
	s_barrier_wait -1
	s_wait_xcnt 0x0
	ds_load_b128 v[4:7], v21
	ds_load_b128 v[24:27], v18
	v_mov_b32_e32 v1, v23
	s_wait_dscnt 0x0
	;;#ASMSTART
	v_dot2_f32_f16 v9, v4, v24, v9
	;;#ASMEND
	;;#ASMSTART
	v_dot2_f32_f16 v9, v5, v25, v9
	;;#ASMEND
	;;#ASMSTART
	v_dot2_f32_f16 v9, v6, v26, v9
	;;#ASMEND
	;;#ASMSTART
	v_dot2_f32_f16 v9, v7, v27, v9
	;;#ASMEND
	ds_load_b128 v[4:7], v21 offset:16
	ds_load_b128 v[24:27], v18 offset:16
	s_wait_dscnt 0x0
	;;#ASMSTART
	v_dot2_f32_f16 v9, v4, v24, v9
	;;#ASMEND
	;;#ASMSTART
	v_dot2_f32_f16 v9, v5, v25, v9
	;;#ASMEND
	;;#ASMSTART
	v_dot2_f32_f16 v9, v6, v26, v9
	;;#ASMEND
	;;#ASMSTART
	v_dot2_f32_f16 v9, v7, v27, v9
	;;#ASMEND
	ds_load_b128 v[4:7], v21 offset:32
	ds_load_b128 v[24:27], v18 offset:32
	;; [unrolled: 15-line block ×8, first 2 shown]
	s_wait_dscnt 0x0
	;;#ASMSTART
	v_dot2_f32_f16 v9, v4, v24, v9
	;;#ASMEND
	;;#ASMSTART
	v_dot2_f32_f16 v9, v5, v25, v9
	;;#ASMEND
	;; [unrolled: 3-line block ×4, first 2 shown]
	v_cmpx_gt_i32_e64 s11, v10
	s_cbranch_execz .LBB62_30
; %bb.27:
	s_cmp_eq_u64 s[30:31], 0
	s_cbranch_scc1 .LBB62_29
; %bb.28:
	v_mul_hi_u32 v1, s20, v11
	s_delay_alu instid0(VALU_DEP_1) | instskip(NEXT) | instid1(VALU_DEP_1)
	v_add_nc_u32_e32 v1, v11, v1
	v_lshrrev_b32_e32 v1, s21, v1
	s_delay_alu instid0(VALU_DEP_1) | instskip(NEXT) | instid1(VALU_DEP_1)
	v_mul_lo_u32 v1, v1, s22
	v_sub_nc_u32_e32 v1, v11, v1
	s_delay_alu instid0(VALU_DEP_1) | instskip(NEXT) | instid1(VALU_DEP_1)
	v_mul_lo_u32 v1, v1, s35
	v_add3_u32 v1, v1, v10, s14
	global_load_u16 v1, v1, s[30:31] scale_offset
	s_wait_loadcnt 0x0
	v_cvt_f32_f16_e32 v1, v1
	s_delay_alu instid0(VALU_DEP_1)
	v_mul_f32_e32 v2, v15, v1
.LBB62_29:
	s_delay_alu instid0(VALU_DEP_1) | instskip(NEXT) | instid1(VALU_DEP_1)
	v_dual_add_f32 v9, v9, v2 :: v_dual_max_num_f32 v2, v23, v23
	v_add_f32_e32 v1, 0x40051340, v9
	s_delay_alu instid0(VALU_DEP_1)
	v_max_num_f32_e32 v1, v2, v1
.LBB62_30:
	s_or_b32 exec_lo, exec_lo, s8
	v_xor_b32_e32 v3, 16, v13
	v_xor_b32_e32 v6, 4, v13
	s_barrier_signal -1
	s_barrier_wait -1
	s_delay_alu instid0(VALU_DEP_2) | instskip(SKIP_2) | instid1(VALU_DEP_3)
	v_cmp_gt_i32_e64 s5, 32, v3
	v_xor_b32_e32 v5, 8, v13
	v_xor_b32_e32 v7, 2, v13
	v_dual_cndmask_b32 v2, v13, v3, s5 :: v_dual_bitop2_b32 v8, 1, v13 bitop3:0x14
	s_delay_alu instid0(VALU_DEP_3) | instskip(NEXT) | instid1(VALU_DEP_1)
	v_cmp_gt_i32_e64 s5, 32, v5
	v_dual_lshlrev_b32 v2, 2, v2 :: v_dual_cndmask_b32 v4, v13, v5, s5
	v_cmp_gt_i32_e64 s5, 32, v6
	ds_bpermute_b32 v2, v2, v1
	s_wait_dscnt 0x0
	v_dual_max_num_f32 v1, v1, v1 :: v_dual_max_num_f32 v2, v2, v2
	s_delay_alu instid0(VALU_DEP_1) | instskip(SKIP_4) | instid1(VALU_DEP_2)
	v_dual_max_num_f32 v1, v1, v2 :: v_dual_lshlrev_b32 v4, 2, v4
	ds_bpermute_b32 v2, v4, v1
	v_cndmask_b32_e64 v4, v13, v6, s5
	v_cmp_gt_i32_e64 s5, 32, v7
	s_wait_dscnt 0x0
	v_dual_lshlrev_b32 v4, 2, v4 :: v_dual_max_num_f32 v2, v2, v2
	s_delay_alu instid0(VALU_DEP_1) | instskip(SKIP_4) | instid1(VALU_DEP_2)
	v_max_num_f32_e32 v1, v1, v2
	ds_bpermute_b32 v2, v4, v1
	v_cndmask_b32_e64 v4, v13, v7, s5
	v_cmp_gt_i32_e64 s5, 32, v8
	s_wait_dscnt 0x0
	v_dual_max_num_f32 v2, v2, v2 :: v_dual_lshlrev_b32 v4, 2, v4
	s_delay_alu instid0(VALU_DEP_1) | instskip(SKIP_3) | instid1(VALU_DEP_1)
	v_max_num_f32_e32 v1, v1, v2
	ds_bpermute_b32 v2, v4, v1
	s_wait_dscnt 0x0
	v_dual_cndmask_b32 v4, v13, v8, s5 :: v_dual_max_num_f32 v2, v2, v2
	v_dual_max_num_f32 v1, v1, v2 :: v_dual_lshlrev_b32 v4, 2, v4
	ds_bpermute_b32 v2, v4, v1
	s_wait_dscnt 0x0
	v_max_num_f32_e32 v2, v2, v2
	s_delay_alu instid0(VALU_DEP_1) | instskip(NEXT) | instid1(VALU_DEP_1)
	v_max_num_f32_e32 v4, v1, v2
	v_sub_f32_e32 v1, v9, v4
	s_delay_alu instid0(VALU_DEP_1) | instskip(SKIP_1) | instid1(VALU_DEP_2)
	v_mul_f32_e32 v2, 0x3fb8aa3b, v1
	v_cmp_ngt_f32_e64 s5, 0xc2ce8ed0, v1
	v_fma_f32 v9, 0x3fb8aa3b, v1, -v2
	v_rndne_f32_e32 v15, v2
	s_delay_alu instid0(VALU_DEP_1) | instskip(NEXT) | instid1(VALU_DEP_1)
	v_dual_fmac_f32 v9, 0x32a5705f, v1 :: v_dual_sub_f32 v2, v2, v15
	v_add_f32_e32 v2, v2, v9
	v_cvt_i32_f32_e32 v9, v15
	s_delay_alu instid0(VALU_DEP_2) | instskip(SKIP_1) | instid1(TRANS32_DEP_1)
	v_exp_f32_e32 v2, v2
	v_nop
	v_ldexp_f32 v2, v2, v9
	s_delay_alu instid0(VALU_DEP_1) | instskip(SKIP_1) | instid1(VALU_DEP_1)
	v_dual_mov_b32 v9, 32 :: v_dual_cndmask_b32 v2, 0, v2, s5
	v_cmp_nlt_f32_e64 s5, 0x42b17218, v1
	v_cndmask_b32_e64 v1, 0x7f800000, v2, s5
	v_cmp_gt_u32_e64 s5, s11, v10
	s_ashr_i32 s11, s10, 31
	s_delay_alu instid0(SALU_CYCLE_1) | instskip(SKIP_3) | instid1(SALU_CYCLE_1)
	s_mul_u64 s[8:9], s[14:15], s[10:11]
	v_cndmask_b32_e64 v15, 0, v1, s5
	v_lshl_add_u32 v1, v10, 1, v14
	s_lshl_b64 s[8:9], s[8:9], 2
	s_add_nc_u64 s[6:7], s[6:7], s[8:9]
	s_delay_alu instid0(VALU_DEP_2)
	v_cvt_f16_f32_e32 v2, v15
	ds_store_b16 v1, v2
	s_and_saveexec_b32 s5, s4
	s_cbranch_execz .LBB62_32
; %bb.31:
	v_mul_lo_u32 v24, s10, v17
	v_mbcnt_lo_u32_b32 v1, -1, 0
	s_delay_alu instid0(VALU_DEP_1) | instskip(SKIP_1) | instid1(VALU_DEP_4)
	v_dual_mov_b32 v26, 0 :: v_dual_lshlrev_b32 v27, 20, v1
	v_mul_u32_u24_e32 v1, 0x90, v17
	v_ashrrev_i32_e32 v25, 31, v24
	s_delay_alu instid0(VALU_DEP_1) | instskip(NEXT) | instid1(VALU_DEP_1)
	v_lshl_add_u64 v[24:25], v[24:25], 2, s[6:7]
	v_add_nc_u64_e32 v[30:31], 0x80, v[24:25]
	v_mov_b32_e32 v24, 0
	v_add_nc_u64_e32 v[28:29], src_flat_scratch_base_lo, v[26:27]
	s_delay_alu instid0(VALU_DEP_2)
	v_dual_mov_b32 v25, v24 :: v_dual_mov_b32 v26, v24
	s_clause 0x1
	scratch_store_b32 off, v24, off
	scratch_store_b96 off, v[24:26], off offset:4
	v_dual_cndmask_b32 v29, v29, v31 :: v_dual_cndmask_b32 v28, v28, v30
	flat_load_b128 v[24:27], v[28:29]
	s_wait_loadcnt_dscnt 0x0
	ds_store_b128 v1, v[24:27] offset:128
.LBB62_32:
	s_wait_xcnt 0x0
	s_or_b32 exec_lo, exec_lo, s5
	v_mul_lo_u32 v24, s10, v22
	v_mbcnt_lo_u32_b32 v2, -1, 0
	v_mov_b32_e32 v26, 0
	v_mad_u32_u24 v17, 0x90, v22, v0
	s_delay_alu instid0(VALU_DEP_3) | instskip(NEXT) | instid1(VALU_DEP_1)
	v_dual_mov_b32 v1, 0 :: v_dual_lshlrev_b32 v27, 20, v2
	v_dual_mov_b32 v2, v1 :: v_dual_ashrrev_i32 v25, 31, v24
	s_delay_alu instid0(VALU_DEP_2) | instskip(NEXT) | instid1(VALU_DEP_2)
	v_add_nc_u64_e32 v[26:27], src_flat_scratch_base_lo, v[26:27]
	v_lshl_add_u64 v[24:25], v[24:25], 2, s[6:7]
	s_delay_alu instid0(VALU_DEP_1)
	v_add_nc_u64_e32 v[24:25], v[24:25], v[0:1]
	v_mov_b32_e32 v0, v1
	s_clause 0x1
	scratch_store_b32 off, v1, off
	scratch_store_b96 off, v[0:2], off offset:4
	v_dual_cndmask_b32 v25, v27, v25, s3 :: v_dual_cndmask_b32 v24, v26, v24, s3
	s_wait_xcnt 0x0
	v_sub_f32_e32 v0, v23, v4
	flat_load_b128 v[24:27], v[24:25]
	s_wait_loadcnt_dscnt 0x0
	ds_store_b128 v17, v[24:27]
	s_wait_storecnt_dscnt 0x0
	s_barrier_signal -1
	s_barrier_wait -1
	s_wait_xcnt 0x0
	ds_load_b128 v[22:25], v14
	ds_load_b128 v[30:33], v14 offset:16
	v_mul_f32_e32 v1, 0x3fb8aa3b, v0
	ds_load_2addr_b64 v[26:29], v12 offset1:18
	ds_load_2addr_b64 v[34:37], v12 offset0:36 offset1:54
	ds_load_2addr_b64 v[38:41], v12 offset0:72 offset1:90
	v_fma_f32 v2, 0x3fb8aa3b, v0, -v1
	v_rndne_f32_e32 v18, v1
	s_delay_alu instid0(VALU_DEP_1) | instskip(SKIP_1) | instid1(VALU_DEP_4)
	v_sub_f32_e32 v1, v1, v18
	v_cmp_ngt_f32_e32 vcc_lo, 0xc2ce8ed0, v0
	v_fmac_f32_e32 v2, 0x32a5705f, v0
	s_delay_alu instid0(VALU_DEP_1)
	v_add_f32_e32 v1, v1, v2
	v_cvt_i32_f32_e32 v2, v18
	s_wait_dscnt 0x4
	v_and_b32_e32 v21, 0xffff, v23
	v_lshrrev_b32_e32 v17, 16, v22
	v_exp_f32_e32 v1, v1
	s_delay_alu instid0(VALU_DEP_1) | instskip(NEXT) | instid1(TRANS32_DEP_1)
	v_mul_u32_u24_e32 v17, 0x10001, v17
	v_ldexp_f32 v1, v1, v2
	v_and_b32_e32 v2, 0xffff, v22
	v_mul_u32_u24_e32 v22, 0x10001, v21
	s_delay_alu instid0(VALU_DEP_3) | instskip(SKIP_1) | instid1(VALU_DEP_4)
	v_cndmask_b32_e32 v1, 0, v1, vcc_lo
	v_cmp_nlt_f32_e32 vcc_lo, 0x42b17218, v0
	v_mul_u32_u24_e32 v2, 0x10001, v2
	s_delay_alu instid0(VALU_DEP_3) | instskip(SKIP_1) | instid1(VALU_DEP_2)
	v_cndmask_b32_e32 v0, 0x7f800000, v1, vcc_lo
	s_wait_dscnt 0x2
	v_pk_mul_f16 v18, v26, v2
	v_pk_mul_f16 v2, v27, v2
	s_delay_alu instid0(VALU_DEP_3) | instskip(SKIP_1) | instid1(VALU_DEP_2)
	v_cvt_f16_f32_e32 v1, v0
	v_fmac_f32_e32 v15, v16, v0
	v_and_b32_e32 v1, 0xffff, v1
	s_delay_alu instid0(VALU_DEP_2) | instskip(NEXT) | instid1(VALU_DEP_2)
	v_mov_b32_e32 v16, v15
	v_mul_u32_u24_e32 v1, 0x10001, v1
	s_delay_alu instid0(VALU_DEP_1) | instskip(SKIP_2) | instid1(VALU_DEP_3)
	v_pk_fma_f16 v18, v20, v1, v18
	v_pk_fma_f16 v1, v19, v1, v2
	v_lshrrev_b32_e32 v2, 16, v23
	v_pk_fma_f16 v23, v28, v17, v18
	s_delay_alu instid0(VALU_DEP_3)
	v_pk_fma_f16 v1, v29, v17, v1
	ds_load_2addr_b64 v[18:21], v12 offset0:108 offset1:126
	v_and_b32_e32 v17, 0xffff, v24
	v_mul_u32_u24_e32 v2, 0x10001, v2
	s_wait_dscnt 0x2
	v_pk_fma_f16 v23, v34, v22, v23
	v_pk_fma_f16 v1, v35, v22, v1
	v_lshrrev_b32_e32 v22, 16, v24
	v_mul_u32_u24_e32 v17, 0x10001, v17
	ds_load_2addr_b64 v[26:29], v12 offset0:144 offset1:162
	v_pk_fma_f16 v23, v36, v2, v23
	v_pk_fma_f16 v1, v37, v2, v1
	v_and_b32_e32 v2, 0xffff, v25
	v_mul_u32_u24_e32 v22, 0x10001, v22
	v_and_b32_e32 v35, 0xffff, v30
	s_wait_dscnt 0x2
	v_pk_fma_f16 v23, v38, v17, v23
	v_pk_fma_f16 v1, v39, v17, v1
	v_dual_lshrrev_b32 v17, 16, v25 :: v_dual_lshrrev_b32 v30, 16, v30
	v_mul_u32_u24_e32 v2, 0x10001, v2
	s_delay_alu instid0(VALU_DEP_4) | instskip(NEXT) | instid1(VALU_DEP_4)
	v_pk_fma_f16 v34, v40, v22, v23
	v_pk_fma_f16 v1, v41, v22, v1
	ds_load_2addr_b64 v[22:25], v12 offset0:180 offset1:198
	v_mul_u32_u24_e32 v17, 0x10001, v17
	v_mul_u32_u24_e32 v30, 0x10001, v30
	s_wait_dscnt 0x2
	v_pk_fma_f16 v18, v18, v2, v34
	v_pk_fma_f16 v1, v19, v2, v1
	v_mul_u32_u24_e32 v34, 0x10001, v35
	v_add_nc_u32_e32 v2, 0x400, v12
	s_delay_alu instid0(VALU_DEP_4) | instskip(NEXT) | instid1(VALU_DEP_4)
	v_pk_fma_f16 v35, v20, v17, v18
	v_pk_fma_f16 v1, v21, v17, v1
	ds_load_2addr_b64 v[18:21], v12 offset0:216 offset1:234
	v_and_b32_e32 v17, 0xffff, v31
	v_lshrrev_b32_e32 v31, 16, v31
	s_wait_dscnt 0x2
	v_pk_fma_f16 v26, v26, v34, v35
	v_pk_fma_f16 v1, v27, v34, v1
	ds_load_b128 v[34:37], v14 offset:32
	v_mul_u32_u24_e32 v17, 0x10001, v17
	v_pk_fma_f16 v38, v28, v30, v26
	v_pk_fma_f16 v1, v29, v30, v1
	ds_load_2addr_b64 v[26:29], v2 offset0:124 offset1:142
	v_and_b32_e32 v2, 0xffff, v32
	v_mul_u32_u24_e32 v30, 0x10001, v31
	s_wait_dscnt 0x3
	v_pk_fma_f16 v22, v22, v17, v38
	v_pk_fma_f16 v1, v23, v17, v1
	v_add_nc_u32_e32 v17, 0x800, v12
	v_mul_u32_u24_e32 v2, 0x10001, v2
	ds_load_b128 v[38:41], v14 offset:48
	v_lshrrev_b32_e32 v31, 16, v32
	v_pk_fma_f16 v32, v24, v30, v22
	v_pk_fma_f16 v1, v25, v30, v1
	ds_load_2addr_b64 v[22:25], v17 offset0:32 offset1:50
	v_and_b32_e32 v30, 0xffff, v33
	v_mul_u32_u24_e32 v31, 0x10001, v31
	s_wait_dscnt 0x4
	v_pk_fma_f16 v18, v18, v2, v32
	v_pk_fma_f16 v1, v19, v2, v1
	v_lshrrev_b32_e32 v2, 16, v33
	v_mul_u32_u24_e32 v14, 0x10001, v30
	s_delay_alu instid0(VALU_DEP_4) | instskip(NEXT) | instid1(VALU_DEP_4)
	v_pk_fma_f16 v30, v20, v31, v18
	v_pk_fma_f16 v1, v21, v31, v1
	ds_load_2addr_b64 v[18:21], v17 offset0:68 offset1:86
	s_wait_dscnt 0x4
	v_and_b32_e32 v31, 0xffff, v34
	v_mul_u32_u24_e32 v2, 0x10001, v2
	s_wait_dscnt 0x3
	v_pk_fma_f16 v26, v26, v14, v30
	v_pk_fma_f16 v1, v27, v14, v1
	v_lshrrev_b32_e32 v14, 16, v34
	v_mul_u32_u24_e32 v30, 0x10001, v31
	s_delay_alu instid0(VALU_DEP_4) | instskip(NEXT) | instid1(VALU_DEP_4)
	v_pk_fma_f16 v31, v28, v2, v26
	v_pk_fma_f16 v1, v29, v2, v1
	ds_load_2addr_b64 v[26:29], v17 offset0:104 offset1:122
	v_and_b32_e32 v2, 0xffff, v35
	v_mul_u32_u24_e32 v14, 0x10001, v14
	s_wait_dscnt 0x2
	v_pk_fma_f16 v22, v22, v30, v31
	v_pk_fma_f16 v1, v23, v30, v1
	v_lshrrev_b32_e32 v30, 16, v35
	v_mul_u32_u24_e32 v2, 0x10001, v2
	s_delay_alu instid0(VALU_DEP_4) | instskip(NEXT) | instid1(VALU_DEP_4)
	v_pk_fma_f16 v31, v24, v14, v22
	v_pk_fma_f16 v1, v25, v14, v1
	ds_load_2addr_b64 v[22:25], v17 offset0:140 offset1:158
	v_and_b32_e32 v14, 0xffff, v36
	s_wait_dscnt 0x2
	v_pk_fma_f16 v18, v18, v2, v31
	v_pk_fma_f16 v1, v19, v2, v1
	v_lshrrev_b32_e32 v2, 16, v36
	v_mul_u32_u24_e32 v30, 0x10001, v30
	v_mul_u32_u24_e32 v14, 0x10001, v14
	s_delay_alu instid0(VALU_DEP_3) | instskip(NEXT) | instid1(VALU_DEP_3)
	v_mul_u32_u24_e32 v2, 0x10001, v2
	v_pk_fma_f16 v31, v20, v30, v18
	v_pk_fma_f16 v1, v21, v30, v1
	ds_load_2addr_b64 v[18:21], v17 offset0:176 offset1:194
	v_and_b32_e32 v30, 0xffff, v37
	s_wait_dscnt 0x2
	v_pk_fma_f16 v26, v26, v14, v31
	v_pk_fma_f16 v1, v27, v14, v1
	v_lshrrev_b32_e32 v14, 16, v37
	v_mul_u32_u24_e32 v30, 0x10001, v30
	s_delay_alu instid0(VALU_DEP_4) | instskip(NEXT) | instid1(VALU_DEP_4)
	v_pk_fma_f16 v31, v28, v2, v26
	v_pk_fma_f16 v1, v29, v2, v1
	ds_load_2addr_b64 v[26:29], v17 offset0:212 offset1:230
	v_and_b32_e32 v2, 0xffff, v38
	s_wait_dscnt 0x2
	v_pk_fma_f16 v17, v22, v30, v31
	v_pk_fma_f16 v1, v23, v30, v1
	v_lshrrev_b32_e32 v30, 16, v38
	v_mul_u32_u24_e32 v14, 0x10001, v14
	v_add_nc_u32_e32 v22, 0xc00, v12
	v_mul_u32_u24_e32 v2, 0x10001, v2
	s_delay_alu instid0(VALU_DEP_4) | instskip(NEXT) | instid1(VALU_DEP_4)
	v_mul_u32_u24_e32 v30, 0x10001, v30
	v_pk_fma_f16 v17, v24, v14, v17
	v_pk_fma_f16 v1, v25, v14, v1
	ds_load_2addr_b64 v[22:25], v22 offset0:120 offset1:138
	v_and_b32_e32 v14, 0xffff, v39
	s_wait_dscnt 0x2
	v_pk_fma_f16 v17, v18, v2, v17
	v_pk_fma_f16 v1, v19, v2, v1
	v_add_nc_u32_e32 v2, 0x1000, v12
	v_lshrrev_b32_e32 v12, 16, v39
	v_mul_u32_u24_e32 v14, 0x10001, v14
	v_pk_fma_f16 v17, v20, v30, v17
	v_pk_fma_f16 v1, v21, v30, v1
	ds_load_2addr_b64 v[18:21], v2 offset0:28 offset1:46
	v_and_b32_e32 v2, 0xffff, v40
	s_wait_dscnt 0x0
	v_pk_fma_f16 v17, v26, v14, v17
	v_pk_fma_f16 v1, v27, v14, v1
	v_lshrrev_b32_e32 v14, 16, v40
	v_mul_u32_u24_e32 v12, 0x10001, v12
	v_mul_u32_u24_e32 v2, 0x10001, v2
	s_barrier_signal -1
	s_barrier_wait -1
	v_mul_u32_u24_e32 v14, 0x10001, v14
	v_pk_fma_f16 v17, v28, v12, v17
	v_pk_fma_f16 v1, v29, v12, v1
	v_and_b32_e32 v12, 0xffff, v41
	s_delay_alu instid0(VALU_DEP_3) | instskip(NEXT) | instid1(VALU_DEP_3)
	v_pk_fma_f16 v17, v22, v2, v17
	v_pk_fma_f16 v1, v23, v2, v1
	v_lshrrev_b32_e32 v2, 16, v41
	s_delay_alu instid0(VALU_DEP_4) | instskip(NEXT) | instid1(VALU_DEP_4)
	v_mul_u32_u24_e32 v12, 0x10001, v12
	v_pk_fma_f16 v17, v24, v14, v17
	s_delay_alu instid0(VALU_DEP_4) | instskip(NEXT) | instid1(VALU_DEP_4)
	v_pk_fma_f16 v1, v25, v14, v1
	v_mul_u32_u24_e32 v2, 0x10001, v2
	s_delay_alu instid0(VALU_DEP_3) | instskip(NEXT) | instid1(VALU_DEP_3)
	v_pk_fma_f16 v14, v18, v12, v17
	v_pk_fma_f16 v1, v19, v12, v1
	s_delay_alu instid0(VALU_DEP_2) | instskip(NEXT) | instid1(VALU_DEP_2)
	v_pk_fma_f16 v20, v20, v2, v14
	v_pk_fma_f16 v19, v21, v2, v1
.LBB62_33:
	v_cmp_lt_i32_e32 vcc_lo, v3, v9
	s_cmp_eq_u64 s[12:13], 0
	s_cselect_b32 s3, -1, 0
	s_cmp_lg_u32 s26, 0
	v_cndmask_b32_e32 v0, v13, v3, vcc_lo
	v_cmp_lt_i32_e32 vcc_lo, v5, v9
	s_cselect_b32 s4, -1, 0
	s_delay_alu instid0(SALU_CYCLE_1) | instskip(NEXT) | instid1(VALU_DEP_2)
	s_or_b32 s3, s4, s3
	v_dual_cndmask_b32 v1, v13, v5 :: v_dual_lshlrev_b32 v0, 2, v0
	v_cmp_lt_i32_e32 vcc_lo, v6, v9
	s_delay_alu instid0(VALU_DEP_2)
	v_lshlrev_b32_e32 v1, 2, v1
	ds_bpermute_b32 v0, v0, v16
	v_cndmask_b32_e32 v2, v13, v6, vcc_lo
	v_cmp_lt_i32_e32 vcc_lo, v7, v9
	s_wait_dscnt 0x0
	v_add_f32_e32 v0, v16, v0
	ds_bpermute_b32 v1, v1, v0
	s_wait_dscnt 0x0
	v_dual_lshlrev_b32 v2, 2, v2 :: v_dual_add_f32 v0, v0, v1
	ds_bpermute_b32 v1, v2, v0
	v_cndmask_b32_e32 v2, v13, v7, vcc_lo
	v_cmp_lt_i32_e32 vcc_lo, v8, v9
	s_wait_dscnt 0x0
	s_delay_alu instid0(VALU_DEP_2) | instskip(SKIP_4) | instid1(VALU_DEP_1)
	v_dual_add_f32 v0, v0, v1 :: v_dual_lshlrev_b32 v2, 2, v2
	ds_bpermute_b32 v1, v2, v0
	s_wait_dscnt 0x0
	v_dual_add_f32 v0, v0, v1 :: v_dual_cndmask_b32 v2, v13, v8, vcc_lo
	s_and_b32 vcc_lo, exec_lo, s3
	v_lshlrev_b32_e32 v2, 2, v2
	ds_bpermute_b32 v1, v2, v0
	s_wait_dscnt 0x0
	v_add_f32_e32 v5, v0, v1
	s_cbranch_vccnz .LBB62_36
; %bb.34:
	v_mov_b32_e32 v0, s33
	global_load_b32 v1, v0, s[12:13] scale_offset
	s_wait_loadcnt 0x0
	v_dual_max_num_f32 v0, v4, v4 :: v_dual_max_num_f32 v2, v1, v1
	s_delay_alu instid0(VALU_DEP_1) | instskip(NEXT) | instid1(VALU_DEP_1)
	v_max_num_f32_e32 v0, v0, v2
	v_sub_f32_e32 v1, v1, v0
	s_delay_alu instid0(VALU_DEP_1) | instskip(NEXT) | instid1(VALU_DEP_1)
	v_dual_mul_f32 v7, 0x3fb8aa3b, v1 :: v_dual_sub_f32 v2, v4, v0
	v_rndne_f32_e32 v9, v7
	s_delay_alu instid0(VALU_DEP_2) | instskip(NEXT) | instid1(VALU_DEP_1)
	v_mul_f32_e32 v3, 0x3fb8aa3b, v2
	v_fma_f32 v4, 0x3fb8aa3b, v2, -v3
	v_rndne_f32_e32 v6, v3
	s_delay_alu instid0(VALU_DEP_1) | instskip(NEXT) | instid1(VALU_DEP_3)
	v_sub_f32_e32 v3, v3, v6
	v_fmac_f32_e32 v4, 0x32a5705f, v2
	v_fma_f32 v8, 0x3fb8aa3b, v1, -v7
	v_cvt_i32_f32_e32 v6, v6
	v_cmp_ngt_f32_e32 vcc_lo, 0xc2ce8ed0, v2
	s_delay_alu instid0(VALU_DEP_3) | instskip(NEXT) | instid1(VALU_DEP_1)
	v_dual_add_f32 v3, v3, v4 :: v_dual_fmac_f32 v8, 0x32a5705f, v1
	v_exp_f32_e32 v3, v3
	v_nop
	s_delay_alu instid0(TRANS32_DEP_1) | instskip(SKIP_2) | instid1(VALU_DEP_3)
	v_ldexp_f32 v3, v3, v6
	v_sub_f32_e32 v4, v7, v9
	v_cvt_i32_f32_e32 v6, v9
	v_cndmask_b32_e32 v3, 0, v3, vcc_lo
	v_cmp_nlt_f32_e32 vcc_lo, 0x42b17218, v2
	s_delay_alu instid0(VALU_DEP_2) | instskip(SKIP_2) | instid1(VALU_DEP_1)
	v_cndmask_b32_e32 v2, 0x7f800000, v3, vcc_lo
	v_cmp_ngt_f32_e32 vcc_lo, 0xc2ce8ed0, v1
	v_add_f32_e32 v4, v4, v8
	v_exp_f32_e32 v4, v4
	v_nop
	s_delay_alu instid0(TRANS32_DEP_1) | instskip(SKIP_1) | instid1(VALU_DEP_2)
	v_ldexp_f32 v3, v4, v6
	v_cvt_f16_f32_e32 v4, v2
	v_cndmask_b32_e32 v3, 0, v3, vcc_lo
	v_cmp_nlt_f32_e32 vcc_lo, 0x42b17218, v1
	s_delay_alu instid0(VALU_DEP_3) | instskip(NEXT) | instid1(VALU_DEP_3)
	v_and_b32_e32 v4, 0xffff, v4
	v_cndmask_b32_e32 v1, 0x7f800000, v3, vcc_lo
	s_delay_alu instid0(VALU_DEP_2) | instskip(NEXT) | instid1(VALU_DEP_2)
	v_mul_u32_u24_e32 v3, 0x10001, v4
	v_fmac_f32_e32 v1, v5, v2
	s_delay_alu instid0(VALU_DEP_2) | instskip(SKIP_1) | instid1(VALU_DEP_3)
	v_pk_mul_f16 v20, v20, v3
	v_pk_mul_f16 v19, v19, v3
	v_mov_b64_e32 v[4:5], v[0:1]
	s_mov_b32 s3, exec_lo
	v_cmpx_gt_i32_e64 s22, v11
	s_cbranch_execnz .LBB62_37
.LBB62_35:
	s_endpgm
.LBB62_36:
	s_delay_alu instid0(VALU_DEP_1)
	v_mov_b32_e32 v1, v5
	s_mov_b32 s3, exec_lo
	v_cmpx_gt_i32_e64 s22, v11
	s_cbranch_execz .LBB62_35
.LBB62_37:
	v_mad_u32 v0, s28, s22, v11
	s_load_b32 s0, s[0:1], 0xd4
	s_delay_alu instid0(VALU_DEP_1) | instskip(SKIP_2) | instid1(VALU_DEP_1)
	v_mad_u32 v0, v0, s23, s33
	s_wait_kmcnt 0x0
	s_cmp_lg_u32 s0, 1
	v_mad_u32 v0, s0, v0, s26
	s_cselect_b32 s0, -1, 0
	s_and_saveexec_b32 s1, s2
	s_cbranch_execz .LBB62_39
; %bb.38:
	v_div_scale_f32 v2, null, v1, v1, 1.0
	v_div_scale_f32 v7, vcc_lo, 1.0, v1, 1.0
	v_lshrrev_b32_e32 v9, 16, v19
	s_delay_alu instid0(VALU_DEP_3) | instskip(NEXT) | instid1(VALU_DEP_1)
	v_rcp_f32_e32 v3, v2
	v_cvt_f32_f16_e32 v9, v9
	s_delay_alu instid0(TRANS32_DEP_1) | instskip(NEXT) | instid1(VALU_DEP_1)
	v_fma_f32 v6, -v2, v3, 1.0
	v_fmac_f32_e32 v3, v6, v3
	s_delay_alu instid0(VALU_DEP_1) | instskip(NEXT) | instid1(VALU_DEP_1)
	v_mul_f32_e32 v6, v7, v3
	v_fma_f32 v8, -v2, v6, v7
	s_delay_alu instid0(VALU_DEP_1) | instskip(SKIP_1) | instid1(VALU_DEP_2)
	v_fmac_f32_e32 v6, v8, v3
	v_cvt_f32_f16_e32 v8, v19
	v_fma_f32 v2, -v2, v6, v7
	v_lshlrev_b32_e32 v7, 2, v10
	s_delay_alu instid0(VALU_DEP_2) | instskip(NEXT) | instid1(VALU_DEP_2)
	v_div_fmas_f32 v6, v2, v3, v6
	v_mad_u32 v2, 0x48, v0, v7
	v_dual_lshrrev_b32 v7, 16, v20 :: v_dual_mov_b32 v3, 0
	s_delay_alu instid0(VALU_DEP_3) | instskip(SKIP_1) | instid1(VALU_DEP_3)
	v_div_fixup_f32 v1, v6, v1, 1.0
	v_cvt_f32_f16_e32 v6, v20
	v_cvt_f32_f16_e32 v7, v7
	s_delay_alu instid0(VALU_DEP_3) | instskip(SKIP_1) | instid1(VALU_DEP_2)
	v_cndmask_b32_e64 v12, v1, 1.0, s0
	v_lshl_add_u64 v[2:3], v[2:3], 2, s[16:17]
	v_pk_mul_f32 v[6:7], v[12:13], v[6:7] op_sel_hi:[0,1]
	v_pk_mul_f32 v[8:9], v[12:13], v[8:9] op_sel_hi:[0,1]
	global_store_b128 v[2:3], v[6:9], off
.LBB62_39:
	s_wait_xcnt 0x0
	s_or_b32 exec_lo, exec_lo, s1
	v_cmp_eq_u32_e32 vcc_lo, 0, v10
	s_and_b32 s0, vcc_lo, s0
	s_delay_alu instid0(SALU_CYCLE_1)
	s_and_b32 exec_lo, exec_lo, s0
	s_cbranch_execz .LBB62_35
; %bb.40:
	global_store_b64 v0, v[4:5], s[18:19] scale_offset
	s_endpgm
	.section	.rodata,"a",@progbits
	.p2align	6, 0x0
	.amdhsa_kernel _ZL15flash_attn_tileILi72ELi72ELi8ELi1ELb0EEvPKcS1_S1_S1_S1_PKiPfP15HIP_vector_typeIfLj2EEffffjfiS5_IjLj3EEiiiiiiiiiiiliiliiiiil
		.amdhsa_group_segment_fixed_size 7008
		.amdhsa_private_segment_fixed_size 32
		.amdhsa_kernarg_size 464
		.amdhsa_user_sgpr_count 2
		.amdhsa_user_sgpr_dispatch_ptr 0
		.amdhsa_user_sgpr_queue_ptr 0
		.amdhsa_user_sgpr_kernarg_segment_ptr 1
		.amdhsa_user_sgpr_dispatch_id 0
		.amdhsa_user_sgpr_kernarg_preload_length 0
		.amdhsa_user_sgpr_kernarg_preload_offset 0
		.amdhsa_user_sgpr_private_segment_size 0
		.amdhsa_wavefront_size32 1
		.amdhsa_uses_dynamic_stack 0
		.amdhsa_enable_private_segment 1
		.amdhsa_system_sgpr_workgroup_id_x 1
		.amdhsa_system_sgpr_workgroup_id_y 1
		.amdhsa_system_sgpr_workgroup_id_z 1
		.amdhsa_system_sgpr_workgroup_info 0
		.amdhsa_system_vgpr_workitem_id 1
		.amdhsa_next_free_vgpr 63
		.amdhsa_next_free_sgpr 46
		.amdhsa_named_barrier_count 0
		.amdhsa_reserve_vcc 1
		.amdhsa_float_round_mode_32 0
		.amdhsa_float_round_mode_16_64 0
		.amdhsa_float_denorm_mode_32 3
		.amdhsa_float_denorm_mode_16_64 3
		.amdhsa_fp16_overflow 0
		.amdhsa_memory_ordered 1
		.amdhsa_forward_progress 1
		.amdhsa_inst_pref_size 72
		.amdhsa_round_robin_scheduling 0
		.amdhsa_exception_fp_ieee_invalid_op 0
		.amdhsa_exception_fp_denorm_src 0
		.amdhsa_exception_fp_ieee_div_zero 0
		.amdhsa_exception_fp_ieee_overflow 0
		.amdhsa_exception_fp_ieee_underflow 0
		.amdhsa_exception_fp_ieee_inexact 0
		.amdhsa_exception_int_div_zero 0
	.end_amdhsa_kernel
	.section	.text._ZL15flash_attn_tileILi72ELi72ELi8ELi1ELb0EEvPKcS1_S1_S1_S1_PKiPfP15HIP_vector_typeIfLj2EEffffjfiS5_IjLj3EEiiiiiiiiiiiliiliiiiil,"axG",@progbits,_ZL15flash_attn_tileILi72ELi72ELi8ELi1ELb0EEvPKcS1_S1_S1_S1_PKiPfP15HIP_vector_typeIfLj2EEffffjfiS5_IjLj3EEiiiiiiiiiiiliiliiiiil,comdat
.Lfunc_end62:
	.size	_ZL15flash_attn_tileILi72ELi72ELi8ELi1ELb0EEvPKcS1_S1_S1_S1_PKiPfP15HIP_vector_typeIfLj2EEffffjfiS5_IjLj3EEiiiiiiiiiiiliiliiiiil, .Lfunc_end62-_ZL15flash_attn_tileILi72ELi72ELi8ELi1ELb0EEvPKcS1_S1_S1_S1_PKiPfP15HIP_vector_typeIfLj2EEffffjfiS5_IjLj3EEiiiiiiiiiiiliiliiiiil
                                        ; -- End function
	.set _ZL15flash_attn_tileILi72ELi72ELi8ELi1ELb0EEvPKcS1_S1_S1_S1_PKiPfP15HIP_vector_typeIfLj2EEffffjfiS5_IjLj3EEiiiiiiiiiiiliiliiiiil.num_vgpr, 63
	.set _ZL15flash_attn_tileILi72ELi72ELi8ELi1ELb0EEvPKcS1_S1_S1_S1_PKiPfP15HIP_vector_typeIfLj2EEffffjfiS5_IjLj3EEiiiiiiiiiiiliiliiiiil.num_agpr, 0
	.set _ZL15flash_attn_tileILi72ELi72ELi8ELi1ELb0EEvPKcS1_S1_S1_S1_PKiPfP15HIP_vector_typeIfLj2EEffffjfiS5_IjLj3EEiiiiiiiiiiiliiliiiiil.numbered_sgpr, 46
	.set _ZL15flash_attn_tileILi72ELi72ELi8ELi1ELb0EEvPKcS1_S1_S1_S1_PKiPfP15HIP_vector_typeIfLj2EEffffjfiS5_IjLj3EEiiiiiiiiiiiliiliiiiil.num_named_barrier, 0
	.set _ZL15flash_attn_tileILi72ELi72ELi8ELi1ELb0EEvPKcS1_S1_S1_S1_PKiPfP15HIP_vector_typeIfLj2EEffffjfiS5_IjLj3EEiiiiiiiiiiiliiliiiiil.private_seg_size, 32
	.set _ZL15flash_attn_tileILi72ELi72ELi8ELi1ELb0EEvPKcS1_S1_S1_S1_PKiPfP15HIP_vector_typeIfLj2EEffffjfiS5_IjLj3EEiiiiiiiiiiiliiliiiiil.uses_vcc, 1
	.set _ZL15flash_attn_tileILi72ELi72ELi8ELi1ELb0EEvPKcS1_S1_S1_S1_PKiPfP15HIP_vector_typeIfLj2EEffffjfiS5_IjLj3EEiiiiiiiiiiiliiliiiiil.uses_flat_scratch, 1
	.set _ZL15flash_attn_tileILi72ELi72ELi8ELi1ELb0EEvPKcS1_S1_S1_S1_PKiPfP15HIP_vector_typeIfLj2EEffffjfiS5_IjLj3EEiiiiiiiiiiiliiliiiiil.has_dyn_sized_stack, 0
	.set _ZL15flash_attn_tileILi72ELi72ELi8ELi1ELb0EEvPKcS1_S1_S1_S1_PKiPfP15HIP_vector_typeIfLj2EEffffjfiS5_IjLj3EEiiiiiiiiiiiliiliiiiil.has_recursion, 0
	.set _ZL15flash_attn_tileILi72ELi72ELi8ELi1ELb0EEvPKcS1_S1_S1_S1_PKiPfP15HIP_vector_typeIfLj2EEffffjfiS5_IjLj3EEiiiiiiiiiiiliiliiiiil.has_indirect_call, 0
	.section	.AMDGPU.csdata,"",@progbits
; Kernel info:
; codeLenInByte = 9160
; TotalNumSgprs: 48
; NumVgprs: 63
; ScratchSize: 32
; MemoryBound: 0
; FloatMode: 240
; IeeeMode: 1
; LDSByteSize: 7008 bytes/workgroup (compile time only)
; SGPRBlocks: 0
; VGPRBlocks: 3
; NumSGPRsForWavesPerEU: 48
; NumVGPRsForWavesPerEU: 63
; NamedBarCnt: 0
; Occupancy: 16
; WaveLimiterHint : 1
; COMPUTE_PGM_RSRC2:SCRATCH_EN: 1
; COMPUTE_PGM_RSRC2:USER_SGPR: 2
; COMPUTE_PGM_RSRC2:TRAP_HANDLER: 0
; COMPUTE_PGM_RSRC2:TGID_X_EN: 1
; COMPUTE_PGM_RSRC2:TGID_Y_EN: 1
; COMPUTE_PGM_RSRC2:TGID_Z_EN: 1
; COMPUTE_PGM_RSRC2:TIDIG_COMP_CNT: 1
	.section	.text._ZL33flash_attn_stream_k_fixup_uniformILi72ELi8ELi1EEvPfPK15HIP_vector_typeIfLj2EEiiiiiiS1_IjLj3EES5_S5_,"axG",@progbits,_ZL33flash_attn_stream_k_fixup_uniformILi72ELi8ELi1EEvPfPK15HIP_vector_typeIfLj2EEiiiiiiS1_IjLj3EES5_S5_,comdat
	.globl	_ZL33flash_attn_stream_k_fixup_uniformILi72ELi8ELi1EEvPfPK15HIP_vector_typeIfLj2EEiiiiiiS1_IjLj3EES5_S5_ ; -- Begin function _ZL33flash_attn_stream_k_fixup_uniformILi72ELi8ELi1EEvPfPK15HIP_vector_typeIfLj2EEiiiiiiS1_IjLj3EES5_S5_
	.p2align	8
	.type	_ZL33flash_attn_stream_k_fixup_uniformILi72ELi8ELi1EEvPfPK15HIP_vector_typeIfLj2EEiiiiiiS1_IjLj3EES5_S5_,@function
_ZL33flash_attn_stream_k_fixup_uniformILi72ELi8ELi1EEvPfPK15HIP_vector_typeIfLj2EEiiiiiiS1_IjLj3EES5_S5_: ; @_ZL33flash_attn_stream_k_fixup_uniformILi72ELi8ELi1EEvPfPK15HIP_vector_typeIfLj2EEiiiiiiS1_IjLj3EES5_S5_
; %bb.0:
	s_load_b256 s[4:11], s[0:1], 0x1c
	s_bfe_u32 s2, ttmp6, 0x40014
	s_lshr_b32 s3, ttmp7, 16
	s_add_co_i32 s2, s2, 1
	s_bfe_u32 s13, ttmp6, 0x40010
	s_mul_i32 s2, s3, s2
	s_bfe_u32 s12, ttmp6, 0x40008
	s_and_b32 s14, ttmp7, 0xffff
	s_add_co_i32 s13, s13, 1
	s_bfe_u32 s15, ttmp6, 0x4000c
	s_add_co_i32 s2, s12, s2
	s_mul_i32 s12, s14, s13
	s_bfe_u32 s13, ttmp6, 0x40004
	s_add_co_i32 s15, s15, 1
	s_add_co_i32 s13, s13, s12
	s_and_b32 s12, ttmp6, 15
	s_mul_i32 s15, ttmp9, s15
	s_getreg_b32 s20, hwreg(HW_REG_IB_STS2, 6, 4)
	s_add_co_i32 s12, s12, s15
	s_load_b128 s[16:19], s[0:1], 0x3c
	s_cmp_eq_u32 s20, 0
	s_cselect_b32 s12, ttmp9, s12
	s_cselect_b32 s13, s14, s13
	s_wait_kmcnt 0x0
	s_mul_hi_u32 s7, s7, s12
	s_cselect_b32 s14, s3, s2
	s_add_co_i32 s2, s12, s7
	s_delay_alu instid0(SALU_CYCLE_1) | instskip(NEXT) | instid1(SALU_CYCLE_1)
	s_lshr_b32 s7, s2, s8
	s_mul_i32 s2, s7, s9
	s_delay_alu instid0(SALU_CYCLE_1) | instskip(NEXT) | instid1(SALU_CYCLE_1)
	s_sub_co_i32 s8, s12, s2
	s_mul_hi_u32 s2, s8, s10
	s_delay_alu instid0(SALU_CYCLE_1) | instskip(SKIP_2) | instid1(SALU_CYCLE_1)
	s_add_co_i32 s9, s8, s2
	s_load_b64 s[2:3], s[0:1], 0x10
	s_lshr_b32 s15, s9, s11
	s_mul_i32 s9, s15, s16
	s_delay_alu instid0(SALU_CYCLE_1) | instskip(NEXT) | instid1(SALU_CYCLE_1)
	s_sub_co_i32 s8, s8, s9
	s_mul_hi_u32 s9, s8, s17
	s_delay_alu instid0(SALU_CYCLE_1) | instskip(NEXT) | instid1(SALU_CYCLE_1)
	s_add_co_i32 s9, s8, s9
	s_lshr_b32 s17, s9, s18
	s_delay_alu instid0(SALU_CYCLE_1) | instskip(NEXT) | instid1(SALU_CYCLE_1)
	s_mul_i32 s9, s17, s19
	s_sub_co_i32 s16, s8, s9
	s_delay_alu instid0(SALU_CYCLE_1) | instskip(NEXT) | instid1(SALU_CYCLE_1)
	s_lshl_b32 s8, s16, 3
	s_add_co_i32 s8, s8, s13
	s_wait_kmcnt 0x0
	s_cmp_lt_i32 s8, s2
	s_cselect_b32 s8, -1, 0
	s_add_co_i32 s17, s17, s14
	s_delay_alu instid0(SALU_CYCLE_1) | instskip(SKIP_1) | instid1(SALU_CYCLE_1)
	s_cmp_lt_i32 s17, s5
	s_cselect_b32 s9, -1, 0
	s_and_b32 s8, s8, s9
	s_delay_alu instid0(SALU_CYCLE_1)
	s_and_not1_b32 vcc_lo, exec_lo, s8
	s_cbranch_vccnz .LBB63_6
; %bb.1:
	s_load_b128 s[8:11], s[0:1], 0x0
	s_wait_xcnt 0x0
	s_mul_i32 s0, s7, s2
	s_mul_i32 s15, s15, s5
	s_add_co_i32 s0, s0, s13
	s_add_co_i32 s1, s17, s15
	s_mul_i32 s0, s0, s3
	s_mul_i32 s2, s3, s16
	s_add_co_i32 s0, s1, s0
	s_mulk_i32 s2, 0x240
	s_mulk_i32 s0, 0x48
	s_mul_i32 s7, s6, s12
	v_add3_u32 v4, s0, s2, v0
	s_add_co_i32 s5, s7, s6
	s_add_co_i32 s13, s13, s14
	s_lshl_b32 s0, s5, 3
	s_add_co_i32 s2, s5, -2
	s_add_co_i32 s0, s13, s0
	v_ashrrev_i32_e32 v5, 31, v4
	s_add_co_i32 s0, s0, -8
	s_delay_alu instid0(SALU_CYCLE_1)
	s_ashr_i32 s1, s0, 31
	s_wait_kmcnt 0x0
	global_load_b32 v3, v4, s[8:9] scale_offset
	s_lshl_b64 s[0:1], s[0:1], 3
	s_cmp_lt_i32 s2, s7
	s_add_nc_u64 s[0:1], s[10:11], s[0:1]
	s_load_b32 s14, s[0:1], 0x4
	s_cbranch_scc1 .LBB63_4
; %bb.2:
	s_wait_xcnt 0x0
	s_load_b32 s0, s[0:1], 0x0
	s_add_co_i32 s12, s12, 1
	s_lshl_b32 s2, s4, 5
	s_wait_xcnt 0x0
	s_mul_i32 s1, s6, s12
	s_mul_i32 s6, s13, 0x48
	s_lshl_b32 s12, s1, 3
	s_mulk_i32 s1, 0x240
	s_ashr_i32 s3, s2, 31
	s_add_co_i32 s6, s6, s1
	s_add_co_i32 s12, s13, s12
	s_lshl_b32 s1, s4, 3
	v_add3_u32 v0, s6, v0, 0xfffffb80
	s_wait_kmcnt 0x0
	v_mov_b32_e32 v2, s14
	s_lshl_b64 s[2:3], s[2:3], 2
	s_add_co_i32 s4, s12, s1
	s_add_nc_u64 s[2:3], s[10:11], s[2:3]
	s_add_co_i32 s1, s5, -1
	s_add_co_i32 s4, s4, -16
.LBB63_3:                               ; =>This Inner Loop Header: Depth=1
	global_load_b32 v7, v0, s[2:3] scale_offset
	s_ashr_i32 s5, s4, 31
	v_max_num_f32_e64 v1, s0, s0
	s_lshl_b64 s[12:13], s[4:5], 3
	s_delay_alu instid0(SALU_CYCLE_1) | instskip(SKIP_1) | instid1(VALU_DEP_1)
	s_add_nc_u64 s[12:13], s[10:11], s[12:13]
	s_load_b64 s[12:13], s[12:13], 0x0
	v_readfirstlane_b32 s5, v1
	v_add_nc_u32_e32 v0, 0xfffffdc0, v0
	s_wait_kmcnt 0x0
	v_max_num_f32_e64 v1, s12, s12
	s_delay_alu instid0(VALU_DEP_1) | instskip(SKIP_1) | instid1(SALU_CYCLE_3)
	v_readfirstlane_b32 s6, v1
	s_max_num_f32 s5, s5, s6
	s_sub_f32 s0, s0, s5
	s_sub_f32 s6, s12, s5
	s_delay_alu instid0(SALU_CYCLE_2) | instskip(NEXT) | instid1(SALU_CYCLE_2)
	s_mul_f32 s12, s0, 0x3fb8aa3b
	s_mul_f32 s14, s6, 0x3fb8aa3b
	s_delay_alu instid0(SALU_CYCLE_2)
	s_xor_b32 s15, s12, 0x80000000
	s_rndne_f32 s16, s12
	s_fmamk_f32 s15, s0, 0x3fb8aa3b, s15
	s_cmp_nlt_f32 s0, 0xc2ce8ed0
	s_rndne_f32 s17, s14
	s_sub_f32 s12, s12, s16
	s_fmamk_f32 s15, s0, 0x32a5705f, s15
	s_cselect_b32 vcc_lo, -1, 0
	s_cmp_ngt_f32 s0, 0x42b17218
	s_delay_alu instid0(SALU_CYCLE_1) | instskip(SKIP_2) | instid1(SALU_CYCLE_1)
	s_add_f32 s12, s12, s15
	s_cvt_i32_f32 s15, s16
	s_sub_f32 s16, s14, s17
	v_s_exp_f32 s12, s12
	v_nop
	s_delay_alu instid0(TRANS32_DEP_1) | instskip(SKIP_1) | instid1(VALU_DEP_1)
	v_ldexp_f32 v1, s12, s15
	s_cvt_i32_f32 s12, s17
	v_cndmask_b32_e32 v1, 0, v1, vcc_lo
	s_cselect_b32 vcc_lo, -1, 0
	s_cmp_ge_f32 s0, 0xc1a00000
	s_delay_alu instid0(VALU_DEP_1)
	v_cndmask_b32_e32 v1, 0x7f800000, v1, vcc_lo
	s_cselect_b32 vcc_lo, -1, 0
	s_xor_b32 s0, s14, 0x80000000
	s_cmp_nlt_f32 s6, 0xc2ce8ed0
	s_fmamk_f32 s0, s6, 0x3fb8aa3b, s0
	v_cndmask_b32_e32 v10, 0, v1, vcc_lo
	s_delay_alu instid0(SALU_CYCLE_2) | instskip(NEXT) | instid1(SALU_CYCLE_3)
	s_fmamk_f32 s0, s6, 0x32a5705f, s0
	s_add_f32 s0, s16, s0
	s_delay_alu instid0(SALU_CYCLE_3) | instskip(SKIP_1) | instid1(TRANS32_DEP_1)
	v_s_exp_f32 s0, s0
	v_nop
	v_ldexp_f32 v6, s0, s12
	s_cselect_b32 s0, -1, 0
	s_cmp_ngt_f32 s6, 0x42b17218
	s_delay_alu instid0(VALU_DEP_1) | instskip(SKIP_2) | instid1(VALU_DEP_1)
	v_cndmask_b32_e64 v6, 0, v6, s0
	s_cselect_b32 s0, -1, 0
	s_cmp_ge_f32 s6, 0xc1a00000
	v_cndmask_b32_e64 v8, 0x7f800000, v6, s0
	s_cselect_b32 s0, -1, 0
	v_mov_b32_e32 v6, s13
	s_add_co_i32 s1, s1, -1
	s_add_co_i32 s4, s4, -8
	v_cndmask_b32_e64 v8, 0, v8, s0
	s_cmp_le_i32 s1, s7
	s_mov_b32 s0, s5
	s_wait_loadcnt 0x0
	s_delay_alu instid0(VALU_DEP_1) | instskip(NEXT) | instid1(VALU_DEP_1)
	v_pk_mul_f32 v[6:7], v[6:7], v[8:9] op_sel_hi:[1,0]
	v_pk_fma_f32 v[2:3], v[2:3], v[10:11], v[6:7] op_sel_hi:[1,0,1]
	s_cbranch_scc0 .LBB63_3
	s_branch .LBB63_5
.LBB63_4:
	s_wait_kmcnt 0x0
	v_mov_b32_e32 v2, s14
.LBB63_5:
	v_lshl_add_u64 v[0:1], v[4:5], 2, s[8:9]
	s_wait_loadcnt 0x0
	s_delay_alu instid0(VALU_DEP_2) | instskip(NEXT) | instid1(VALU_DEP_1)
	v_div_scale_f32 v4, null, v2, v2, v3
	v_rcp_f32_e32 v5, v4
	v_nop
	s_delay_alu instid0(TRANS32_DEP_1) | instskip(NEXT) | instid1(VALU_DEP_1)
	v_fma_f32 v6, -v4, v5, 1.0
	v_fmac_f32_e32 v5, v6, v5
	v_div_scale_f32 v6, vcc_lo, v3, v2, v3
	s_delay_alu instid0(VALU_DEP_1) | instskip(NEXT) | instid1(VALU_DEP_1)
	v_mul_f32_e32 v7, v6, v5
	v_fma_f32 v8, -v4, v7, v6
	s_delay_alu instid0(VALU_DEP_1) | instskip(NEXT) | instid1(VALU_DEP_1)
	v_fmac_f32_e32 v7, v8, v5
	v_fma_f32 v4, -v4, v7, v6
	s_delay_alu instid0(VALU_DEP_1) | instskip(NEXT) | instid1(VALU_DEP_1)
	v_div_fmas_f32 v4, v4, v5, v7
	v_div_fixup_f32 v2, v4, v2, v3
	global_store_b32 v[0:1], v2, off
.LBB63_6:
	s_endpgm
	.section	.rodata,"a",@progbits
	.p2align	6, 0x0
	.amdhsa_kernel _ZL33flash_attn_stream_k_fixup_uniformILi72ELi8ELi1EEvPfPK15HIP_vector_typeIfLj2EEiiiiiiS1_IjLj3EES5_S5_
		.amdhsa_group_segment_fixed_size 0
		.amdhsa_private_segment_fixed_size 0
		.amdhsa_kernarg_size 76
		.amdhsa_user_sgpr_count 2
		.amdhsa_user_sgpr_dispatch_ptr 0
		.amdhsa_user_sgpr_queue_ptr 0
		.amdhsa_user_sgpr_kernarg_segment_ptr 1
		.amdhsa_user_sgpr_dispatch_id 0
		.amdhsa_user_sgpr_kernarg_preload_length 0
		.amdhsa_user_sgpr_kernarg_preload_offset 0
		.amdhsa_user_sgpr_private_segment_size 0
		.amdhsa_wavefront_size32 1
		.amdhsa_uses_dynamic_stack 0
		.amdhsa_enable_private_segment 0
		.amdhsa_system_sgpr_workgroup_id_x 1
		.amdhsa_system_sgpr_workgroup_id_y 1
		.amdhsa_system_sgpr_workgroup_id_z 1
		.amdhsa_system_sgpr_workgroup_info 0
		.amdhsa_system_vgpr_workitem_id 0
		.amdhsa_next_free_vgpr 12
		.amdhsa_next_free_sgpr 21
		.amdhsa_named_barrier_count 0
		.amdhsa_reserve_vcc 1
		.amdhsa_float_round_mode_32 0
		.amdhsa_float_round_mode_16_64 0
		.amdhsa_float_denorm_mode_32 3
		.amdhsa_float_denorm_mode_16_64 3
		.amdhsa_fp16_overflow 0
		.amdhsa_memory_ordered 1
		.amdhsa_forward_progress 1
		.amdhsa_inst_pref_size 9
		.amdhsa_round_robin_scheduling 0
		.amdhsa_exception_fp_ieee_invalid_op 0
		.amdhsa_exception_fp_denorm_src 0
		.amdhsa_exception_fp_ieee_div_zero 0
		.amdhsa_exception_fp_ieee_overflow 0
		.amdhsa_exception_fp_ieee_underflow 0
		.amdhsa_exception_fp_ieee_inexact 0
		.amdhsa_exception_int_div_zero 0
	.end_amdhsa_kernel
	.section	.text._ZL33flash_attn_stream_k_fixup_uniformILi72ELi8ELi1EEvPfPK15HIP_vector_typeIfLj2EEiiiiiiS1_IjLj3EES5_S5_,"axG",@progbits,_ZL33flash_attn_stream_k_fixup_uniformILi72ELi8ELi1EEvPfPK15HIP_vector_typeIfLj2EEiiiiiiS1_IjLj3EES5_S5_,comdat
.Lfunc_end63:
	.size	_ZL33flash_attn_stream_k_fixup_uniformILi72ELi8ELi1EEvPfPK15HIP_vector_typeIfLj2EEiiiiiiS1_IjLj3EES5_S5_, .Lfunc_end63-_ZL33flash_attn_stream_k_fixup_uniformILi72ELi8ELi1EEvPfPK15HIP_vector_typeIfLj2EEiiiiiiS1_IjLj3EES5_S5_
                                        ; -- End function
	.set _ZL33flash_attn_stream_k_fixup_uniformILi72ELi8ELi1EEvPfPK15HIP_vector_typeIfLj2EEiiiiiiS1_IjLj3EES5_S5_.num_vgpr, 12
	.set _ZL33flash_attn_stream_k_fixup_uniformILi72ELi8ELi1EEvPfPK15HIP_vector_typeIfLj2EEiiiiiiS1_IjLj3EES5_S5_.num_agpr, 0
	.set _ZL33flash_attn_stream_k_fixup_uniformILi72ELi8ELi1EEvPfPK15HIP_vector_typeIfLj2EEiiiiiiS1_IjLj3EES5_S5_.numbered_sgpr, 21
	.set _ZL33flash_attn_stream_k_fixup_uniformILi72ELi8ELi1EEvPfPK15HIP_vector_typeIfLj2EEiiiiiiS1_IjLj3EES5_S5_.num_named_barrier, 0
	.set _ZL33flash_attn_stream_k_fixup_uniformILi72ELi8ELi1EEvPfPK15HIP_vector_typeIfLj2EEiiiiiiS1_IjLj3EES5_S5_.private_seg_size, 0
	.set _ZL33flash_attn_stream_k_fixup_uniformILi72ELi8ELi1EEvPfPK15HIP_vector_typeIfLj2EEiiiiiiS1_IjLj3EES5_S5_.uses_vcc, 1
	.set _ZL33flash_attn_stream_k_fixup_uniformILi72ELi8ELi1EEvPfPK15HIP_vector_typeIfLj2EEiiiiiiS1_IjLj3EES5_S5_.uses_flat_scratch, 0
	.set _ZL33flash_attn_stream_k_fixup_uniformILi72ELi8ELi1EEvPfPK15HIP_vector_typeIfLj2EEiiiiiiS1_IjLj3EES5_S5_.has_dyn_sized_stack, 0
	.set _ZL33flash_attn_stream_k_fixup_uniformILi72ELi8ELi1EEvPfPK15HIP_vector_typeIfLj2EEiiiiiiS1_IjLj3EES5_S5_.has_recursion, 0
	.set _ZL33flash_attn_stream_k_fixup_uniformILi72ELi8ELi1EEvPfPK15HIP_vector_typeIfLj2EEiiiiiiS1_IjLj3EES5_S5_.has_indirect_call, 0
	.section	.AMDGPU.csdata,"",@progbits
; Kernel info:
; codeLenInByte = 1072
; TotalNumSgprs: 23
; NumVgprs: 12
; ScratchSize: 0
; MemoryBound: 0
; FloatMode: 240
; IeeeMode: 1
; LDSByteSize: 0 bytes/workgroup (compile time only)
; SGPRBlocks: 0
; VGPRBlocks: 0
; NumSGPRsForWavesPerEU: 23
; NumVGPRsForWavesPerEU: 12
; NamedBarCnt: 0
; Occupancy: 16
; WaveLimiterHint : 0
; COMPUTE_PGM_RSRC2:SCRATCH_EN: 0
; COMPUTE_PGM_RSRC2:USER_SGPR: 2
; COMPUTE_PGM_RSRC2:TRAP_HANDLER: 0
; COMPUTE_PGM_RSRC2:TGID_X_EN: 1
; COMPUTE_PGM_RSRC2:TGID_Y_EN: 1
; COMPUTE_PGM_RSRC2:TGID_Z_EN: 1
; COMPUTE_PGM_RSRC2:TIDIG_COMP_CNT: 0
	.section	.text._ZL33flash_attn_stream_k_fixup_generalILi72ELi8ELi1EEvPfPK15HIP_vector_typeIfLj2EEiiiiS1_IjLj3EES5_S5_S5_,"axG",@progbits,_ZL33flash_attn_stream_k_fixup_generalILi72ELi8ELi1EEvPfPK15HIP_vector_typeIfLj2EEiiiiS1_IjLj3EES5_S5_S5_,comdat
	.globl	_ZL33flash_attn_stream_k_fixup_generalILi72ELi8ELi1EEvPfPK15HIP_vector_typeIfLj2EEiiiiS1_IjLj3EES5_S5_S5_ ; -- Begin function _ZL33flash_attn_stream_k_fixup_generalILi72ELi8ELi1EEvPfPK15HIP_vector_typeIfLj2EEiiiiS1_IjLj3EES5_S5_S5_
	.p2align	8
	.type	_ZL33flash_attn_stream_k_fixup_generalILi72ELi8ELi1EEvPfPK15HIP_vector_typeIfLj2EEiiiiS1_IjLj3EES5_S5_S5_,@function
_ZL33flash_attn_stream_k_fixup_generalILi72ELi8ELi1EEvPfPK15HIP_vector_typeIfLj2EEiiiiS1_IjLj3EES5_S5_S5_: ; @_ZL33flash_attn_stream_k_fixup_generalILi72ELi8ELi1EEvPfPK15HIP_vector_typeIfLj2EEiiiiS1_IjLj3EES5_S5_S5_
; %bb.0:
	s_clause 0x1
	s_load_b128 s[4:7], s[0:1], 0x10
	s_load_b32 s16, s[0:1], 0x50
	s_bfe_u32 s2, ttmp6, 0x4000c
	s_and_b32 s3, ttmp6, 15
	s_add_co_i32 s2, s2, 1
	s_getreg_b32 s15, hwreg(HW_REG_IB_STS2, 6, 4)
	s_mul_i32 s2, ttmp9, s2
	s_mov_b32 s17, 0
	s_add_co_i32 s3, s3, s2
	s_cmp_eq_u32 s15, 0
	s_cselect_b32 s2, ttmp9, s3
	s_delay_alu instid0(SALU_CYCLE_1) | instskip(SKIP_3) | instid1(SALU_CYCLE_1)
	s_ashr_i32 s3, s2, 31
	s_wait_kmcnt 0x0
	s_ashr_i32 s19, s7, 31
	s_mov_b32 s18, s7
	s_mul_u64 s[8:9], s[18:19], s[2:3]
	s_delay_alu instid0(SALU_CYCLE_1) | instskip(NEXT) | instid1(SALU_CYCLE_1)
	s_and_b64 s[10:11], s[8:9], 0xffffffff00000000
	s_cmp_lg_u64 s[10:11], 0
	s_cbranch_scc0 .LBB64_21
; %bb.1:
	s_add_nc_u64 s[10:11], s[16:17], 0
	s_mov_b32 s23, s17
	s_xor_b64 s[10:11], s[10:11], 0
	s_mov_b32 s27, s17
	s_cvt_f32_u32 s3, s10
	s_cvt_f32_u32 s7, s11
	s_sub_nc_u64 s[20:21], 0, s[10:11]
	s_delay_alu instid0(SALU_CYCLE_2) | instskip(NEXT) | instid1(SALU_CYCLE_3)
	s_fmamk_f32 s3, s7, 0x4f800000, s3
	v_s_rcp_f32 s3, s3
	s_delay_alu instid0(TRANS32_DEP_1) | instskip(NEXT) | instid1(SALU_CYCLE_3)
	s_mul_f32 s3, s3, 0x5f7ffffc
	s_mul_f32 s7, s3, 0x2f800000
	s_delay_alu instid0(SALU_CYCLE_3) | instskip(NEXT) | instid1(SALU_CYCLE_3)
	s_trunc_f32 s7, s7
	s_fmamk_f32 s3, s7, 0xcf800000, s3
	s_cvt_u32_f32 s13, s7
	s_delay_alu instid0(SALU_CYCLE_2) | instskip(NEXT) | instid1(SALU_CYCLE_3)
	s_cvt_u32_f32 s12, s3
	s_mul_u64 s[24:25], s[20:21], s[12:13]
	s_delay_alu instid0(SALU_CYCLE_1)
	s_mul_hi_u32 s29, s12, s25
	s_mul_i32 s28, s12, s25
	s_mul_hi_u32 s22, s12, s24
	s_mul_i32 s7, s13, s24
	s_add_nc_u64 s[22:23], s[22:23], s[28:29]
	s_mul_hi_u32 s3, s13, s24
	s_mul_hi_u32 s14, s13, s25
	s_add_co_u32 s7, s22, s7
	s_add_co_ci_u32 s26, s23, s3
	s_mul_i32 s24, s13, s25
	s_add_co_ci_u32 s25, s14, 0
	s_delay_alu instid0(SALU_CYCLE_1) | instskip(SKIP_3) | instid1(SALU_CYCLE_1)
	s_add_nc_u64 s[22:23], s[26:27], s[24:25]
	s_mov_b32 s25, s17
	s_add_co_u32 s12, s12, s22
	s_cselect_b32 s3, -1, 0
	s_cmp_lg_u32 s3, 0
	s_add_co_ci_u32 s13, s13, s23
	s_mov_b32 s23, s17
	s_mul_u64 s[20:21], s[20:21], s[12:13]
	s_delay_alu instid0(SALU_CYCLE_1)
	s_mul_hi_u32 s27, s12, s21
	s_mul_i32 s26, s12, s21
	s_mul_hi_u32 s22, s12, s20
	s_mul_i32 s7, s13, s20
	s_add_nc_u64 s[22:23], s[22:23], s[26:27]
	s_mul_hi_u32 s3, s13, s20
	s_mul_hi_u32 s14, s13, s21
	s_add_co_u32 s7, s22, s7
	s_add_co_ci_u32 s24, s23, s3
	s_mul_i32 s20, s13, s21
	s_add_co_ci_u32 s21, s14, 0
	s_mov_b32 s23, s17
	s_add_nc_u64 s[20:21], s[24:25], s[20:21]
	s_delay_alu instid0(SALU_CYCLE_1) | instskip(SKIP_1) | instid1(SALU_CYCLE_1)
	s_add_co_u32 s3, s12, s20
	s_cselect_b32 s7, -1, 0
	s_cmp_lg_u32 s7, 0
	s_add_co_ci_u32 s7, s13, s21
	s_ashr_i32 s12, s9, 31
	s_delay_alu instid0(SALU_CYCLE_1) | instskip(NEXT) | instid1(SALU_CYCLE_1)
	s_mov_b32 s13, s12
	s_add_nc_u64 s[20:21], s[8:9], s[12:13]
	s_delay_alu instid0(SALU_CYCLE_1) | instskip(NEXT) | instid1(SALU_CYCLE_1)
	s_xor_b64 s[20:21], s[20:21], s[12:13]
	s_mul_hi_u32 s27, s20, s7
	s_mul_i32 s26, s20, s7
	s_mul_hi_u32 s22, s20, s3
	s_mul_hi_u32 s14, s21, s3
	s_mul_i32 s3, s21, s3
	s_add_nc_u64 s[22:23], s[22:23], s[26:27]
	s_mul_hi_u32 s9, s21, s7
	s_add_co_u32 s3, s22, s3
	s_add_co_ci_u32 s24, s23, s14
	s_mul_i32 s26, s21, s7
	s_add_co_ci_u32 s27, s9, 0
	s_delay_alu instid0(SALU_CYCLE_1) | instskip(NEXT) | instid1(SALU_CYCLE_1)
	s_add_nc_u64 s[22:23], s[24:25], s[26:27]
	s_and_b64 s[24:25], s[22:23], 0xffffffff00000000
	s_delay_alu instid0(SALU_CYCLE_1) | instskip(NEXT) | instid1(SALU_CYCLE_1)
	s_or_b32 s24, s24, s22
	s_mul_u64 s[22:23], s[10:11], s[24:25]
	s_add_nc_u64 s[26:27], s[24:25], 1
	s_sub_co_u32 s3, s20, s22
	s_cselect_b32 s7, -1, 0
	s_sub_co_i32 s9, s21, s23
	s_cmp_lg_u32 s7, 0
	s_add_nc_u64 s[28:29], s[24:25], 2
	s_sub_co_ci_u32 s9, s9, s11
	s_sub_co_u32 s14, s3, s10
	s_cselect_b32 s20, -1, 0
	s_delay_alu instid0(SALU_CYCLE_1) | instskip(SKIP_1) | instid1(SALU_CYCLE_1)
	s_cmp_lg_u32 s20, 0
	s_sub_co_ci_u32 s9, s9, 0
	s_cmp_ge_u32 s9, s11
	s_cselect_b32 s20, -1, 0
	s_cmp_ge_u32 s14, s10
	s_cselect_b32 s14, -1, 0
	s_cmp_eq_u32 s9, s11
	s_cselect_b32 s9, s14, s20
	s_delay_alu instid0(SALU_CYCLE_1) | instskip(SKIP_4) | instid1(SALU_CYCLE_1)
	s_cmp_lg_u32 s9, 0
	s_cselect_b32 s9, s28, s26
	s_cselect_b32 s14, s29, s27
	s_cmp_lg_u32 s7, 0
	s_sub_co_ci_u32 s7, s21, s23
	s_cmp_ge_u32 s7, s11
	s_cselect_b32 s20, -1, 0
	s_cmp_ge_u32 s3, s10
	s_cselect_b32 s3, -1, 0
	s_cmp_eq_u32 s7, s11
	s_cselect_b32 s3, s3, s20
	s_delay_alu instid0(SALU_CYCLE_1) | instskip(SKIP_4) | instid1(SALU_CYCLE_1)
	s_cmp_lg_u32 s3, 0
	s_mov_b32 s3, s17
	s_cselect_b32 s11, s14, s25
	s_cselect_b32 s10, s9, s24
	s_xor_b64 s[12:13], s[12:13], 0
	s_xor_b64 s[10:11], s[10:11], s[12:13]
	s_delay_alu instid0(SALU_CYCLE_1)
	s_sub_nc_u64 s[20:21], s[10:11], s[12:13]
	s_and_not1_b32 vcc_lo, exec_lo, s3
	s_cbranch_vccnz .LBB64_3
.LBB64_2:
	v_cvt_f32_u32_e32 v1, s16
	s_sub_co_i32 s7, 0, s16
	s_mov_b32 s21, 0
	s_delay_alu instid0(VALU_DEP_1) | instskip(SKIP_1) | instid1(TRANS32_DEP_1)
	v_rcp_iflag_f32_e32 v1, v1
	v_nop
	v_mul_f32_e32 v1, 0x4f7ffffe, v1
	s_delay_alu instid0(VALU_DEP_1) | instskip(NEXT) | instid1(VALU_DEP_1)
	v_cvt_u32_f32_e32 v1, v1
	v_readfirstlane_b32 s3, v1
	s_mul_i32 s7, s7, s3
	s_delay_alu instid0(SALU_CYCLE_1) | instskip(NEXT) | instid1(SALU_CYCLE_1)
	s_mul_hi_u32 s7, s3, s7
	s_add_co_i32 s3, s3, s7
	s_delay_alu instid0(SALU_CYCLE_1) | instskip(NEXT) | instid1(SALU_CYCLE_1)
	s_mul_hi_u32 s3, s8, s3
	s_mul_i32 s7, s3, s16
	s_delay_alu instid0(SALU_CYCLE_1)
	s_sub_co_i32 s7, s8, s7
	s_add_co_i32 s8, s3, 1
	s_sub_co_i32 s9, s7, s16
	s_cmp_ge_u32 s7, s16
	s_cselect_b32 s3, s8, s3
	s_cselect_b32 s7, s9, s7
	s_add_co_i32 s8, s3, 1
	s_cmp_ge_u32 s7, s16
	s_cselect_b32 s20, s8, s3
.LBB64_3:
	s_add_co_i32 s8, s2, 1
	s_delay_alu instid0(SALU_CYCLE_1) | instskip(NEXT) | instid1(SALU_CYCLE_1)
	s_ashr_i32 s9, s8, 31
	s_mul_u64 s[8:9], s[18:19], s[8:9]
	s_delay_alu instid0(SALU_CYCLE_1) | instskip(NEXT) | instid1(SALU_CYCLE_1)
	s_and_b64 s[10:11], s[8:9], 0xffffffff00000000
	s_cmp_lg_u64 s[10:11], 0
	s_cbranch_scc0 .LBB64_22
; %bb.4:
	s_add_nc_u64 s[10:11], s[16:17], 0
	s_delay_alu instid0(SALU_CYCLE_1) | instskip(SKIP_4) | instid1(SALU_CYCLE_2)
	s_xor_b64 s[12:13], s[10:11], 0
	s_mov_b32 s11, 0
	s_cvt_f32_u32 s3, s12
	s_cvt_f32_u32 s7, s13
	s_sub_nc_u64 s[24:25], 0, s[12:13]
	s_fmamk_f32 s3, s7, 0x4f800000, s3
	s_delay_alu instid0(SALU_CYCLE_3) | instskip(NEXT) | instid1(TRANS32_DEP_1)
	v_s_rcp_f32 s3, s3
	s_mul_f32 s3, s3, 0x5f7ffffc
	s_delay_alu instid0(SALU_CYCLE_3) | instskip(NEXT) | instid1(SALU_CYCLE_3)
	s_mul_f32 s7, s3, 0x2f800000
	s_trunc_f32 s7, s7
	s_delay_alu instid0(SALU_CYCLE_3) | instskip(SKIP_1) | instid1(SALU_CYCLE_2)
	s_fmamk_f32 s3, s7, 0xcf800000, s3
	s_cvt_u32_f32 s23, s7
	s_cvt_u32_f32 s22, s3
	s_delay_alu instid0(SALU_CYCLE_3) | instskip(NEXT) | instid1(SALU_CYCLE_1)
	s_mul_u64 s[26:27], s[24:25], s[22:23]
	s_mul_hi_u32 s29, s22, s27
	s_mul_i32 s28, s22, s27
	s_mul_hi_u32 s10, s22, s26
	s_mul_i32 s7, s23, s26
	s_add_nc_u64 s[28:29], s[10:11], s[28:29]
	s_mul_hi_u32 s3, s23, s26
	s_mul_hi_u32 s14, s23, s27
	s_add_co_u32 s7, s28, s7
	s_add_co_ci_u32 s10, s29, s3
	s_mul_i32 s26, s23, s27
	s_add_co_ci_u32 s27, s14, 0
	s_delay_alu instid0(SALU_CYCLE_1) | instskip(NEXT) | instid1(SALU_CYCLE_1)
	s_add_nc_u64 s[26:27], s[10:11], s[26:27]
	s_add_co_u32 s22, s22, s26
	s_cselect_b32 s3, -1, 0
	s_delay_alu instid0(SALU_CYCLE_1) | instskip(SKIP_1) | instid1(SALU_CYCLE_1)
	s_cmp_lg_u32 s3, 0
	s_add_co_ci_u32 s23, s23, s27
	s_mul_u64 s[24:25], s[24:25], s[22:23]
	s_delay_alu instid0(SALU_CYCLE_1)
	s_mul_hi_u32 s27, s22, s25
	s_mul_i32 s26, s22, s25
	s_mul_hi_u32 s10, s22, s24
	s_mul_i32 s7, s23, s24
	s_add_nc_u64 s[26:27], s[10:11], s[26:27]
	s_mul_hi_u32 s3, s23, s24
	s_mul_hi_u32 s14, s23, s25
	s_add_co_u32 s7, s26, s7
	s_add_co_ci_u32 s10, s27, s3
	s_mul_i32 s24, s23, s25
	s_add_co_ci_u32 s25, s14, 0
	s_delay_alu instid0(SALU_CYCLE_1) | instskip(NEXT) | instid1(SALU_CYCLE_1)
	s_add_nc_u64 s[24:25], s[10:11], s[24:25]
	s_add_co_u32 s3, s22, s24
	s_cselect_b32 s7, -1, 0
	s_delay_alu instid0(SALU_CYCLE_1) | instskip(SKIP_2) | instid1(SALU_CYCLE_1)
	s_cmp_lg_u32 s7, 0
	s_add_co_ci_u32 s7, s23, s25
	s_ashr_i32 s22, s9, 31
	s_mov_b32 s23, s22
	s_delay_alu instid0(SALU_CYCLE_1) | instskip(NEXT) | instid1(SALU_CYCLE_1)
	s_add_nc_u64 s[24:25], s[8:9], s[22:23]
	s_xor_b64 s[24:25], s[24:25], s[22:23]
	s_delay_alu instid0(SALU_CYCLE_1)
	s_mul_hi_u32 s27, s24, s7
	s_mul_i32 s26, s24, s7
	s_mul_hi_u32 s10, s24, s3
	s_mul_hi_u32 s14, s25, s3
	s_mul_i32 s3, s25, s3
	s_add_nc_u64 s[26:27], s[10:11], s[26:27]
	s_mul_hi_u32 s9, s25, s7
	s_add_co_u32 s3, s26, s3
	s_add_co_ci_u32 s10, s27, s14
	s_mul_i32 s28, s25, s7
	s_add_co_ci_u32 s29, s9, 0
	s_delay_alu instid0(SALU_CYCLE_1) | instskip(NEXT) | instid1(SALU_CYCLE_1)
	s_add_nc_u64 s[26:27], s[10:11], s[28:29]
	s_and_b64 s[28:29], s[26:27], 0xffffffff00000000
	s_delay_alu instid0(SALU_CYCLE_1) | instskip(NEXT) | instid1(SALU_CYCLE_1)
	s_or_b32 s28, s28, s26
	s_mul_u64 s[26:27], s[12:13], s[28:29]
	s_add_nc_u64 s[30:31], s[28:29], 1
	s_sub_co_u32 s3, s24, s26
	s_cselect_b32 s7, -1, 0
	s_sub_co_i32 s9, s25, s27
	s_cmp_lg_u32 s7, 0
	s_add_nc_u64 s[34:35], s[28:29], 2
	s_sub_co_ci_u32 s9, s9, s13
	s_sub_co_u32 s10, s3, s12
	s_cselect_b32 s14, -1, 0
	s_delay_alu instid0(SALU_CYCLE_1) | instskip(SKIP_1) | instid1(SALU_CYCLE_1)
	s_cmp_lg_u32 s14, 0
	s_sub_co_ci_u32 s9, s9, 0
	s_cmp_ge_u32 s9, s13
	s_cselect_b32 s14, -1, 0
	s_cmp_ge_u32 s10, s12
	s_cselect_b32 s10, -1, 0
	s_cmp_eq_u32 s9, s13
	s_cselect_b32 s9, s10, s14
	s_delay_alu instid0(SALU_CYCLE_1) | instskip(SKIP_4) | instid1(SALU_CYCLE_1)
	s_cmp_lg_u32 s9, 0
	s_cselect_b32 s9, s34, s30
	s_cselect_b32 s10, s35, s31
	s_cmp_lg_u32 s7, 0
	s_sub_co_ci_u32 s7, s25, s27
	s_cmp_ge_u32 s7, s13
	s_cselect_b32 s14, -1, 0
	s_cmp_ge_u32 s3, s12
	s_cselect_b32 s3, -1, 0
	s_cmp_eq_u32 s7, s13
	s_cselect_b32 s3, s3, s14
	s_delay_alu instid0(SALU_CYCLE_1) | instskip(SKIP_3) | instid1(SALU_CYCLE_1)
	s_cmp_lg_u32 s3, 0
	s_cselect_b32 s13, s10, s29
	s_cselect_b32 s12, s9, s28
	s_xor_b64 s[22:23], s[22:23], 0
	s_xor_b64 s[12:13], s[12:13], s[22:23]
	s_delay_alu instid0(SALU_CYCLE_1)
	s_sub_nc_u64 s[24:25], s[12:13], s[22:23]
	s_load_b96 s[12:14], s[0:1], 0x44
	s_cbranch_execnz .LBB64_6
.LBB64_5:
	v_cvt_f32_u32_e32 v1, s16
	s_sub_co_i32 s7, 0, s16
	s_delay_alu instid0(VALU_DEP_1) | instskip(SKIP_1) | instid1(TRANS32_DEP_1)
	v_rcp_iflag_f32_e32 v1, v1
	v_nop
	v_mul_f32_e32 v1, 0x4f7ffffe, v1
	s_delay_alu instid0(VALU_DEP_1) | instskip(NEXT) | instid1(VALU_DEP_1)
	v_cvt_u32_f32_e32 v1, v1
	v_readfirstlane_b32 s3, v1
	s_mul_i32 s7, s7, s3
	s_delay_alu instid0(SALU_CYCLE_1) | instskip(NEXT) | instid1(SALU_CYCLE_1)
	s_mul_hi_u32 s7, s3, s7
	s_add_co_i32 s3, s3, s7
	s_delay_alu instid0(SALU_CYCLE_1) | instskip(NEXT) | instid1(SALU_CYCLE_1)
	s_mul_hi_u32 s3, s8, s3
	s_mul_i32 s7, s3, s16
	s_delay_alu instid0(SALU_CYCLE_1)
	s_sub_co_i32 s7, s8, s7
	s_add_co_i32 s8, s3, 1
	s_sub_co_i32 s9, s7, s16
	s_cmp_ge_u32 s7, s16
	s_cselect_b32 s3, s8, s3
	s_cselect_b32 s7, s9, s7
	s_add_co_i32 s8, s3, 1
	s_cmp_ge_u32 s7, s16
	s_cselect_b32 s24, s8, s3
.LBB64_6:
	s_delay_alu instid0(SALU_CYCLE_1)
	s_cmp_eq_u32 s20, s24
	s_mov_b64 s[8:9], 0xffffffff
	s_cselect_b32 s3, -1, 0
	s_and_b64 s[8:9], s[20:21], s[8:9]
	s_mov_b32 s23, 0
	s_wait_kmcnt 0x0
	s_mov_b32 s22, s12
	s_mov_b32 s25, s23
	s_mul_u64 s[10:11], s[8:9], s[22:23]
	s_delay_alu instid0(SALU_CYCLE_1) | instskip(SKIP_2) | instid1(SALU_CYCLE_1)
	s_add_co_i32 s7, s11, s20
	s_mul_u64 s[10:11], s[24:25], s[22:23]
	s_lshr_b32 s12, s7, s13
	s_mul_i32 s7, s12, s14
	s_delay_alu instid0(SALU_CYCLE_1) | instskip(SKIP_2) | instid1(SALU_CYCLE_1)
	s_cmp_eq_u32 s7, s20
	s_cselect_b32 s7, -1, 0
	s_add_co_i32 s10, s11, s24
	s_lshr_b32 s10, s10, s13
	s_delay_alu instid0(SALU_CYCLE_1)
	s_cmp_eq_u32 s12, s10
	s_mul_i32 s10, s10, s14
	s_cselect_b32 s11, -1, 0
	s_cmp_lg_u32 s10, s24
	s_cselect_b32 s10, -1, 0
	s_or_b32 s3, s3, s7
	s_and_b32 s10, s11, s10
	s_delay_alu instid0(SALU_CYCLE_1) | instskip(NEXT) | instid1(SALU_CYCLE_1)
	s_or_b32 s3, s3, s10
	s_and_b32 vcc_lo, exec_lo, s3
	s_cbranch_vccnz .LBB64_24
; %bb.7:
	s_load_b256 s[24:31], s[0:1], 0x20
	s_bfe_u32 s7, ttmp6, 0x40014
	s_bfe_u32 s33, ttmp6, 0x40010
	s_lshr_b32 s3, ttmp7, 16
	s_add_co_i32 s7, s7, 1
	s_and_b32 s21, ttmp7, 0xffff
	s_add_co_i32 s33, s33, 1
	s_bfe_u32 s10, ttmp6, 0x40008
	s_mul_i32 s7, s3, s7
	s_bfe_u32 s34, ttmp6, 0x40004
	s_mul_i32 s33, s21, s33
	s_mov_b32 s11, s23
	s_add_co_i32 s7, s10, s7
	s_add_co_i32 s34, s34, s33
	s_cmp_eq_u32 s15, 0
	s_cselect_b32 s15, s21, s34
	s_cselect_b32 s3, s3, s7
	s_wait_kmcnt 0x0
	s_mov_b32 s10, s24
	s_delay_alu instid0(SALU_CYCLE_1) | instskip(SKIP_2) | instid1(SALU_CYCLE_1)
	s_mul_u64 s[8:9], s[8:9], s[10:11]
	s_load_b32 s8, s[0:1], 0x40
	s_add_co_i32 s7, s9, s20
	s_lshr_b32 s7, s7, s25
	s_delay_alu instid0(SALU_CYCLE_1) | instskip(NEXT) | instid1(SALU_CYCLE_1)
	s_mul_i32 s9, s7, s26
	s_sub_co_i32 s9, s20, s9
	s_delay_alu instid0(SALU_CYCLE_1) | instskip(NEXT) | instid1(SALU_CYCLE_1)
	s_mul_hi_u32 s10, s9, s27
	s_add_co_i32 s10, s9, s10
	s_delay_alu instid0(SALU_CYCLE_1) | instskip(NEXT) | instid1(SALU_CYCLE_1)
	s_lshr_b32 s21, s10, s28
	s_mul_i32 s10, s21, s29
	s_delay_alu instid0(SALU_CYCLE_1) | instskip(NEXT) | instid1(SALU_CYCLE_1)
	s_sub_co_i32 s10, s9, s10
	s_mul_hi_u32 s9, s10, s30
	s_delay_alu instid0(SALU_CYCLE_1) | instskip(NEXT) | instid1(SALU_CYCLE_1)
	s_add_co_i32 s9, s10, s9
	s_lshr_b32 s25, s9, s31
	s_mov_b32 s9, s23
	s_wait_kmcnt 0x0
	s_mul_i32 s8, s25, s8
	s_delay_alu instid0(SALU_CYCLE_1) | instskip(NEXT) | instid1(SALU_CYCLE_1)
	s_sub_co_i32 s8, s10, s8
	s_mul_u64 s[10:11], s[8:9], s[22:23]
	s_delay_alu instid0(SALU_CYCLE_1) | instskip(NEXT) | instid1(SALU_CYCLE_1)
	s_add_co_i32 s8, s8, s11
	s_lshr_b32 s24, s8, s13
	s_delay_alu instid0(SALU_CYCLE_1) | instskip(NEXT) | instid1(SALU_CYCLE_1)
	s_lshl_b32 s8, s24, 3
	s_add_co_i32 s8, s8, s15
	s_delay_alu instid0(SALU_CYCLE_1) | instskip(SKIP_2) | instid1(SALU_CYCLE_1)
	s_cmp_lt_i32 s8, s4
	s_cselect_b32 s8, -1, 0
	s_add_co_i32 s25, s25, s3
	s_cmp_lt_i32 s25, s6
	s_cselect_b32 s9, -1, 0
	s_delay_alu instid0(SALU_CYCLE_1) | instskip(NEXT) | instid1(SALU_CYCLE_1)
	s_and_b32 s8, s8, s9
	s_and_not1_b32 vcc_lo, exec_lo, s8
	s_cbranch_vccnz .LBB64_24
; %bb.8:
	s_load_b128 s[8:11], s[0:1], 0x0
	s_wait_xcnt 0x0
	s_mul_i32 s0, s7, s4
	s_mul_i32 s21, s21, s6
	s_add_co_i32 s0, s0, s15
	s_add_co_i32 s1, s25, s21
	s_mul_i32 s0, s0, s5
	s_mul_i32 s4, s5, s24
	s_add_co_i32 s0, s1, s0
	s_mulk_i32 s4, 0x240
	s_mulk_i32 s0, 0x48
	s_add_co_i32 s15, s15, s3
	v_add3_u32 v2, s4, s0, v0
	s_add_nc_u64 s[0:1], s[16:17], 0
	v_cvt_f32_u32_e32 v4, s16
	s_xor_b64 s[6:7], s[0:1], 0
	s_lshl_b32 s0, s2, 3
	s_cvt_f32_u32 s3, s6
	s_cvt_f32_u32 s4, s7
	s_add_co_i32 s0, s0, s15
	v_rcp_iflag_f32_e32 v4, v4
	s_wait_kmcnt 0x0
	global_load_b32 v1, v2, s[8:9] scale_offset
	s_fmamk_f32 s3, s4, 0x4f800000, s3
	s_ashr_i32 s1, s0, 31
	s_lshl_b32 s24, s16, 5
	s_lshl_b64 s[0:1], s[0:1], 3
	v_s_rcp_f32 s3, s3
	s_add_nc_u64 s[0:1], s[10:11], s[0:1]
	s_mov_b32 s25, 0
	s_load_b64 s[28:29], s[0:1], 0x0
	v_mad_u32 v6, 0x48, s15, v0
	v_dual_mul_f32 v4, 0x4f7ffffe, v4 :: v_dual_ashrrev_i32 v3, 31, v2
	s_wait_xcnt 0x0
	s_lshl_b64 s[0:1], s[24:25], 2
	s_mul_f32 s3, s3, 0x5f7ffffc
	s_add_nc_u64 s[26:27], s[10:11], s[0:1]
	v_lshl_add_u64 v[2:3], v[2:3], 2, s[8:9]
	v_cvt_u32_f32_e32 v7, v4
	s_mul_f32 s4, s3, 0x2f800000
	s_mov_b64 s[8:9], 0xffffffff
	s_add_co_i32 s36, s2, -1
	s_sub_nc_u64 s[34:35], 0, s[6:7]
	s_trunc_f32 s4, s4
	s_delay_alu instid0(SALU_CYCLE_3)
	s_fmamk_f32 s0, s4, 0xcf800000, s3
	s_cvt_u32_f32 s31, s4
	s_wait_kmcnt 0x0
	v_mov_b32_e32 v0, s29
	s_cvt_u32_f32 s30, s0
.LBB64_9:                               ; =>This Inner Loop Header: Depth=1
	s_ashr_i32 s37, s36, 31
                                        ; implicit-def: $sgpr40_sgpr41
	s_delay_alu instid0(SALU_CYCLE_1) | instskip(NEXT) | instid1(SALU_CYCLE_1)
	s_mul_u64 s[0:1], s[36:37], s[18:19]
	s_and_b64 s[2:3], s[0:1], 0xffffffff00000000
	s_delay_alu instid0(SALU_CYCLE_1)
	s_cmp_lg_u64 s[2:3], 0
	s_mov_b32 s2, -1
	s_cbranch_scc0 .LBB64_11
; %bb.10:                               ;   in Loop: Header=BB64_9 Depth=1
	s_mul_u64 s[2:3], s[34:35], s[30:31]
	s_delay_alu instid0(SALU_CYCLE_1)
	s_mul_hi_u32 s5, s30, s3
	s_mul_i32 s4, s30, s3
	s_mul_hi_u32 s24, s30, s2
	s_mul_hi_u32 s17, s31, s2
	s_add_nc_u64 s[4:5], s[24:25], s[4:5]
	s_mul_i32 s2, s31, s2
	s_mul_hi_u32 s21, s31, s3
	s_add_co_u32 s2, s4, s2
	s_add_co_ci_u32 s24, s5, s17
	s_add_co_ci_u32 s5, s21, 0
	s_mul_i32 s4, s31, s3
	s_delay_alu instid0(SALU_CYCLE_1) | instskip(NEXT) | instid1(SALU_CYCLE_1)
	s_add_nc_u64 s[2:3], s[24:25], s[4:5]
	s_add_co_u32 s2, s30, s2
	s_cselect_b32 s4, -1, 0
	s_delay_alu instid0(SALU_CYCLE_1) | instskip(SKIP_1) | instid1(SALU_CYCLE_1)
	s_cmp_lg_u32 s4, 0
	s_add_co_ci_u32 s3, s31, s3
	s_mul_u64 s[4:5], s[34:35], s[2:3]
	s_delay_alu instid0(SALU_CYCLE_1)
	s_mul_hi_u32 s39, s2, s5
	s_mul_i32 s38, s2, s5
	s_mul_hi_u32 s24, s2, s4
	s_mul_hi_u32 s17, s3, s4
	s_mul_i32 s4, s3, s4
	s_add_nc_u64 s[38:39], s[24:25], s[38:39]
	s_mul_hi_u32 s21, s3, s5
	s_add_co_u32 s4, s38, s4
	s_add_co_ci_u32 s24, s39, s17
	s_mul_i32 s4, s3, s5
	s_add_co_ci_u32 s5, s21, 0
	s_delay_alu instid0(SALU_CYCLE_1) | instskip(NEXT) | instid1(SALU_CYCLE_1)
	s_add_nc_u64 s[4:5], s[24:25], s[4:5]
	s_add_co_u32 s17, s2, s4
	s_cselect_b32 s2, -1, 0
	s_delay_alu instid0(SALU_CYCLE_1) | instskip(SKIP_2) | instid1(SALU_CYCLE_1)
	s_cmp_lg_u32 s2, 0
	s_add_co_ci_u32 s21, s3, s5
	s_ashr_i32 s2, s1, 31
	s_mov_b32 s3, s2
	s_delay_alu instid0(SALU_CYCLE_1) | instskip(NEXT) | instid1(SALU_CYCLE_1)
	s_add_nc_u64 s[4:5], s[0:1], s[2:3]
	s_xor_b64 s[4:5], s[4:5], s[2:3]
	s_delay_alu instid0(SALU_CYCLE_1)
	s_mul_hi_u32 s39, s4, s21
	s_mul_i32 s38, s4, s21
	s_mul_hi_u32 s24, s4, s17
	s_mul_hi_u32 s29, s5, s17
	s_mul_i32 s17, s5, s17
	s_add_nc_u64 s[38:39], s[24:25], s[38:39]
	s_mul_hi_u32 s1, s5, s21
	s_add_co_u32 s17, s38, s17
	s_add_co_ci_u32 s24, s39, s29
	s_mul_i32 s40, s5, s21
	s_add_co_ci_u32 s41, s1, 0
	s_delay_alu instid0(SALU_CYCLE_1) | instskip(NEXT) | instid1(SALU_CYCLE_1)
	s_add_nc_u64 s[38:39], s[24:25], s[40:41]
	s_and_b64 s[40:41], s[38:39], 0xffffffff00000000
	s_delay_alu instid0(SALU_CYCLE_1) | instskip(NEXT) | instid1(SALU_CYCLE_1)
	s_or_b32 s40, s40, s38
	s_mul_u64 s[38:39], s[6:7], s[40:41]
	s_add_nc_u64 s[42:43], s[40:41], 1
	s_sub_co_u32 s1, s4, s38
	s_cselect_b32 s4, -1, 0
	s_sub_co_i32 s17, s5, s39
	s_cmp_lg_u32 s4, 0
	s_add_nc_u64 s[44:45], s[40:41], 2
	s_sub_co_ci_u32 s17, s17, s7
	s_sub_co_u32 s21, s1, s6
	s_cselect_b32 s24, -1, 0
	s_delay_alu instid0(SALU_CYCLE_1) | instskip(SKIP_1) | instid1(SALU_CYCLE_1)
	s_cmp_lg_u32 s24, 0
	s_sub_co_ci_u32 s17, s17, 0
	s_cmp_ge_u32 s17, s7
	s_cselect_b32 s24, -1, 0
	s_cmp_ge_u32 s21, s6
	s_cselect_b32 s21, -1, 0
	s_cmp_eq_u32 s17, s7
	s_cselect_b32 s17, s21, s24
	s_delay_alu instid0(SALU_CYCLE_1) | instskip(SKIP_4) | instid1(SALU_CYCLE_1)
	s_cmp_lg_u32 s17, 0
	s_cselect_b32 s17, s44, s42
	s_cselect_b32 s21, s45, s43
	s_cmp_lg_u32 s4, 0
	s_sub_co_ci_u32 s4, s5, s39
	s_cmp_ge_u32 s4, s7
	s_cselect_b32 s5, -1, 0
	s_cmp_ge_u32 s1, s6
	s_cselect_b32 s1, -1, 0
	s_cmp_eq_u32 s4, s7
	s_cselect_b32 s1, s1, s5
	s_delay_alu instid0(SALU_CYCLE_1) | instskip(SKIP_3) | instid1(SALU_CYCLE_1)
	s_cmp_lg_u32 s1, 0
	s_cselect_b32 s5, s21, s41
	s_cselect_b32 s4, s17, s40
	s_xor_b64 s[2:3], s[2:3], 0
	s_xor_b64 s[4:5], s[4:5], s[2:3]
	s_delay_alu instid0(SALU_CYCLE_1)
	s_sub_nc_u64 s[40:41], s[4:5], s[2:3]
	s_mov_b32 s2, 0
.LBB64_11:                              ;   in Loop: Header=BB64_9 Depth=1
	s_delay_alu instid0(SALU_CYCLE_1)
	s_and_not1_b32 vcc_lo, exec_lo, s2
	s_cbranch_vccnz .LBB64_13
; %bb.12:                               ;   in Loop: Header=BB64_9 Depth=1
	v_readfirstlane_b32 s1, v7
	s_sub_co_i32 s2, 0, s16
	s_delay_alu instid0(SALU_CYCLE_1) | instskip(NEXT) | instid1(SALU_CYCLE_1)
	s_mul_i32 s2, s2, s1
	s_mul_hi_u32 s2, s1, s2
	s_delay_alu instid0(SALU_CYCLE_1) | instskip(NEXT) | instid1(SALU_CYCLE_1)
	s_add_co_i32 s1, s1, s2
	s_mul_hi_u32 s1, s0, s1
	s_delay_alu instid0(SALU_CYCLE_1) | instskip(NEXT) | instid1(SALU_CYCLE_1)
	s_mul_i32 s2, s1, s16
	s_sub_co_i32 s0, s0, s2
	s_add_co_i32 s2, s1, 1
	s_sub_co_i32 s3, s0, s16
	s_cmp_ge_u32 s0, s16
	s_cselect_b32 s1, s2, s1
	s_cselect_b32 s0, s3, s0
	s_add_co_i32 s2, s1, 1
	s_cmp_ge_u32 s0, s16
	s_cselect_b32 s24, s2, s1
	s_delay_alu instid0(SALU_CYCLE_1)
	s_mov_b64 s[40:41], s[24:25]
.LBB64_13:                              ;   in Loop: Header=BB64_9 Depth=1
	s_delay_alu instid0(SALU_CYCLE_1)
	s_cmp_lg_u32 s20, s40
	s_mov_b32 s0, -1
                                        ; implicit-def: $vgpr4_vgpr5
                                        ; implicit-def: $sgpr24
                                        ; implicit-def: $sgpr17
                                        ; implicit-def: $sgpr21
                                        ; implicit-def: $sgpr29
	s_cbranch_scc0 .LBB64_18
; %bb.14:                               ;   in Loop: Header=BB64_9 Depth=1
	s_add_co_i32 s0, s36, s16
	v_max_num_f32_e64 v4, s28, s28
	s_lshl_b32 s0, s0, 3
	s_mov_b32 s29, s20
	s_add_co_i32 s0, s0, s15
	s_load_b64 s[38:39], s[10:11], s0 offset:0x0 scale_offset
	s_wait_xcnt 0x0
	v_readfirstlane_b32 s0, v4
	s_wait_kmcnt 0x0
	v_max_num_f32_e64 v5, s38, s38
	s_delay_alu instid0(VALU_DEP_1) | instskip(SKIP_1) | instid1(SALU_CYCLE_3)
	v_readfirstlane_b32 s1, v5
	s_max_num_f32 s17, s0, s1
	s_sub_f32 s33, s28, s17
	s_sub_f32 s37, s38, s17
	s_delay_alu instid0(SALU_CYCLE_2)
	s_cmp_nlt_f32 s33, 0xc2ce8ed0
	s_cselect_b32 s1, -1, 0
	s_cmp_ngt_f32 s33, 0x42b17218
	s_cselect_b32 s2, -1, 0
	s_cmp_ge_f32 s33, 0xc1a00000
	s_cselect_b32 s0, -1, 0
	s_cmp_nlt_f32 s37, 0xc2ce8ed0
	s_cselect_b32 s3, -1, 0
	s_cmp_ngt_f32 s37, 0x42b17218
	s_cselect_b32 s4, -1, 0
	s_cmp_ge_f32 s37, 0xc1a00000
	s_cselect_b32 s5, -1, 0
	s_and_b64 s[42:43], s[40:41], s[8:9]
	s_delay_alu instid0(SALU_CYCLE_1) | instskip(NEXT) | instid1(SALU_CYCLE_1)
	s_mul_u64 s[42:43], s[42:43], s[22:23]
	s_add_co_i32 s21, s43, s40
	s_delay_alu instid0(SALU_CYCLE_1) | instskip(NEXT) | instid1(SALU_CYCLE_1)
	s_lshr_b32 s21, s21, s13
	s_mul_i32 s24, s21, s14
	s_delay_alu instid0(SALU_CYCLE_1) | instskip(SKIP_3) | instid1(SALU_CYCLE_1)
	s_cmp_eq_u32 s24, s40
	s_cselect_b32 s24, -1, 0
	s_cmp_lt_u32 s21, s12
	s_cselect_b32 s21, -1, 0
	s_or_b32 s21, s21, s24
	s_mov_b32 s24, -1
	s_and_b32 vcc_lo, exec_lo, s21
	s_mov_b32 s21, s36
	s_cbranch_vccnz .LBB64_16
; %bb.15:                               ;   in Loop: Header=BB64_9 Depth=1
	s_add_co_i32 s21, s36, -1
	s_mov_b32 s24, 0
	s_mov_b32 s29, s40
.LBB64_16:                              ;   in Loop: Header=BB64_9 Depth=1
	v_mad_u32 v4, 0x240, s36, v6
	s_mul_f32 s40, s33, 0x3fb8aa3b
	s_mul_f32 s38, s37, 0x3fb8aa3b
	s_delay_alu instid0(SALU_CYCLE_2)
	s_xor_b32 s42, s40, 0x80000000
	s_rndne_f32 s44, s40
	s_fmamk_f32 s42, s33, 0x3fb8aa3b, s42
	s_xor_b32 s41, s38, 0x80000000
	s_rndne_f32 s43, s38
	s_sub_f32 s40, s40, s44
	global_load_b32 v5, v4, s[26:27] scale_offset
	s_fmamk_f32 s33, s33, 0x32a5705f, s42
	s_fmamk_f32 s41, s37, 0x3fb8aa3b, s41
	s_sub_f32 s38, s38, s43
	s_delay_alu instid0(SALU_CYCLE_1) | instskip(NEXT) | instid1(SALU_CYCLE_1)
	s_add_f32 s33, s40, s33
	s_fmamk_f32 s37, s37, 0x32a5705f, s41
	s_cvt_i32_f32 s40, s44
	s_delay_alu instid0(SALU_CYCLE_1) | instskip(NEXT) | instid1(SALU_CYCLE_1)
	v_s_exp_f32 s33, s33
	s_add_f32 s37, s38, s37
	s_cvt_i32_f32 s38, s43
	s_delay_alu instid0(SALU_CYCLE_2) | instskip(NEXT) | instid1(TRANS32_DEP_2)
	v_s_exp_f32 s37, s37
	v_ldexp_f32 v8, s33, s40
	s_wait_xcnt 0x0
	s_delay_alu instid0(TRANS32_DEP_1) | instskip(NEXT) | instid1(VALU_DEP_2)
	v_ldexp_f32 v4, s37, s38
	v_cndmask_b32_e64 v8, 0, v8, s1
	s_delay_alu instid0(VALU_DEP_1) | instskip(NEXT) | instid1(VALU_DEP_1)
	v_cndmask_b32_e64 v9, 0x7f800000, v8, s2
	v_dual_cndmask_b32 v4, 0, v4, s3 :: v_dual_cndmask_b32 v10, 0, v9, s0
	s_delay_alu instid0(VALU_DEP_1) | instskip(NEXT) | instid1(VALU_DEP_1)
	v_cndmask_b32_e64 v4, 0x7f800000, v4, s4
	v_dual_cndmask_b32 v8, 0, v4, s5 :: v_dual_mov_b32 v4, s39
	s_wait_loadcnt 0x0
	s_delay_alu instid0(VALU_DEP_1) | instskip(NEXT) | instid1(VALU_DEP_1)
	v_pk_mul_f32 v[4:5], v[4:5], v[8:9] op_sel_hi:[1,0]
	v_pk_fma_f32 v[4:5], v[0:1], v[10:11], v[4:5] op_sel_hi:[1,0,1]
	s_cbranch_execz .LBB64_19
.LBB64_17:                              ;   in Loop: Header=BB64_9 Depth=1
	s_and_not1_b32 vcc_lo, exec_lo, s24
	s_cbranch_vccnz .LBB64_20
	s_branch .LBB64_23
.LBB64_18:                              ;   in Loop: Header=BB64_9 Depth=1
	s_and_not1_b32 vcc_lo, exec_lo, s0
	s_cbranch_vccnz .LBB64_17
.LBB64_19:                              ;   in Loop: Header=BB64_9 Depth=1
	s_wait_loadcnt 0x0
	v_mov_b64_e32 v[4:5], v[0:1]
	s_add_co_i32 s21, s36, -1
	s_mov_b32 s29, s20
	s_mov_b32 s17, s28
	s_cbranch_execz .LBB64_23
.LBB64_20:                              ;   in Loop: Header=BB64_9 Depth=1
	s_wait_loadcnt 0x0
	s_delay_alu instid0(VALU_DEP_1)
	v_mov_b64_e32 v[0:1], v[4:5]
	s_mov_b32 s20, s29
	s_mov_b32 s36, s21
	;; [unrolled: 1-line block ×3, first 2 shown]
	s_branch .LBB64_9
.LBB64_21:
                                        ; implicit-def: $sgpr20_sgpr21
	s_branch .LBB64_2
.LBB64_22:
                                        ; implicit-def: $sgpr24_sgpr25
	s_load_b96 s[12:14], s[0:1], 0x44
	s_branch .LBB64_5
.LBB64_23:
	s_delay_alu instid0(VALU_DEP_1) | instskip(SKIP_1) | instid1(VALU_DEP_1)
	v_div_scale_f32 v0, null, v4, v4, v5
	s_wait_loadcnt 0x0
	v_rcp_f32_e32 v1, v0
	v_nop
	s_delay_alu instid0(TRANS32_DEP_1) | instskip(NEXT) | instid1(VALU_DEP_1)
	v_fma_f32 v6, -v0, v1, 1.0
	v_fmac_f32_e32 v1, v6, v1
	v_div_scale_f32 v6, vcc_lo, v5, v4, v5
	s_delay_alu instid0(VALU_DEP_1) | instskip(NEXT) | instid1(VALU_DEP_1)
	v_mul_f32_e32 v7, v6, v1
	v_fma_f32 v8, -v0, v7, v6
	s_delay_alu instid0(VALU_DEP_1) | instskip(NEXT) | instid1(VALU_DEP_1)
	v_fmac_f32_e32 v7, v8, v1
	v_fma_f32 v0, -v0, v7, v6
	s_delay_alu instid0(VALU_DEP_1) | instskip(NEXT) | instid1(VALU_DEP_1)
	v_div_fmas_f32 v0, v0, v1, v7
	v_div_fixup_f32 v0, v0, v4, v5
	global_store_b32 v[2:3], v0, off
.LBB64_24:
	s_endpgm
	.section	.rodata,"a",@progbits
	.p2align	6, 0x0
	.amdhsa_kernel _ZL33flash_attn_stream_k_fixup_generalILi72ELi8ELi1EEvPfPK15HIP_vector_typeIfLj2EEiiiiS1_IjLj3EES5_S5_S5_
		.amdhsa_group_segment_fixed_size 0
		.amdhsa_private_segment_fixed_size 0
		.amdhsa_kernarg_size 336
		.amdhsa_user_sgpr_count 2
		.amdhsa_user_sgpr_dispatch_ptr 0
		.amdhsa_user_sgpr_queue_ptr 0
		.amdhsa_user_sgpr_kernarg_segment_ptr 1
		.amdhsa_user_sgpr_dispatch_id 0
		.amdhsa_user_sgpr_kernarg_preload_length 0
		.amdhsa_user_sgpr_kernarg_preload_offset 0
		.amdhsa_user_sgpr_private_segment_size 0
		.amdhsa_wavefront_size32 1
		.amdhsa_uses_dynamic_stack 0
		.amdhsa_enable_private_segment 0
		.amdhsa_system_sgpr_workgroup_id_x 1
		.amdhsa_system_sgpr_workgroup_id_y 1
		.amdhsa_system_sgpr_workgroup_id_z 1
		.amdhsa_system_sgpr_workgroup_info 0
		.amdhsa_system_vgpr_workitem_id 0
		.amdhsa_next_free_vgpr 12
		.amdhsa_next_free_sgpr 46
		.amdhsa_named_barrier_count 0
		.amdhsa_reserve_vcc 1
		.amdhsa_float_round_mode_32 0
		.amdhsa_float_round_mode_16_64 0
		.amdhsa_float_denorm_mode_32 3
		.amdhsa_float_denorm_mode_16_64 3
		.amdhsa_fp16_overflow 0
		.amdhsa_memory_ordered 1
		.amdhsa_forward_progress 1
		.amdhsa_inst_pref_size 27
		.amdhsa_round_robin_scheduling 0
		.amdhsa_exception_fp_ieee_invalid_op 0
		.amdhsa_exception_fp_denorm_src 0
		.amdhsa_exception_fp_ieee_div_zero 0
		.amdhsa_exception_fp_ieee_overflow 0
		.amdhsa_exception_fp_ieee_underflow 0
		.amdhsa_exception_fp_ieee_inexact 0
		.amdhsa_exception_int_div_zero 0
	.end_amdhsa_kernel
	.section	.text._ZL33flash_attn_stream_k_fixup_generalILi72ELi8ELi1EEvPfPK15HIP_vector_typeIfLj2EEiiiiS1_IjLj3EES5_S5_S5_,"axG",@progbits,_ZL33flash_attn_stream_k_fixup_generalILi72ELi8ELi1EEvPfPK15HIP_vector_typeIfLj2EEiiiiS1_IjLj3EES5_S5_S5_,comdat
.Lfunc_end64:
	.size	_ZL33flash_attn_stream_k_fixup_generalILi72ELi8ELi1EEvPfPK15HIP_vector_typeIfLj2EEiiiiS1_IjLj3EES5_S5_S5_, .Lfunc_end64-_ZL33flash_attn_stream_k_fixup_generalILi72ELi8ELi1EEvPfPK15HIP_vector_typeIfLj2EEiiiiS1_IjLj3EES5_S5_S5_
                                        ; -- End function
	.set _ZL33flash_attn_stream_k_fixup_generalILi72ELi8ELi1EEvPfPK15HIP_vector_typeIfLj2EEiiiiS1_IjLj3EES5_S5_S5_.num_vgpr, 12
	.set _ZL33flash_attn_stream_k_fixup_generalILi72ELi8ELi1EEvPfPK15HIP_vector_typeIfLj2EEiiiiS1_IjLj3EES5_S5_S5_.num_agpr, 0
	.set _ZL33flash_attn_stream_k_fixup_generalILi72ELi8ELi1EEvPfPK15HIP_vector_typeIfLj2EEiiiiS1_IjLj3EES5_S5_S5_.numbered_sgpr, 46
	.set _ZL33flash_attn_stream_k_fixup_generalILi72ELi8ELi1EEvPfPK15HIP_vector_typeIfLj2EEiiiiS1_IjLj3EES5_S5_S5_.num_named_barrier, 0
	.set _ZL33flash_attn_stream_k_fixup_generalILi72ELi8ELi1EEvPfPK15HIP_vector_typeIfLj2EEiiiiS1_IjLj3EES5_S5_S5_.private_seg_size, 0
	.set _ZL33flash_attn_stream_k_fixup_generalILi72ELi8ELi1EEvPfPK15HIP_vector_typeIfLj2EEiiiiS1_IjLj3EES5_S5_S5_.uses_vcc, 1
	.set _ZL33flash_attn_stream_k_fixup_generalILi72ELi8ELi1EEvPfPK15HIP_vector_typeIfLj2EEiiiiS1_IjLj3EES5_S5_S5_.uses_flat_scratch, 0
	.set _ZL33flash_attn_stream_k_fixup_generalILi72ELi8ELi1EEvPfPK15HIP_vector_typeIfLj2EEiiiiS1_IjLj3EES5_S5_S5_.has_dyn_sized_stack, 0
	.set _ZL33flash_attn_stream_k_fixup_generalILi72ELi8ELi1EEvPfPK15HIP_vector_typeIfLj2EEiiiiS1_IjLj3EES5_S5_S5_.has_recursion, 0
	.set _ZL33flash_attn_stream_k_fixup_generalILi72ELi8ELi1EEvPfPK15HIP_vector_typeIfLj2EEiiiiS1_IjLj3EES5_S5_S5_.has_indirect_call, 0
	.section	.AMDGPU.csdata,"",@progbits
; Kernel info:
; codeLenInByte = 3344
; TotalNumSgprs: 48
; NumVgprs: 12
; ScratchSize: 0
; MemoryBound: 0
; FloatMode: 240
; IeeeMode: 1
; LDSByteSize: 0 bytes/workgroup (compile time only)
; SGPRBlocks: 0
; VGPRBlocks: 0
; NumSGPRsForWavesPerEU: 48
; NumVGPRsForWavesPerEU: 12
; NamedBarCnt: 0
; Occupancy: 16
; WaveLimiterHint : 0
; COMPUTE_PGM_RSRC2:SCRATCH_EN: 0
; COMPUTE_PGM_RSRC2:USER_SGPR: 2
; COMPUTE_PGM_RSRC2:TRAP_HANDLER: 0
; COMPUTE_PGM_RSRC2:TGID_X_EN: 1
; COMPUTE_PGM_RSRC2:TGID_Y_EN: 1
; COMPUTE_PGM_RSRC2:TGID_Z_EN: 1
; COMPUTE_PGM_RSRC2:TIDIG_COMP_CNT: 0
	.section	.text._ZL15flash_attn_tileILi72ELi72ELi4ELi1ELb0EEvPKcS1_S1_S1_S1_PKiPfP15HIP_vector_typeIfLj2EEffffjfiS5_IjLj3EEiiiiiiiiiiiliiliiiiil,"axG",@progbits,_ZL15flash_attn_tileILi72ELi72ELi4ELi1ELb0EEvPKcS1_S1_S1_S1_PKiPfP15HIP_vector_typeIfLj2EEffffjfiS5_IjLj3EEiiiiiiiiiiiliiliiiiil,comdat
	.globl	_ZL15flash_attn_tileILi72ELi72ELi4ELi1ELb0EEvPKcS1_S1_S1_S1_PKiPfP15HIP_vector_typeIfLj2EEffffjfiS5_IjLj3EEiiiiiiiiiiiliiliiiiil ; -- Begin function _ZL15flash_attn_tileILi72ELi72ELi4ELi1ELb0EEvPKcS1_S1_S1_S1_PKiPfP15HIP_vector_typeIfLj2EEffffjfiS5_IjLj3EEiiiiiiiiiiiliiliiiiil
	.p2align	8
	.type	_ZL15flash_attn_tileILi72ELi72ELi4ELi1ELb0EEvPKcS1_S1_S1_S1_PKiPfP15HIP_vector_typeIfLj2EEffffjfiS5_IjLj3EEiiiiiiiiiiiliiliiiiil,@function
_ZL15flash_attn_tileILi72ELi72ELi4ELi1ELb0EEvPKcS1_S1_S1_S1_PKiPfP15HIP_vector_typeIfLj2EEffffjfiS5_IjLj3EEiiiiiiiiiiiliiliiiiil: ; @_ZL15flash_attn_tileILi72ELi72ELi4ELi1ELb0EEvPKcS1_S1_S1_S1_PKiPfP15HIP_vector_typeIfLj2EEffffjfiS5_IjLj3EEiiiiiiiiiiiliiliiiiil
; %bb.0:
	s_clause 0x1
	s_load_b128 s[20:23], s[0:1], 0x5c
	s_load_b64 s[34:35], s[0:1], 0x80
	s_bfe_u32 s4, ttmp6, 0x40014
	s_lshr_b32 s3, ttmp7, 16
	s_add_co_i32 s4, s4, 1
	s_bfe_u32 s5, ttmp6, 0x40008
	s_mul_i32 s4, s3, s4
	s_getreg_b32 s38, hwreg(HW_REG_IB_STS2, 6, 4)
	s_add_co_i32 s5, s5, s4
	s_mov_b32 s37, 0
	s_mov_b64 s[30:31], 0
	s_wait_kmcnt 0x0
	s_cvt_f32_u32 s2, s23
	s_sub_co_i32 s6, 0, s23
	s_delay_alu instid0(SALU_CYCLE_2) | instskip(SKIP_1) | instid1(TRANS32_DEP_1)
	v_rcp_iflag_f32_e32 v1, s2
	v_nop
	v_readfirstlane_b32 s2, v1
	s_mul_f32 s2, s2, 0x4f7ffffe
	s_delay_alu instid0(SALU_CYCLE_3) | instskip(NEXT) | instid1(SALU_CYCLE_3)
	s_cvt_u32_f32 s2, s2
	s_mul_i32 s6, s6, s2
	s_delay_alu instid0(SALU_CYCLE_1) | instskip(NEXT) | instid1(SALU_CYCLE_1)
	s_mul_hi_u32 s6, s2, s6
	s_add_co_i32 s2, s2, s6
	s_cmp_eq_u32 s38, 0
	s_cselect_b32 s3, s3, s5
	s_delay_alu instid0(SALU_CYCLE_1) | instskip(NEXT) | instid1(SALU_CYCLE_1)
	s_mul_hi_u32 s2, s3, s2
	s_mul_i32 s4, s2, s23
	s_add_co_i32 s5, s2, 1
	s_sub_co_i32 s4, s3, s4
	s_delay_alu instid0(SALU_CYCLE_1)
	s_sub_co_i32 s6, s4, s23
	s_cmp_ge_u32 s4, s23
	s_cselect_b32 s2, s5, s2
	s_cselect_b32 s4, s6, s4
	s_add_co_i32 s5, s2, 1
	s_cmp_ge_u32 s4, s23
	s_cselect_b32 s28, s5, s2
	s_abs_i32 s2, s35
	s_abs_i32 s7, s23
	s_cvt_f32_u32 s4, s2
	s_sub_co_i32 s5, 0, s2
	s_xor_b32 s6, s23, s35
	s_delay_alu instid0(SALU_CYCLE_1) | instskip(SKIP_2) | instid1(TRANS32_DEP_1)
	v_rcp_iflag_f32_e32 v1, s4
	s_ashr_i32 s6, s6, 31
	v_nop
	v_readfirstlane_b32 s4, v1
	s_mul_f32 s4, s4, 0x4f7ffffe
	s_delay_alu instid0(SALU_CYCLE_3) | instskip(NEXT) | instid1(SALU_CYCLE_3)
	s_cvt_u32_f32 s4, s4
	s_mul_i32 s5, s5, s4
	s_delay_alu instid0(SALU_CYCLE_1) | instskip(NEXT) | instid1(SALU_CYCLE_1)
	s_mul_hi_u32 s5, s4, s5
	s_add_co_i32 s4, s4, s5
	s_mul_i32 s5, s28, s23
	s_mul_hi_u32 s4, s7, s4
	s_sub_co_i32 s33, s3, s5
	s_mul_i32 s8, s4, s2
	s_add_co_i32 s5, s4, 1
	s_sub_co_i32 s3, s7, s8
	s_delay_alu instid0(SALU_CYCLE_1)
	s_sub_co_i32 s7, s3, s2
	s_cmp_ge_u32 s3, s2
	s_cselect_b32 s4, s5, s4
	s_cselect_b32 s3, s7, s3
	s_add_co_i32 s5, s4, 1
	s_cmp_ge_u32 s3, s2
	s_cselect_b32 s2, s5, s4
	s_delay_alu instid0(SALU_CYCLE_1) | instskip(NEXT) | instid1(SALU_CYCLE_1)
	s_xor_b32 s2, s2, s6
	s_sub_co_i32 s29, s2, s6
	s_delay_alu instid0(SALU_CYCLE_1) | instskip(NEXT) | instid1(SALU_CYCLE_1)
	s_abs_i32 s39, s29
	s_cvt_f32_u32 s2, s39
	s_delay_alu instid0(SALU_CYCLE_3) | instskip(SKIP_4) | instid1(TRANS32_DEP_1)
	v_rcp_iflag_f32_e32 v1, s2
	s_clause 0x1
	s_load_b512 s[4:19], s[0:1], 0x0
	s_load_b64 s[2:3], s[0:1], 0xb8
	v_nop
	v_readfirstlane_b32 s24, v1
	s_mul_f32 s24, s24, 0x4f7ffffe
	s_delay_alu instid0(SALU_CYCLE_3) | instskip(SKIP_4) | instid1(SALU_CYCLE_1)
	s_cvt_u32_f32 s35, s24
	s_sub_co_i32 s24, 0, s39
	s_wait_kmcnt 0x0
	s_cmp_eq_u64 s[10:11], 0
	s_mul_i32 s24, s24, s35
	s_mul_hi_u32 s40, s35, s24
	s_cbranch_scc1 .LBB65_2
; %bb.1:
	s_abs_i32 s2, s2
	s_abs_i32 s26, s28
	s_cvt_f32_u32 s24, s2
	s_sub_co_i32 s25, 0, s2
	s_delay_alu instid0(SALU_CYCLE_2) | instskip(SKIP_1) | instid1(TRANS32_DEP_1)
	v_rcp_iflag_f32_e32 v1, s24
	v_nop
	v_readfirstlane_b32 s24, v1
	s_mul_f32 s24, s24, 0x4f7ffffe
	s_delay_alu instid0(SALU_CYCLE_3) | instskip(NEXT) | instid1(SALU_CYCLE_3)
	s_cvt_u32_f32 s24, s24
	s_mul_i32 s25, s25, s24
	s_delay_alu instid0(SALU_CYCLE_1) | instskip(NEXT) | instid1(SALU_CYCLE_1)
	s_mul_hi_u32 s25, s24, s25
	s_add_co_i32 s24, s24, s25
	s_delay_alu instid0(SALU_CYCLE_1) | instskip(SKIP_2) | instid1(SALU_CYCLE_1)
	s_mul_hi_u32 s27, s26, s24
	s_load_b64 s[24:25], s[0:1], 0xc8
	s_mul_i32 s27, s27, s2
	s_sub_co_i32 s26, s26, s27
	s_ashr_i32 s27, s28, 31
	s_sub_co_i32 s30, s26, s2
	s_cmp_ge_u32 s26, s2
	s_cselect_b32 s26, s30, s26
	s_delay_alu instid0(SALU_CYCLE_1) | instskip(SKIP_2) | instid1(SALU_CYCLE_1)
	s_sub_co_i32 s30, s26, s2
	s_cmp_ge_u32 s26, s2
	s_cselect_b32 s2, s30, s26
	s_xor_b32 s2, s2, s27
	s_delay_alu instid0(SALU_CYCLE_1) | instskip(NEXT) | instid1(SALU_CYCLE_1)
	s_sub_co_i32 s26, s2, s27
	s_ashr_i32 s27, s26, 31
	s_wait_kmcnt 0x0
	s_mul_u64 s[24:25], s[24:25], s[26:27]
	s_delay_alu instid0(SALU_CYCLE_1)
	s_add_nc_u64 s[30:31], s[10:11], s[24:25]
.LBB65_2:
	s_clause 0x1
	s_load_b128 s[24:27], s[0:1], 0x40
	s_load_b32 s2, s[0:1], 0x50
	s_abs_i32 s36, s33
	s_add_co_i32 s10, s35, s40
	v_mov_b32_e32 v19, 1.0
	s_wait_kmcnt 0x0
	s_cmp_le_f32 s25, 0
	s_cbranch_scc1 .LBB65_4
; %bb.3:
	v_sub_co_u32 v1, s2, s33, s2
	s_and_b32 s35, s2, exec_lo
	s_cselect_b32 s26, s26, s27
	s_add_co_i32 s27, s33, 1
	v_readfirstlane_b32 s11, v1
	s_lshl_b32 s11, s11, 1
	s_delay_alu instid0(SALU_CYCLE_1) | instskip(SKIP_4) | instid1(SALU_CYCLE_3)
	s_or_b32 s11, s11, 1
	s_and_b32 s2, s2, exec_lo
	s_cselect_b32 s2, s27, s11
	s_cmp_neq_f32 s26, 1.0
	s_cvt_f32_i32 s2, s2
	s_cselect_b32 s11, s2, 1.0
	s_delay_alu instid0(SALU_CYCLE_1) | instskip(SKIP_1) | instid1(SALU_CYCLE_1)
	s_cmp_neq_f32 s11, 0
	s_cselect_b32 s2, s26, 1.0
	v_cvt_f64_f32_e64 v[2:3], |s2|
	s_delay_alu instid0(VALU_DEP_1) | instskip(SKIP_1) | instid1(VALU_DEP_1)
	v_frexp_exp_i32_f64_e32 v1, v[2:3]
	v_frexp_mant_f32_e64 v2, |s2|
	v_readfirstlane_b32 s26, v2
	s_cmp_lt_f32 s26, 0x3f2aaaab
	s_cselect_b32 vcc_lo, -1, 0
	s_delay_alu instid0(SALU_CYCLE_1) | instskip(SKIP_1) | instid1(SALU_CYCLE_1)
	s_and_b32 s27, vcc_lo, exec_lo
	s_cselect_b32 s27, 2.0, 1.0
	s_mul_f32 s26, s26, s27
	s_delay_alu instid0(SALU_CYCLE_3) | instskip(SKIP_1) | instid1(SALU_CYCLE_2)
	s_add_f32 s27, s26, 1.0
	s_add_f32 s40, s26, -1.0
	v_s_rcp_f32 s35, s27
	s_add_f32 s43, s27, -1.0
	v_subrev_co_ci_u32_e64 v1, null, 0, v1, vcc_lo
	s_delay_alu instid0(SALU_CYCLE_2) | instskip(NEXT) | instid1(TRANS32_DEP_1)
	s_sub_f32 s26, s26, s43
	s_mul_f32 s41, s40, s35
	v_cvt_f32_i32_e32 v1, v1
	s_delay_alu instid0(SALU_CYCLE_2) | instskip(NEXT) | instid1(SALU_CYCLE_3)
	s_mul_f32 s42, s27, s41
	v_dual_mov_b32 v3, s40 :: v_dual_mov_b32 v4, s42
	s_xor_b32 s44, s42, 0x80000000
	s_delay_alu instid0(SALU_CYCLE_1) | instskip(NEXT) | instid1(SALU_CYCLE_3)
	s_fmac_f32 s44, s41, s27
	s_fmac_f32 s44, s41, s26
	s_delay_alu instid0(SALU_CYCLE_3) | instskip(SKIP_2) | instid1(SALU_CYCLE_1)
	s_add_f32 s26, s42, s44
	v_mov_b32_e32 v6, s44
	s_mov_b32 s42, 0x3e76c4e1
	s_sub_f32 s27, s40, s26
	v_dual_mov_b32 v2, s26 :: v_dual_mov_b32 v7, s26
	s_delay_alu instid0(SALU_CYCLE_2) | instskip(NEXT) | instid1(VALU_DEP_1)
	v_mov_b32_e32 v5, s27
	v_pk_add_f32 v[2:3], v[2:3], v[4:5] neg_lo:[0,1] neg_hi:[0,1]
	s_delay_alu instid0(VALU_DEP_1) | instskip(NEXT) | instid1(VALU_DEP_1)
	v_pk_add_f32 v[2:3], v[2:3], v[6:7] neg_lo:[0,1] neg_hi:[0,1]
	v_readfirstlane_b32 s26, v3
	s_delay_alu instid0(VALU_DEP_2) | instskip(SKIP_1) | instid1(SALU_CYCLE_3)
	v_readfirstlane_b32 s40, v2
	s_add_f32 s26, s40, s26
	s_add_f32 s26, s27, s26
	s_delay_alu instid0(SALU_CYCLE_3) | instskip(NEXT) | instid1(SALU_CYCLE_3)
	s_mul_f32 s27, s35, s26
	s_add_f32 s26, s41, s27
	s_delay_alu instid0(SALU_CYCLE_3) | instskip(SKIP_1) | instid1(SALU_CYCLE_2)
	s_sub_f32 s35, s26, s41
	s_mul_f32 s41, s26, s26
	s_sub_f32 s35, s27, s35
	s_delay_alu instid0(SALU_CYCLE_2) | instskip(NEXT) | instid1(SALU_CYCLE_1)
	s_xor_b32 s27, s41, 0x80000000
	s_fmac_f32 s27, s26, s26
	s_delay_alu instid0(SALU_CYCLE_1) | instskip(NEXT) | instid1(SALU_CYCLE_3)
	s_add_f32 s40, s35, s35
	s_fmac_f32 s27, s26, s40
	s_delay_alu instid0(SALU_CYCLE_3) | instskip(NEXT) | instid1(SALU_CYCLE_3)
	s_add_f32 s40, s41, s27
	s_fmaak_f32 s42, s40, s42, 0x3e91f4c4
	s_sub_f32 s41, s40, s41
	s_delay_alu instid0(SALU_CYCLE_2) | instskip(NEXT) | instid1(SALU_CYCLE_2)
	s_fmaak_f32 s42, s40, s42, 0x3ecccdef
	s_sub_f32 s45, s27, s41
	s_delay_alu instid0(SALU_CYCLE_2) | instskip(NEXT) | instid1(SALU_CYCLE_3)
	s_mul_f32 s43, s40, s42
	s_xor_b32 s44, s43, 0x80000000
	s_delay_alu instid0(SALU_CYCLE_1) | instskip(NEXT) | instid1(SALU_CYCLE_3)
	s_fmac_f32 s44, s40, s42
	s_fmac_f32 s44, s45, s42
	s_delay_alu instid0(SALU_CYCLE_3) | instskip(NEXT) | instid1(SALU_CYCLE_3)
	s_add_f32 s41, s43, s44
	s_sub_f32 s27, s41, s43
	s_add_f32 s42, s41, 0x3f2aaaaa
	s_delay_alu instid0(SALU_CYCLE_2) | instskip(NEXT) | instid1(SALU_CYCLE_2)
	s_sub_f32 s27, s44, s27
	s_add_f32 s43, s42, 0xbf2aaaaa
	s_delay_alu instid0(SALU_CYCLE_2) | instskip(NEXT) | instid1(SALU_CYCLE_2)
	s_add_f32 s27, s27, 0x31739010
	s_sub_f32 s41, s41, s43
	s_delay_alu instid0(SALU_CYCLE_2) | instskip(NEXT) | instid1(SALU_CYCLE_2)
	v_mov_b64_e32 v[2:3], s[26:27]
	v_mov_b64_e32 v[4:5], s[40:41]
	s_delay_alu instid0(VALU_DEP_1) | instskip(SKIP_2) | instid1(VALU_DEP_3)
	v_pk_mul_f32 v[6:7], v[2:3], v[4:5]
	v_pk_add_f32 v[2:3], v[2:3], v[4:5]
	v_mov_b32_e32 v9, s42
	v_xor_b32_e32 v8, 0x80000000, v6
	s_delay_alu instid0(VALU_DEP_3) | instskip(NEXT) | instid1(VALU_DEP_2)
	v_mov_b32_e32 v7, v3
	v_fmac_f32_e64 v8, s40, s26
	s_delay_alu instid0(VALU_DEP_1) | instskip(NEXT) | instid1(VALU_DEP_1)
	v_fmac_f32_e64 v8, s40, s35
	v_fmac_f32_e64 v8, s45, s26
	s_delay_alu instid0(VALU_DEP_1) | instskip(NEXT) | instid1(VALU_DEP_1)
	v_pk_add_f32 v[4:5], v[6:7], v[8:9]
	v_dual_mov_b32 v2, v5 :: v_dual_sub_f32 v7, s42, v5
	v_mul_f32_e32 v12, 0x3f317218, v1
	s_delay_alu instid0(VALU_DEP_2) | instskip(NEXT) | instid1(VALU_DEP_3)
	v_pk_mul_f32 v[10:11], v[4:5], v[2:3]
	v_add_f32_e32 v3, v3, v7
	s_delay_alu instid0(VALU_DEP_3) | instskip(NEXT) | instid1(VALU_DEP_3)
	v_xor_b32_e32 v7, 0x80000000, v12
	v_xor_b32_e32 v2, 0x80000000, v10
	s_delay_alu instid0(VALU_DEP_2) | instskip(NEXT) | instid1(VALU_DEP_2)
	v_dual_sub_f32 v6, v4, v6 :: v_dual_fmac_f32 v7, 0x3f317218, v1
	v_fmac_f32_e32 v2, v4, v5
	s_delay_alu instid0(VALU_DEP_2) | instskip(NEXT) | instid1(VALU_DEP_2)
	v_sub_f32_e32 v6, v8, v6
	v_fmac_f32_e32 v2, v4, v3
	s_delay_alu instid0(VALU_DEP_1) | instskip(SKIP_3) | instid1(VALU_DEP_2)
	v_fmac_f32_e32 v2, v6, v5
	v_fmamk_f32 v4, v1, 0xb102e308, v7
	v_ldexp_f32 v5, s26, 1
	v_ldexp_f32 v1, s35, 1
	v_dual_add_f32 v13, v10, v2 :: v_dual_mov_b32 v11, v5
	s_delay_alu instid0(VALU_DEP_1) | instskip(SKIP_1) | instid1(VALU_DEP_2)
	v_pk_add_f32 v[6:7], v[12:13], v[4:5]
	v_dual_mov_b32 v8, v13 :: v_dual_mov_b32 v3, v13
	v_dual_mov_b32 v9, v7 :: v_dual_mov_b32 v5, v6
	v_mov_b32_e32 v14, v7
	s_delay_alu instid0(VALU_DEP_2) | instskip(NEXT) | instid1(VALU_DEP_1)
	v_pk_add_f32 v[8:9], v[8:9], v[10:11] neg_lo:[0,1] neg_hi:[0,1]
	v_pk_add_f32 v[2:3], v[2:3], v[8:9] neg_lo:[0,1] neg_hi:[0,1]
	s_delay_alu instid0(VALU_DEP_1) | instskip(NEXT) | instid1(VALU_DEP_1)
	v_add_f32_e32 v1, v1, v2
	v_add_f32_e32 v13, v1, v3
	s_delay_alu instid0(VALU_DEP_1) | instskip(SKIP_1) | instid1(VALU_DEP_2)
	v_pk_add_f32 v[2:3], v[6:7], v[12:13]
	v_pk_add_f32 v[8:9], v[6:7], v[12:13] neg_lo:[0,1] neg_hi:[0,1]
	v_mov_b32_e32 v9, v3
	s_delay_alu instid0(VALU_DEP_1) | instskip(SKIP_2) | instid1(VALU_DEP_3)
	v_pk_add_f32 v[10:11], v[4:5], v[8:9]
	v_pk_add_f32 v[4:5], v[4:5], v[8:9] neg_lo:[0,1] neg_hi:[0,1]
	v_dual_mov_b32 v16, v3 :: v_dual_mov_b32 v5, v6
	v_dual_mov_b32 v12, v11 :: v_dual_mov_b32 v17, v11
	s_delay_alu instid0(VALU_DEP_3) | instskip(NEXT) | instid1(VALU_DEP_2)
	v_readfirstlane_b32 s26, v4
	v_pk_add_f32 v[8:9], v[12:13], v[6:7] neg_lo:[0,1] neg_hi:[0,1]
	s_delay_alu instid0(VALU_DEP_2) | instskip(NEXT) | instid1(VALU_DEP_2)
	v_dual_mov_b32 v4, v13 :: v_dual_mov_b32 v10, s26
	v_dual_mov_b32 v15, v8 :: v_dual_mov_b32 v1, v8
	s_delay_alu instid0(VALU_DEP_1) | instskip(NEXT) | instid1(VALU_DEP_2)
	v_pk_add_f32 v[6:7], v[16:17], v[14:15] neg_lo:[0,1] neg_hi:[0,1]
	v_pk_add_f32 v[2:3], v[2:3], v[0:1] neg_lo:[0,1] neg_hi:[0,1]
	v_mov_b32_e32 v2, s26
	s_delay_alu instid0(VALU_DEP_3) | instskip(NEXT) | instid1(VALU_DEP_1)
	v_pk_add_f32 v[4:5], v[4:5], v[6:7] neg_lo:[0,1] neg_hi:[0,1]
	v_pk_add_f32 v[2:3], v[2:3], v[4:5]
	s_delay_alu instid0(VALU_DEP_1) | instskip(NEXT) | instid1(VALU_DEP_2)
	v_readfirstlane_b32 s27, v2
	v_mov_b32_e32 v6, v3
	s_delay_alu instid0(VALU_DEP_1) | instskip(NEXT) | instid1(VALU_DEP_3)
	v_pk_add_f32 v[6:7], v[2:3], v[6:7]
	v_mov_b32_e32 v2, s27
	s_delay_alu instid0(VALU_DEP_2) | instskip(SKIP_1) | instid1(VALU_DEP_2)
	v_pk_add_f32 v[8:9], v[12:13], v[6:7]
	v_mov_b32_e32 v5, v6
	v_readfirstlane_b32 s35, v8
	s_delay_alu instid0(VALU_DEP_1) | instskip(NEXT) | instid1(VALU_DEP_1)
	v_mov_b32_e32 v3, s35
	v_pk_add_f32 v[2:3], v[2:3], v[10:11] neg_lo:[0,1] neg_hi:[0,1]
	s_delay_alu instid0(VALU_DEP_1) | instskip(NEXT) | instid1(VALU_DEP_2)
	v_readfirstlane_b32 s40, v2
	v_pk_add_f32 v[2:3], v[4:5], v[2:3] neg_lo:[0,1] neg_hi:[0,1]
	s_sub_f32 s27, s27, s40
	s_delay_alu instid0(VALU_DEP_1) | instskip(NEXT) | instid1(SALU_CYCLE_2)
	v_readfirstlane_b32 s40, v2
	s_sub_f32 s26, s26, s27
	v_readfirstlane_b32 s27, v3
	s_delay_alu instid0(SALU_CYCLE_2) | instskip(NEXT) | instid1(SALU_CYCLE_3)
	s_add_f32 s26, s40, s26
	s_add_f32 s26, s26, s27
	s_delay_alu instid0(SALU_CYCLE_3) | instskip(NEXT) | instid1(SALU_CYCLE_3)
	s_add_f32 s27, s35, s26
	s_mul_f32 s40, s11, s27
	s_sub_f32 s35, s27, s35
	s_delay_alu instid0(SALU_CYCLE_2) | instskip(NEXT) | instid1(SALU_CYCLE_2)
	s_xor_b32 s41, s40, 0x80000000
	s_sub_f32 s26, s26, s35
	s_fmac_f32 s41, s11, s27
	s_delay_alu instid0(SALU_CYCLE_3) | instskip(SKIP_1) | instid1(SALU_CYCLE_2)
	s_fmac_f32 s41, s11, s26
	v_cmp_class_f32_e64 s26, s40, 0x204
	s_add_f32 s27, s40, s41
	s_and_b32 s26, s26, exec_lo
	s_delay_alu instid0(SALU_CYCLE_2) | instskip(SKIP_1) | instid1(SALU_CYCLE_1)
	s_sub_f32 s26, s27, s40
	s_cselect_b32 s27, s40, s27
	s_and_b32 s35, s27, 0x7fffffff
	s_delay_alu instid0(SALU_CYCLE_1) | instskip(SKIP_1) | instid1(SALU_CYCLE_2)
	s_sub_f32 s26, s41, s26
	s_cmp_neq_f32 s35, 0x7f800000
	s_cselect_b32 s26, s26, 0
	s_cmp_eq_f32 s27, 0x42b17218
	s_cselect_b32 s35, 0x37000000, 0
	s_delay_alu instid0(SALU_CYCLE_1) | instskip(SKIP_1) | instid1(SALU_CYCLE_2)
	s_sub_f32 s27, s27, s35
	s_add_f32 s26, s35, s26
	s_mul_f32 s40, s27, 0x3fb8aa3b
	s_delay_alu instid0(SALU_CYCLE_3) | instskip(SKIP_3) | instid1(SALU_CYCLE_1)
	s_xor_b32 s41, s40, 0x80000000
	s_rndne_f32 s42, s40
	s_fmamk_f32 s41, s27, 0x3fb8aa3b, s41
	s_cmp_nlt_f32 s27, 0xc2ce8ed0
	s_sub_f32 s40, s40, s42
	s_delay_alu instid0(SALU_CYCLE_1)
	s_fmamk_f32 s41, s27, 0x32a5705f, s41
	s_cselect_b32 vcc_lo, -1, 0
	s_cmp_ngt_f32 s27, 0x42b17218
	s_trunc_f32 s27, s11
	s_add_f32 s40, s40, s41
	s_cvt_i32_f32 s41, s42
	s_delay_alu instid0(SALU_CYCLE_2)
	v_s_exp_f32 s40, s40
	v_nop
	s_delay_alu instid0(TRANS32_DEP_1) | instid1(SALU_CYCLE_1)
	v_ldexp_f32 v1, s40, s41
	s_mul_f32 s40, s11, 0.5
	s_delay_alu instid0(VALU_DEP_1) | instskip(SKIP_3) | instid1(VALU_DEP_1)
	v_cndmask_b32_e32 v1, 0, v1, vcc_lo
	s_cselect_b32 vcc_lo, -1, 0
	s_cmp_eq_f32 s27, s11
	s_trunc_f32 s41, s40
	v_cndmask_b32_e32 v1, 0x7f800000, v1, vcc_lo
	s_cselect_b32 s42, -1, 0
	s_delay_alu instid0(SALU_CYCLE_1) | instskip(NEXT) | instid1(VALU_DEP_1)
	s_cmp_neq_f32 s41, s40
	v_fma_f32 v2, s26, v1, v1
	v_cmp_class_f32_e64 vcc_lo, v1, 0x204
	s_cselect_b32 s35, -1, 0
	s_delay_alu instid0(SALU_CYCLE_1)
	s_and_b32 s26, s42, s35
	v_cndmask_b32_e32 v1, v2, v1, vcc_lo
	s_and_b32 s35, s26, exec_lo
	s_cselect_b32 s35, s2, 1.0
	s_cmp_eq_f32 s27, s11
	v_cmp_class_f32_e64 s27, s2, 0x204
	v_bfi_b32 v1, 0x7fffffff, v1, s35
	s_cselect_b32 vcc_lo, -1, 0
	s_cmp_lt_f32 s2, 0
	s_delay_alu instid0(VALU_DEP_1) | instskip(SKIP_2) | instid1(VALU_DEP_1)
	v_cndmask_b32_e32 v2, 0x7fc00000, v1, vcc_lo
	s_cselect_b32 vcc_lo, -1, 0
	s_cmp_eq_f32 s2, 0
	v_cndmask_b32_e32 v1, v1, v2, vcc_lo
	s_cselect_b32 s35, -1, 0
	s_delay_alu instid0(SALU_CYCLE_1) | instskip(SKIP_2) | instid1(SALU_CYCLE_1)
	s_or_b32 vcc_lo, s35, s27
	s_cmp_lt_f32 s11, 0
	s_cselect_b32 s11, -1, 0
	s_xor_b32 s11, s11, s35
	s_delay_alu instid0(SALU_CYCLE_1)
	s_and_b32 s11, s11, exec_lo
	s_cselect_b32 s11, 0, 0x7f800000
	s_and_b32 s26, s26, exec_lo
	s_cselect_b32 s26, s2, 0
	s_cmp_o_f32 s2, s2
	v_mov_b32_e32 v2, s26
	s_delay_alu instid0(VALU_DEP_1) | instskip(NEXT) | instid1(VALU_DEP_1)
	v_bfi_b32 v2, 0x7fffffff, s11, v2
	v_cndmask_b32_e32 v1, v1, v2, vcc_lo
	s_cselect_b32 vcc_lo, -1, 0
	s_delay_alu instid0(VALU_DEP_1)
	v_cndmask_b32_e32 v19, 0x7fc00000, v1, vcc_lo
.LBB65_4:
	s_bfe_u32 s2, ttmp6, 0x4000c
	s_and_b32 s11, ttmp6, 15
	s_add_co_i32 s2, s2, 1
	v_bfe_u32 v26, v0, 10, 10
	s_mul_i32 s2, ttmp9, s2
	v_and_b32_e32 v14, 0x3ff, v0
	s_add_co_i32 s11, s11, s2
	s_cmp_eq_u32 s38, 0
	s_movk_i32 s27, 0x90
	s_cselect_b32 s26, ttmp9, s11
	v_cmp_gt_u32_e64 s2, 18, v14
	s_lshl_b32 s11, s26, 2
	v_mad_u32_u24 v22, v26, s27, 0x14e0
	v_lshlrev_b32_e32 v16, 3, v14
	v_add_nc_u32_e32 v15, s11, v26
	s_mov_b32 s11, s37
	s_and_saveexec_b32 s27, s2
	s_cbranch_execz .LBB65_6
; %bb.5:
	s_delay_alu instid0(VALU_DEP_1) | instskip(SKIP_1) | instid1(VALU_DEP_1)
	v_mul_hi_u32 v0, s20, v15
	s_load_b96 s[40:42], s[0:1], 0x70
	v_dual_mov_b32 v1, 0 :: v_dual_add_nc_u32 v0, v15, v0
	s_delay_alu instid0(VALU_DEP_1) | instskip(SKIP_2) | instid1(VALU_DEP_1)
	v_lshrrev_b32_e32 v0, s21, v0
	s_wait_kmcnt 0x0
	s_mul_i32 s44, s33, s41
	v_mul_lo_u32 v0, v0, s22
	s_ashr_i32 s41, s40, 31
	s_ashr_i32 s45, s44, 31
	s_lshr_b64 s[40:41], s[40:41], 2
	s_delay_alu instid0(VALU_DEP_1) | instskip(NEXT) | instid1(VALU_DEP_1)
	v_sub_nc_u32_e32 v0, v15, v0
	v_mul_u64_e32 v[2:3], s[40:41], v[0:1]
	s_mul_i32 s40, s28, s42
	v_lshlrev_b32_e32 v0, 4, v14
	s_ashr_i32 s41, s40, 31
	s_delay_alu instid0(SALU_CYCLE_1) | instskip(NEXT) | instid1(SALU_CYCLE_1)
	s_add_nc_u64 s[4:5], s[4:5], s[40:41]
	s_add_nc_u64 s[4:5], s[4:5], s[44:45]
	s_delay_alu instid0(VALU_DEP_2) | instid1(SALU_CYCLE_1)
	v_lshl_add_u64 v[2:3], v[2:3], 2, s[4:5]
	s_delay_alu instid0(VALU_DEP_1) | instskip(SKIP_4) | instid1(VALU_DEP_1)
	v_add_nc_u64_e32 v[0:1], v[2:3], v[0:1]
	global_load_b128 v[0:3], v[0:1], off
	s_wait_loadcnt 0x0
	v_fma_mixlo_f16 v4, s24, v0, 0
	v_mov_b32_e32 v0, v3
	v_pk_mul_f32 v[0:1], s[24:25], v[0:1] op_sel_hi:[0,1]
	s_delay_alu instid0(VALU_DEP_1) | instskip(SKIP_2) | instid1(VALU_DEP_3)
	v_cvt_pk_f16_f32 v0, v0, v1
	v_fma_mixlo_f16 v1, s24, v2, 0
	v_and_b32_e32 v2, 0xffff, v4
	v_and_b32_e32 v3, 0xffff0000, v0
	s_delay_alu instid0(VALU_DEP_3) | instskip(NEXT) | instid1(VALU_DEP_2)
	v_and_b32_e32 v1, 0xffff, v1
	v_dual_lshlrev_b32 v0, 16, v0 :: v_dual_bitop2_b32 v2, v3, v2 bitop3:0x54
	v_add_nc_u32_e32 v3, v22, v16
	s_delay_alu instid0(VALU_DEP_2) | instskip(NEXT) | instid1(VALU_DEP_3)
	v_or3_b32 v1, v0, v1, 0
	v_or3_b32 v0, 0, 0, v2
	ds_store_b64 v3, v[0:1]
.LBB65_6:
	s_or_b32 exec_lo, exec_lo, s27
	s_ashr_i32 s40, s33, 31
	s_ashr_i32 s41, s29, 31
	s_mul_u64 s[4:5], s[36:37], s[10:11]
	s_cmp_eq_u64 s[14:15], 0
	s_wait_dscnt 0x0
	s_barrier_signal -1
	s_barrier_wait -1
	s_cbranch_scc1 .LBB65_8
; %bb.7:
	s_load_b32 s4, s[0:1], 0xd0
	s_wait_kmcnt 0x0
	s_mul_i32 s4, s4, s28
	s_delay_alu instid0(SALU_CYCLE_1)
	s_add_co_i32 s4, s4, s26
	s_load_b32 s34, s[14:15], s4 offset:0x0 scale_offset
.LBB65_8:
	s_clause 0x2
	s_load_b64 s[10:11], s[0:1], 0x8c
	s_load_b128 s[24:27], s[0:1], 0x98
	s_load_b64 s[42:43], s[0:1], 0xa8
	s_wait_xcnt 0x0
	s_mul_i32 s4, s5, s39
	s_ashr_i32 s35, s3, 1
	s_sub_co_i32 s36, s36, s4
	s_ashr_i32 s29, s28, 31
	s_xor_b32 s3, s40, s41
	s_add_co_i32 s15, s5, 1
	s_sub_co_i32 s37, s36, s39
	v_lshl_add_u32 v21, v26, 5, v14
	v_lshrrev_b32_e32 v28, 3, v14
	v_mul_u32_u24_e32 v25, 0xa0, v14
	v_lshl_add_u32 v18, v26, 6, 0x1720
	v_mbcnt_lo_u32_b32 v17, -1, 0
	s_wait_kmcnt 0x0
	s_ashr_i32 s4, s10, 2
	s_ashr_i32 s14, s26, 2
	s_cmp_ge_u32 s36, s39
	s_mul_u64 s[24:25], s[24:25], s[28:29]
	s_cselect_b32 s5, s15, s5
	s_cselect_b32 s10, s37, s36
	s_add_co_i32 s15, s5, 1
	s_cmp_ge_u32 s10, s39
	s_add_nc_u64 s[6:7], s[6:7], s[24:25]
	s_cselect_b32 s5, s15, s5
	s_bfe_u32 s10, ttmp6, 0x40010
	s_xor_b32 s5, s5, s3
	s_and_b32 s15, ttmp7, 0xffff
	s_add_co_i32 s10, s10, 1
	s_sub_co_i32 s3, s5, s3
	s_bfe_u32 s24, ttmp6, 0x40004
	s_mul_i32 s5, s15, s10
	s_mul_i32 s10, s3, s11
	;; [unrolled: 1-line block ×3, first 2 shown]
	s_add_co_i32 s24, s24, s5
	s_ashr_i32 s11, s10, 31
	s_ashr_i32 s27, s26, 31
	s_cmp_eq_u32 s38, 0
	s_mul_u64 s[40:41], s[42:43], s[28:29]
	s_cselect_b32 s29, s15, s24
	s_sub_co_i32 s36, s34, 32
	s_lshl_b32 s24, s29, 5
	s_add_nc_u64 s[8:9], s[8:9], s[40:41]
	s_add_nc_u64 s[6:7], s[6:7], s[10:11]
	s_cmp_ge_i32 s24, s36
	s_add_nc_u64 s[10:11], s[8:9], s[26:27]
	s_cbranch_scc1 .LBB65_19
; %bb.9:
	v_mul_hi_u32 v0, s20, v15
	v_lshl_add_u32 v7, v26, 2, v28
	v_dual_lshlrev_b32 v3, 2, v14 :: v_dual_mov_b32 v1, 0
	v_mul_lo_u32 v2, s4, v21
	v_mul_lo_u32 v4, s14, v21
	s_delay_alu instid0(VALU_DEP_4)
	v_mul_lo_u32 v6, s4, v7
	v_mul_lo_u32 v8, s14, v7
	s_movk_i32 s8, 0x80
	s_movk_i32 s9, 0x90
	s_ashr_i32 s5, s4, 31
	v_dual_mov_b32 v39, 0xfeffffff :: v_dual_add_nc_u32 v0, v15, v0
	v_cmp_gt_u32_e64 s3, 32, v21
	v_lshl_add_u32 v29, v14, 1, v18
	v_mad_u32_u24 v30, 0xa0, v21, s8
	s_delay_alu instid0(VALU_DEP_4) | instskip(SKIP_3) | instid1(VALU_DEP_4)
	v_dual_lshrrev_b32 v5, s21, v0 :: v_dual_bitop2_b32 v0, 28, v3 bitop3:0x40
	v_add_nc_u32_e32 v9, 16, v7
	v_mad_u32_u24 v31, v21, s9, 0x80
	v_ashrrev_i32_e32 v3, 31, v2
	v_mul_lo_u32 v11, v5, s22
	v_lshlrev_b32_e32 v12, 2, v0
	v_mul_lo_u32 v10, s14, v9
	v_ashrrev_i32_e32 v5, 31, v4
	v_dual_lshlrev_b32 v0, 2, v0 :: v_dual_mov_b32 v38, v1
	s_delay_alu instid0(VALU_DEP_4)
	v_mad_u32_u24 v32, 0xa0, v7, v12
	v_mad_u32_u24 v34, 0x90, v7, v12
	v_ashrrev_i32_e32 v7, 31, v6
	v_mad_u32_u24 v33, 0x90, v9, v12
	v_lshl_add_u32 v12, s4, 4, v6
	v_dual_sub_nc_u32 v20, v15, v11 :: v_dual_ashrrev_i32 v9, 31, v8
	v_ashrrev_i32_e32 v11, 31, v10
	v_dual_mov_b32 v24, v1 :: v_dual_add_nc_u32 v35, 0xa00, v32
	s_delay_alu instid0(VALU_DEP_3)
	v_mad_u32 v36, v20, s35, v14
	v_dual_ashrrev_i32 v13, 31, v12 :: v_dual_mov_b32 v23, v1
	v_mbcnt_lo_u32_b32 v37, -1, 0
	s_cmp_lg_u64 s[30:31], 0
	s_add_nc_u64 s[8:9], s[0:1], 0xd0
	s_cselect_b32 s37, -1, 0
	s_ashr_i32 s15, s14, 31
.LBB65_10:                              ; =>This Inner Loop Header: Depth=1
	s_ashr_i32 s25, s24, 31
	s_delay_alu instid0(SALU_CYCLE_1) | instskip(NEXT) | instid1(SALU_CYCLE_1)
	s_mul_u64 s[26:27], s[24:25], s[4:5]
	s_lshl_b64 s[26:27], s[26:27], 2
	s_delay_alu instid0(SALU_CYCLE_1)
	s_add_nc_u64 s[26:27], s[6:7], s[26:27]
	s_and_saveexec_b32 s38, s3
	s_cbranch_execz .LBB65_12
; %bb.11:                               ;   in Loop: Header=BB65_10 Depth=1
	v_lshl_add_u64 v[40:41], v[2:3], 2, s[26:27]
	global_load_b128 v[40:43], v[40:41], off offset:128
	s_wait_loadcnt 0x0
	ds_store_b128 v30, v[40:43]
.LBB65_12:                              ;   in Loop: Header=BB65_10 Depth=1
	s_or_b32 exec_lo, exec_lo, s38
	v_lshl_add_u64 v[40:41], v[6:7], 2, s[26:27]
	v_lshl_add_u64 v[42:43], v[12:13], 2, s[26:27]
	v_mov_b32_e32 v27, 0
	s_and_not1_b32 vcc_lo, exec_lo, s37
	s_delay_alu instid0(VALU_DEP_3) | instskip(NEXT) | instid1(VALU_DEP_3)
	v_add_nc_u64_e32 v[48:49], v[40:41], v[0:1]
	v_add_nc_u64_e32 v[50:51], v[42:43], v[0:1]
	s_clause 0x1
	global_load_b128 v[40:43], v[48:49], off
	global_load_b128 v[44:47], v[50:51], off
	s_wait_loadcnt 0x1
	ds_store_b128 v32, v[40:43]
	s_wait_loadcnt 0x0
	ds_store_b128 v35, v[44:47]
	s_wait_dscnt 0x0
	s_barrier_signal -1
	s_barrier_wait -1
	ds_load_b128 v[40:43], v25
	ds_load_b128 v[44:47], v22
	s_wait_dscnt 0x0
	;;#ASMSTART
	v_dot2_f32_f16 v27, v40, v44, v27
	;;#ASMEND
	;;#ASMSTART
	v_dot2_f32_f16 v27, v41, v45, v27
	;;#ASMEND
	;;#ASMSTART
	v_dot2_f32_f16 v27, v42, v46, v27
	;;#ASMEND
	;;#ASMSTART
	v_dot2_f32_f16 v27, v43, v47, v27
	;;#ASMEND
	ds_load_b128 v[40:43], v25 offset:16
	ds_load_b128 v[44:47], v22 offset:16
	s_wait_dscnt 0x0
	;;#ASMSTART
	v_dot2_f32_f16 v27, v40, v44, v27
	;;#ASMEND
	;;#ASMSTART
	v_dot2_f32_f16 v27, v41, v45, v27
	;;#ASMEND
	;;#ASMSTART
	v_dot2_f32_f16 v27, v42, v46, v27
	;;#ASMEND
	;;#ASMSTART
	v_dot2_f32_f16 v27, v43, v47, v27
	;;#ASMEND
	ds_load_b128 v[40:43], v25 offset:32
	ds_load_b128 v[44:47], v22 offset:32
	s_wait_dscnt 0x0
	;;#ASMSTART
	v_dot2_f32_f16 v27, v40, v44, v27
	;;#ASMEND
	;;#ASMSTART
	v_dot2_f32_f16 v27, v41, v45, v27
	;;#ASMEND
	;;#ASMSTART
	v_dot2_f32_f16 v27, v42, v46, v27
	;;#ASMEND
	;;#ASMSTART
	v_dot2_f32_f16 v27, v43, v47, v27
	;;#ASMEND
	ds_load_b128 v[40:43], v25 offset:48
	ds_load_b128 v[44:47], v22 offset:48
	s_wait_dscnt 0x0
	;;#ASMSTART
	v_dot2_f32_f16 v27, v40, v44, v27
	;;#ASMEND
	;;#ASMSTART
	v_dot2_f32_f16 v27, v41, v45, v27
	;;#ASMEND
	;;#ASMSTART
	v_dot2_f32_f16 v27, v42, v46, v27
	;;#ASMEND
	;;#ASMSTART
	v_dot2_f32_f16 v27, v43, v47, v27
	;;#ASMEND
	ds_load_b128 v[40:43], v25 offset:64
	ds_load_b128 v[44:47], v22 offset:64
	s_wait_dscnt 0x0
	;;#ASMSTART
	v_dot2_f32_f16 v27, v40, v44, v27
	;;#ASMEND
	;;#ASMSTART
	v_dot2_f32_f16 v27, v41, v45, v27
	;;#ASMEND
	;;#ASMSTART
	v_dot2_f32_f16 v27, v42, v46, v27
	;;#ASMEND
	;;#ASMSTART
	v_dot2_f32_f16 v27, v43, v47, v27
	;;#ASMEND
	ds_load_b128 v[40:43], v25 offset:80
	ds_load_b128 v[44:47], v22 offset:80
	s_wait_dscnt 0x0
	;;#ASMSTART
	v_dot2_f32_f16 v27, v40, v44, v27
	;;#ASMEND
	;;#ASMSTART
	v_dot2_f32_f16 v27, v41, v45, v27
	;;#ASMEND
	;;#ASMSTART
	v_dot2_f32_f16 v27, v42, v46, v27
	;;#ASMEND
	;;#ASMSTART
	v_dot2_f32_f16 v27, v43, v47, v27
	;;#ASMEND
	ds_load_b128 v[40:43], v25 offset:96
	ds_load_b128 v[44:47], v22 offset:96
	s_wait_dscnt 0x0
	;;#ASMSTART
	v_dot2_f32_f16 v27, v40, v44, v27
	;;#ASMEND
	;;#ASMSTART
	v_dot2_f32_f16 v27, v41, v45, v27
	;;#ASMEND
	;;#ASMSTART
	v_dot2_f32_f16 v27, v42, v46, v27
	;;#ASMEND
	;;#ASMSTART
	v_dot2_f32_f16 v27, v43, v47, v27
	;;#ASMEND
	ds_load_b128 v[40:43], v25 offset:112
	ds_load_b128 v[44:47], v22 offset:112
	s_wait_dscnt 0x0
	;;#ASMSTART
	v_dot2_f32_f16 v27, v40, v44, v27
	;;#ASMEND
	;;#ASMSTART
	v_dot2_f32_f16 v27, v41, v45, v27
	;;#ASMEND
	;;#ASMSTART
	v_dot2_f32_f16 v27, v42, v46, v27
	;;#ASMEND
	;;#ASMSTART
	v_dot2_f32_f16 v27, v43, v47, v27
	;;#ASMEND
	ds_load_b128 v[40:43], v25 offset:128
	ds_load_b128 v[44:47], v22 offset:128
	s_wait_dscnt 0x0
	;;#ASMSTART
	v_dot2_f32_f16 v27, v40, v44, v27
	;;#ASMEND
	;;#ASMSTART
	v_dot2_f32_f16 v27, v41, v45, v27
	;;#ASMEND
	;; [unrolled: 3-line block ×4, first 2 shown]
	s_cbranch_vccnz .LBB65_14
; %bb.13:                               ;   in Loop: Header=BB65_10 Depth=1
	v_add_nc_u32_e32 v20, s24, v36
	global_load_u16 v20, v20, s[30:31] scale_offset
	s_wait_loadcnt 0x0
	v_cvt_f32_f16_e32 v20, v20
	s_delay_alu instid0(VALU_DEP_1)
	v_mul_f32_e32 v20, v19, v20
	s_branch .LBB65_15
.LBB65_14:                              ;   in Loop: Header=BB65_10 Depth=1
	v_mov_b32_e32 v20, 0
.LBB65_15:                              ;   in Loop: Header=BB65_10 Depth=1
	s_delay_alu instid0(VALU_DEP_1) | instskip(SKIP_1) | instid1(SALU_CYCLE_1)
	v_dual_add_f32 v20, v27, v20 :: v_dual_bitop2_b32 v40, 16, v37 bitop3:0x14
	s_mul_u64 s[26:27], s[24:25], s[14:15]
	s_lshl_b64 s[26:27], s[26:27], 2
	s_delay_alu instid0(VALU_DEP_1)
	v_cmp_gt_i32_e32 vcc_lo, 32, v40
	v_max_num_f32_e32 v27, v39, v39
	v_add_f32_e32 v41, 0x40051340, v20
	s_add_nc_u64 s[26:27], s[10:11], s[26:27]
	s_barrier_signal -1
	v_cndmask_b32_e32 v40, v37, v40, vcc_lo
	s_barrier_wait -1
	s_delay_alu instid0(VALU_DEP_1) | instskip(SKIP_3) | instid1(VALU_DEP_1)
	v_dual_max_num_f32 v27, v27, v41 :: v_dual_lshlrev_b32 v40, 2, v40
	ds_bpermute_b32 v40, v40, v27
	s_wait_dscnt 0x0
	v_dual_max_num_f32 v40, v40, v40 :: v_dual_bitop2_b32 v41, 8, v37 bitop3:0x14
	v_cmp_gt_i32_e32 vcc_lo, 32, v41
	s_delay_alu instid0(VALU_DEP_2) | instskip(NEXT) | instid1(VALU_DEP_1)
	v_dual_max_num_f32 v27, v27, v40 :: v_dual_cndmask_b32 v41, v37, v41, vcc_lo
	v_lshlrev_b32_e32 v41, 2, v41
	ds_bpermute_b32 v40, v41, v27
	s_wait_dscnt 0x0
	v_dual_max_num_f32 v40, v40, v40 :: v_dual_bitop2_b32 v41, 4, v37 bitop3:0x14
	s_delay_alu instid0(VALU_DEP_1) | instskip(NEXT) | instid1(VALU_DEP_2)
	v_max_num_f32_e32 v27, v27, v40
	v_cmp_gt_i32_e32 vcc_lo, 32, v41
	v_cndmask_b32_e32 v41, v37, v41, vcc_lo
	s_delay_alu instid0(VALU_DEP_1) | instskip(SKIP_2) | instid1(VALU_DEP_1)
	v_lshlrev_b32_e32 v41, 2, v41
	ds_bpermute_b32 v40, v41, v27
	v_xor_b32_e32 v41, 2, v37
	v_cmp_gt_i32_e32 vcc_lo, 32, v41
	s_wait_dscnt 0x0
	v_max_num_f32_e32 v40, v40, v40
	s_delay_alu instid0(VALU_DEP_1) | instskip(NEXT) | instid1(VALU_DEP_1)
	v_dual_max_num_f32 v27, v27, v40 :: v_dual_cndmask_b32 v41, v37, v41, vcc_lo
	v_lshlrev_b32_e32 v41, 2, v41
	ds_bpermute_b32 v40, v41, v27
	s_wait_dscnt 0x0
	v_max_num_f32_e32 v40, v40, v40
	s_delay_alu instid0(VALU_DEP_1) | instskip(NEXT) | instid1(VALU_DEP_1)
	v_dual_max_num_f32 v27, v27, v40 :: v_dual_bitop2_b32 v41, 1, v37 bitop3:0x14
	v_cmp_gt_i32_e32 vcc_lo, 32, v41
	v_cndmask_b32_e32 v41, v37, v41, vcc_lo
	s_delay_alu instid0(VALU_DEP_1) | instskip(SKIP_3) | instid1(VALU_DEP_1)
	v_lshlrev_b32_e32 v41, 2, v41
	ds_bpermute_b32 v40, v41, v27
	s_wait_dscnt 0x0
	v_max_num_f32_e32 v40, v40, v40
	v_max_num_f32_e32 v27, v27, v40
	s_delay_alu instid0(VALU_DEP_1) | instskip(NEXT) | instid1(VALU_DEP_1)
	v_sub_f32_e32 v20, v20, v27
	v_mul_f32_e32 v40, 0x3fb8aa3b, v20
	v_cmp_ngt_f32_e32 vcc_lo, 0xc2ce8ed0, v20
	s_delay_alu instid0(VALU_DEP_2) | instskip(SKIP_1) | instid1(VALU_DEP_1)
	v_fma_f32 v41, 0x3fb8aa3b, v20, -v40
	v_rndne_f32_e32 v42, v40
	v_dual_fmac_f32 v41, 0x32a5705f, v20 :: v_dual_sub_f32 v40, v40, v42
	s_delay_alu instid0(VALU_DEP_1) | instskip(SKIP_1) | instid1(VALU_DEP_2)
	v_add_f32_e32 v40, v40, v41
	v_cvt_i32_f32_e32 v41, v42
	v_exp_f32_e32 v40, v40
	v_nop
	s_delay_alu instid0(TRANS32_DEP_1) | instskip(NEXT) | instid1(VALU_DEP_1)
	v_ldexp_f32 v40, v40, v41
	v_cndmask_b32_e32 v40, 0, v40, vcc_lo
	v_cmp_nlt_f32_e32 vcc_lo, 0x42b17218, v20
	s_delay_alu instid0(VALU_DEP_2) | instskip(NEXT) | instid1(VALU_DEP_1)
	v_cndmask_b32_e32 v20, 0x7f800000, v40, vcc_lo
	v_cvt_f16_f32_e32 v40, v20
	ds_store_b16 v29, v40
	s_and_saveexec_b32 s25, s3
	s_cbranch_execz .LBB65_17
; %bb.16:                               ;   in Loop: Header=BB65_10 Depth=1
	v_lshl_add_u64 v[40:41], v[4:5], 2, s[26:27]
	global_load_b128 v[40:43], v[40:41], off offset:128
	s_wait_loadcnt 0x0
	ds_store_b128 v31, v[40:43]
.LBB65_17:                              ;   in Loop: Header=BB65_10 Depth=1
	s_or_b32 exec_lo, exec_lo, s25
	v_lshl_add_u64 v[40:41], v[8:9], 2, s[26:27]
	v_lshl_add_u64 v[42:43], v[10:11], 2, s[26:27]
	v_dual_sub_f32 v39, v39, v27 :: v_dual_add_nc_u32 v64, 0x800, v16
	s_delay_alu instid0(VALU_DEP_3) | instskip(NEXT) | instid1(VALU_DEP_3)
	v_add_nc_u64_e32 v[48:49], v[40:41], v[0:1]
	v_add_nc_u64_e32 v[50:51], v[42:43], v[0:1]
	s_clause 0x1
	global_load_b128 v[40:43], v[48:49], off
	global_load_b128 v[44:47], v[50:51], off
	s_wait_loadcnt 0x1
	ds_store_b128 v34, v[40:43]
	s_wait_loadcnt 0x0
	ds_store_b128 v33, v[44:47]
	s_wait_dscnt 0x0
	s_barrier_signal -1
	s_barrier_wait -1
	ds_load_b128 v[40:43], v18
	v_mul_f32_e32 v48, 0x3fb8aa3b, v39
	s_delay_alu instid0(VALU_DEP_1) | instskip(SKIP_1) | instid1(VALU_DEP_1)
	v_fma_f32 v49, 0x3fb8aa3b, v39, -v48
	v_rndne_f32_e32 v50, v48
	v_sub_f32_e32 v48, v48, v50
	v_cmp_ngt_f32_e32 vcc_lo, 0xc2ce8ed0, v39
	s_delay_alu instid0(VALU_DEP_4) | instskip(NEXT) | instid1(VALU_DEP_1)
	v_fmac_f32_e32 v49, 0x32a5705f, v39
	v_add_f32_e32 v48, v48, v49
	v_cvt_i32_f32_e32 v49, v50
	s_delay_alu instid0(VALU_DEP_2) | instskip(SKIP_1) | instid1(TRANS32_DEP_1)
	v_exp_f32_e32 v48, v48
	v_nop
	v_ldexp_f32 v44, v48, v49
	s_delay_alu instid0(VALU_DEP_1)
	v_cndmask_b32_e32 v48, 0, v44, vcc_lo
	ds_load_2addr_b64 v[44:47], v16 offset1:18
	v_cmp_nlt_f32_e32 vcc_lo, 0x42b17218, v39
	v_cndmask_b32_e32 v39, 0x7f800000, v48, vcc_lo
	ds_load_b128 v[48:51], v18 offset:16
	s_wait_dscnt 0x2
	v_and_b32_e32 v56, 0xffff, v40
	v_lshrrev_b32_e32 v40, 16, v40
	v_and_b32_e32 v61, 0xffff, v41
	v_cvt_f16_f32_e32 v52, v39
	v_lshrrev_b32_e32 v41, 16, v41
	v_mul_u32_u24_e32 v56, 0x10001, v56
	v_mul_u32_u24_e32 v40, 0x10001, v40
	s_delay_alu instid0(VALU_DEP_4)
	v_and_b32_e32 v57, 0xffff, v52
	ds_load_2addr_b64 v[52:55], v16 offset0:36 offset1:54
	v_mul_u32_u24_e32 v41, 0x10001, v41
	s_wait_dscnt 0x2
	v_pk_mul_f16 v44, v44, v56
	v_mul_u32_u24_e32 v60, 0x10001, v57
	v_pk_mul_f16 v45, v45, v56
	ds_load_2addr_b64 v[56:59], v16 offset0:72 offset1:90
	v_pk_fma_f16 v24, v24, v60, v44
	v_pk_fma_f16 v23, v23, v60, v45
	v_mul_u32_u24_e32 v60, 0x10001, v61
	s_wait_dscnt 0x2
	v_and_b32_e32 v61, 0xffff, v49
	v_lshrrev_b32_e32 v49, 16, v49
	v_pk_fma_f16 v24, v46, v40, v24
	v_pk_fma_f16 v23, v47, v40, v23
	ds_load_2addr_b64 v[44:47], v16 offset0:108 offset1:126
	v_and_b32_e32 v40, 0xffff, v42
	v_lshrrev_b32_e32 v42, 16, v42
	v_mul_u32_u24_e32 v61, 0x10001, v61
	s_wait_dscnt 0x2
	v_pk_fma_f16 v24, v52, v60, v24
	v_pk_fma_f16 v23, v53, v60, v23
	v_mul_u32_u24_e32 v40, 0x10001, v40
	v_mul_u32_u24_e32 v42, 0x10001, v42
	v_add_nc_u32_e32 v60, 0x400, v16
	v_pk_fma_f16 v24, v54, v41, v24
	v_pk_fma_f16 v23, v55, v41, v23
	ds_load_2addr_b64 v[52:55], v16 offset0:144 offset1:162
	v_and_b32_e32 v41, 0xffff, v43
	v_dual_fmac_f32 v20, v38, v39 :: v_dual_add_nc_u32 v65, 0xc00, v16
	s_wait_dscnt 0x2
	v_pk_fma_f16 v24, v56, v40, v24
	v_pk_fma_f16 v23, v57, v40, v23
	v_lshrrev_b32_e32 v56, 16, v43
	v_mul_u32_u24_e32 v57, 0x10001, v41
	s_delay_alu instid0(VALU_DEP_4) | instskip(NEXT) | instid1(VALU_DEP_4)
	v_pk_fma_f16 v24, v58, v42, v24
	v_pk_fma_f16 v23, v59, v42, v23
	ds_load_2addr_b64 v[40:43], v16 offset0:180 offset1:198
	v_and_b32_e32 v58, 0xffff, v48
	v_lshrrev_b32_e32 v48, 16, v48
	v_mul_u32_u24_e32 v56, 0x10001, v56
	s_wait_dscnt 0x2
	v_pk_fma_f16 v24, v44, v57, v24
	v_pk_fma_f16 v23, v45, v57, v23
	v_mul_u32_u24_e32 v57, 0x10001, v58
	v_mul_u32_u24_e32 v48, 0x10001, v48
	s_delay_alu instid0(VALU_DEP_4) | instskip(NEXT) | instid1(VALU_DEP_4)
	v_pk_fma_f16 v24, v46, v56, v24
	v_pk_fma_f16 v23, v47, v56, v23
	ds_load_2addr_b64 v[44:47], v16 offset0:216 offset1:234
	s_wait_dscnt 0x2
	v_pk_fma_f16 v24, v52, v57, v24
	v_pk_fma_f16 v23, v53, v57, v23
	ds_load_b128 v[56:59], v18 offset:32
	v_pk_fma_f16 v24, v54, v48, v24
	v_pk_fma_f16 v23, v55, v48, v23
	ds_load_2addr_b64 v[52:55], v60 offset0:124 offset1:142
	v_and_b32_e32 v48, 0xffff, v50
	v_lshrrev_b32_e32 v50, 16, v50
	v_mul_u32_u24_e32 v49, 0x10001, v49
	s_wait_dscnt 0x3
	v_pk_fma_f16 v24, v40, v61, v24
	v_pk_fma_f16 v23, v41, v61, v23
	v_mul_u32_u24_e32 v48, 0x10001, v48
	v_mul_u32_u24_e32 v50, 0x10001, v50
	ds_load_b128 v[60:63], v18 offset:48
	v_pk_fma_f16 v24, v42, v49, v24
	v_pk_fma_f16 v23, v43, v49, v23
	ds_load_2addr_b64 v[40:43], v64 offset0:32 offset1:50
	v_and_b32_e32 v49, 0xffff, v51
	s_wait_dscnt 0x4
	v_pk_fma_f16 v24, v44, v48, v24
	v_pk_fma_f16 v23, v45, v48, v23
	v_lshrrev_b32_e32 v48, 16, v51
	v_mul_u32_u24_e32 v49, 0x10001, v49
	s_wait_dscnt 0x3
	v_and_b32_e32 v68, 0xffff, v59
	v_pk_fma_f16 v24, v46, v50, v24
	v_pk_fma_f16 v23, v47, v50, v23
	ds_load_2addr_b64 v[44:47], v64 offset0:68 offset1:86
	v_and_b32_e32 v50, 0xffff, v56
	s_wait_dscnt 0x3
	v_pk_fma_f16 v24, v52, v49, v24
	v_pk_fma_f16 v23, v53, v49, v23
	v_lshrrev_b32_e32 v52, 16, v56
	v_mul_u32_u24_e32 v48, 0x10001, v48
	v_mul_u32_u24_e32 v53, 0x10001, v50
	v_add_nc_u32_e32 v56, 0x1000, v16
	s_delay_alu instid0(VALU_DEP_4) | instskip(NEXT) | instid1(VALU_DEP_4)
	v_mul_u32_u24_e32 v52, 0x10001, v52
	v_pk_fma_f16 v24, v54, v48, v24
	v_pk_fma_f16 v23, v55, v48, v23
	ds_load_2addr_b64 v[48:51], v64 offset0:104 offset1:122
	v_and_b32_e32 v54, 0xffff, v57
	s_wait_dscnt 0x2
	v_pk_fma_f16 v24, v40, v53, v24
	v_pk_fma_f16 v23, v41, v53, v23
	v_lshrrev_b32_e32 v53, 16, v57
	v_mul_u32_u24_e32 v54, 0x10001, v54
	v_and_b32_e32 v57, 0xffff, v58
	v_pk_fma_f16 v24, v42, v52, v24
	v_pk_fma_f16 v23, v43, v52, v23
	ds_load_2addr_b64 v[40:43], v64 offset0:140 offset1:158
	v_lshrrev_b32_e32 v58, 16, v58
	v_mul_u32_u24_e32 v66, 0x10001, v53
	s_wait_dscnt 0x2
	v_pk_fma_f16 v24, v44, v54, v24
	v_pk_fma_f16 v23, v45, v54, v23
	v_mul_u32_u24_e32 v57, 0x10001, v57
	ds_load_2addr_b64 v[52:55], v64 offset0:176 offset1:194
	v_mul_u32_u24_e32 v58, 0x10001, v58
	v_pk_fma_f16 v24, v46, v66, v24
	v_pk_fma_f16 v23, v47, v66, v23
	ds_load_2addr_b64 v[44:47], v64 offset0:212 offset1:230
	ds_load_2addr_b64 v[64:67], v65 offset0:120 offset1:138
	s_wait_dscnt 0x4
	v_pk_fma_f16 v24, v48, v57, v24
	v_pk_fma_f16 v23, v49, v57, v23
	v_lshrrev_b32_e32 v57, 16, v59
	v_mul_u32_u24_e32 v59, 0x10001, v68
	s_delay_alu instid0(VALU_DEP_4) | instskip(NEXT) | instid1(VALU_DEP_4)
	v_pk_fma_f16 v24, v50, v58, v24
	v_pk_fma_f16 v23, v51, v58, v23
	ds_load_2addr_b64 v[48:51], v56 offset0:28 offset1:46
	v_and_b32_e32 v56, 0xffff, v60
	s_wait_dscnt 0x0
	v_pk_fma_f16 v24, v40, v59, v24
	v_pk_fma_f16 v23, v41, v59, v23
	v_lshrrev_b32_e32 v40, 16, v60
	v_mul_u32_u24_e32 v57, 0x10001, v57
	v_mul_u32_u24_e32 v41, 0x10001, v56
	s_barrier_signal -1
	s_barrier_wait -1
	v_mul_u32_u24_e32 v40, 0x10001, v40
	v_pk_fma_f16 v24, v42, v57, v24
	v_pk_fma_f16 v23, v43, v57, v23
	v_and_b32_e32 v42, 0xffff, v61
	s_load_b32 s25, s[8:9], 0x4
	s_delay_alu instid0(VALU_DEP_3) | instskip(NEXT) | instid1(VALU_DEP_3)
	v_pk_fma_f16 v24, v52, v41, v24
	v_pk_fma_f16 v23, v53, v41, v23
	v_lshrrev_b32_e32 v41, 16, v61
	v_mul_u32_u24_e32 v42, 0x10001, v42
	s_delay_alu instid0(VALU_DEP_4) | instskip(NEXT) | instid1(VALU_DEP_4)
	v_pk_fma_f16 v24, v54, v40, v24
	v_pk_fma_f16 v23, v55, v40, v23
	v_and_b32_e32 v40, 0xffff, v62
	s_delay_alu instid0(VALU_DEP_3) | instskip(NEXT) | instid1(VALU_DEP_3)
	v_pk_fma_f16 v24, v44, v42, v24
	v_pk_fma_f16 v23, v45, v42, v23
	v_lshrrev_b32_e32 v42, 16, v62
	v_mul_u32_u24_e32 v41, 0x10001, v41
	v_mul_u32_u24_e32 v40, 0x10001, v40
	s_delay_alu instid0(VALU_DEP_3) | instskip(NEXT) | instid1(VALU_DEP_3)
	v_mul_u32_u24_e32 v42, 0x10001, v42
	v_pk_fma_f16 v24, v46, v41, v24
	v_pk_fma_f16 v23, v47, v41, v23
	v_and_b32_e32 v41, 0xffff, v63
	s_wait_kmcnt 0x0
	s_lshl_b32 s25, s25, 5
	v_pk_fma_f16 v24, v64, v40, v24
	v_pk_fma_f16 v23, v65, v40, v23
	v_lshrrev_b32_e32 v40, 16, v63
	v_mul_u32_u24_e32 v41, 0x10001, v41
	s_add_co_i32 s24, s25, s24
	v_pk_fma_f16 v24, v66, v42, v24
	v_pk_fma_f16 v23, v67, v42, v23
	v_mul_u32_u24_e32 v40, 0x10001, v40
	s_cmp_lt_i32 s24, s36
	s_delay_alu instid0(VALU_DEP_3) | instskip(NEXT) | instid1(VALU_DEP_3)
	v_pk_fma_f16 v24, v48, v41, v24
	v_pk_fma_f16 v23, v49, v41, v23
	s_delay_alu instid0(VALU_DEP_2) | instskip(NEXT) | instid1(VALU_DEP_2)
	v_pk_fma_f16 v24, v50, v40, v24
	v_pk_fma_f16 v23, v51, v40, v23
	s_cbranch_scc0 .LBB65_20
; %bb.18:                               ;   in Loop: Header=BB65_10 Depth=1
	v_dual_mov_b32 v39, v27 :: v_dual_mov_b32 v38, v20
	s_branch .LBB65_10
.LBB65_19:
	v_dual_mov_b32 v23, 0 :: v_dual_mov_b32 v20, 0
	v_dual_mov_b32 v27, 0xfeffffff :: v_dual_mov_b32 v24, 0
.LBB65_20:
	s_cmp_gt_i32 s34, s24
	s_cbranch_scc1 .LBB65_23
; %bb.21:
	v_mbcnt_lo_u32_b32 v2, -1, 0
	v_mov_b32_e32 v8, 32
	s_delay_alu instid0(VALU_DEP_2)
	v_xor_b32_e32 v1, 16, v2
	v_xor_b32_e32 v4, 8, v2
	;; [unrolled: 1-line block ×5, first 2 shown]
	s_cbranch_execz .LBB65_24
; %bb.22:
	v_dual_mov_b32 v0, v27 :: v_dual_mov_b32 v17, v2
	s_branch .LBB65_33
.LBB65_23:
                                        ; implicit-def: $vgpr2
                                        ; implicit-def: $vgpr8
                                        ; implicit-def: $vgpr1
                                        ; implicit-def: $vgpr4
                                        ; implicit-def: $vgpr5
                                        ; implicit-def: $vgpr6
                                        ; implicit-def: $vgpr7
.LBB65_24:
	s_ashr_i32 s25, s24, 31
	s_ashr_i32 s5, s4, 31
	s_sub_co_i32 s9, s34, s24
	s_mul_u64 s[26:27], s[24:25], s[4:5]
	v_cmp_gt_u32_e64 s5, 32, v21
	s_lshl_b64 s[26:27], s[26:27], 2
	v_cmp_gt_i32_e32 vcc_lo, s9, v21
	s_add_nc_u64 s[6:7], s[6:7], s[26:27]
	s_and_saveexec_b32 s3, s5
	s_cbranch_execz .LBB65_26
; %bb.25:
	v_mul_lo_u32 v0, s4, v21
	v_mbcnt_lo_u32_b32 v3, -1, 0
	s_delay_alu instid0(VALU_DEP_1) | instskip(NEXT) | instid1(VALU_DEP_3)
	v_dual_mov_b32 v2, 0 :: v_dual_lshlrev_b32 v3, 20, v3
	v_ashrrev_i32_e32 v1, 31, v0
	s_delay_alu instid0(VALU_DEP_1) | instskip(NEXT) | instid1(VALU_DEP_1)
	v_lshl_add_u64 v[0:1], v[0:1], 2, s[6:7]
	v_add_nc_u64_e32 v[6:7], 0x80, v[0:1]
	v_mov_b32_e32 v0, 0
	v_add_nc_u64_e32 v[4:5], src_flat_scratch_base_lo, v[2:3]
	s_delay_alu instid0(VALU_DEP_2)
	v_dual_mov_b32 v1, v0 :: v_dual_mov_b32 v2, v0
	s_clause 0x1
	scratch_store_b32 off, v0, off
	scratch_store_b96 off, v[0:2], off offset:4
	v_dual_cndmask_b32 v5, v5, v7 :: v_dual_cndmask_b32 v4, v4, v6
	flat_load_b128 v[0:3], v[4:5]
	s_wait_xcnt 0x0
	v_mul_u32_u24_e32 v4, 0xa0, v21
	s_wait_loadcnt_dscnt 0x0
	ds_store_b128 v4, v[0:3] offset:128
.LBB65_26:
	s_or_b32 exec_lo, exec_lo, s3
	v_lshl_add_u32 v9, v26, 2, v28
	v_dual_lshlrev_b32 v1, 2, v14 :: v_dual_lshlrev_b32 v5, 20, v17
	s_mov_b32 s36, 0
	v_dual_mov_b32 v4, 0 :: v_dual_mov_b32 v3, 0
	s_delay_alu instid0(VALU_DEP_3) | instskip(NEXT) | instid1(VALU_DEP_3)
	v_mul_lo_u32 v0, s4, v9
	v_and_b32_e32 v2, 28, v1
	s_mov_b32 s37, s36
	s_mov_b32 s38, s36
	v_add_nc_u64_e32 v[12:13], src_flat_scratch_base_lo, v[4:5]
	v_cmp_gt_i32_e64 s3, s9, v9
	v_dual_mov_b32 v28, s36 :: v_dual_mov_b32 v29, s37
	v_mov_b32_e32 v30, s38
	s_clause 0x1
	scratch_store_b32 off, v3, off
	scratch_store_b96 off, v[28:30], off offset:4
	v_dual_ashrrev_i32 v1, 31, v0 :: v_dual_lshlrev_b32 v2, 2, v2
	v_add_nc_u32_e32 v11, 16, v9
	s_delay_alu instid0(VALU_DEP_2) | instskip(SKIP_1) | instid1(VALU_DEP_4)
	v_lshl_add_u64 v[6:7], v[0:1], 2, s[6:7]
	v_lshl_add_u32 v0, s4, 4, v0
	v_mad_u32_u24 v8, 0xa0, v9, v2
	s_delay_alu instid0(VALU_DEP_4) | instskip(NEXT) | instid1(VALU_DEP_4)
	v_cmp_gt_i32_e64 s4, s9, v11
	v_add_nc_u64_e32 v[4:5], v[6:7], v[2:3]
	s_delay_alu instid0(VALU_DEP_4) | instskip(NEXT) | instid1(VALU_DEP_1)
	v_ashrrev_i32_e32 v1, 31, v0
	v_lshl_add_u64 v[0:1], v[0:1], 2, s[6:7]
	s_delay_alu instid0(VALU_DEP_3) | instskip(SKIP_1) | instid1(VALU_DEP_2)
	v_dual_cndmask_b32 v5, v13, v5, s3 :: v_dual_cndmask_b32 v4, v12, v4, s3
	s_mov_b32 s7, exec_lo
	v_add_nc_u64_e32 v[0:1], v[0:1], v[2:3]
	flat_load_b128 v[4:7], v[4:5]
	s_clause 0x1
	scratch_store_b32 off, v3, off
	scratch_store_b96 off, v[28:30], off offset:4
	v_dual_cndmask_b32 v1, v13, v1, s4 :: v_dual_cndmask_b32 v0, v12, v0, s4
	s_wait_loadcnt_dscnt 0x0
	ds_store_b128 v8, v[4:7]
	flat_load_b128 v[4:7], v[0:1]
	s_wait_xcnt 0x0
	v_mov_b32_e32 v0, v27
	s_wait_loadcnt_dscnt 0x0
	ds_store_b128 v8, v[4:7] offset:2560
	s_wait_storecnt_dscnt 0x0
	s_barrier_signal -1
	s_barrier_wait -1
	ds_load_b128 v[4:7], v25
	ds_load_b128 v[28:31], v22
	v_mov_b32_e32 v8, v3
	s_wait_dscnt 0x0
	;;#ASMSTART
	v_dot2_f32_f16 v8, v4, v28, v8
	;;#ASMEND
	;;#ASMSTART
	v_dot2_f32_f16 v8, v5, v29, v8
	;;#ASMEND
	;;#ASMSTART
	v_dot2_f32_f16 v8, v6, v30, v8
	;;#ASMEND
	;;#ASMSTART
	v_dot2_f32_f16 v8, v7, v31, v8
	;;#ASMEND
	ds_load_b128 v[4:7], v25 offset:16
	ds_load_b128 v[28:31], v22 offset:16
	s_wait_dscnt 0x0
	;;#ASMSTART
	v_dot2_f32_f16 v8, v4, v28, v8
	;;#ASMEND
	;;#ASMSTART
	v_dot2_f32_f16 v8, v5, v29, v8
	;;#ASMEND
	;;#ASMSTART
	v_dot2_f32_f16 v8, v6, v30, v8
	;;#ASMEND
	;;#ASMSTART
	v_dot2_f32_f16 v8, v7, v31, v8
	;;#ASMEND
	ds_load_b128 v[4:7], v25 offset:32
	ds_load_b128 v[28:31], v22 offset:32
	;; [unrolled: 15-line block ×8, first 2 shown]
	s_wait_dscnt 0x0
	;;#ASMSTART
	v_dot2_f32_f16 v8, v4, v28, v8
	;;#ASMEND
	;;#ASMSTART
	v_dot2_f32_f16 v8, v5, v29, v8
	;;#ASMEND
	;; [unrolled: 3-line block ×4, first 2 shown]
	v_cmpx_gt_i32_e64 s9, v14
	s_cbranch_execz .LBB65_30
; %bb.27:
	s_cmp_eq_u64 s[30:31], 0
	s_cbranch_scc1 .LBB65_29
; %bb.28:
	v_mul_hi_u32 v0, s20, v15
	s_delay_alu instid0(VALU_DEP_1) | instskip(NEXT) | instid1(VALU_DEP_1)
	v_add_nc_u32_e32 v0, v15, v0
	v_lshrrev_b32_e32 v0, s21, v0
	s_delay_alu instid0(VALU_DEP_1) | instskip(NEXT) | instid1(VALU_DEP_1)
	v_mul_lo_u32 v0, v0, s22
	v_sub_nc_u32_e32 v0, v15, v0
	s_delay_alu instid0(VALU_DEP_1) | instskip(NEXT) | instid1(VALU_DEP_1)
	v_mul_lo_u32 v0, v0, s35
	v_add3_u32 v0, v0, v14, s24
	global_load_u16 v0, v0, s[30:31] scale_offset
	s_wait_loadcnt 0x0
	v_cvt_f32_f16_e32 v0, v0
	s_delay_alu instid0(VALU_DEP_1)
	v_mul_f32_e32 v3, v19, v0
.LBB65_29:
	v_max_num_f32_e32 v1, v27, v27
	s_delay_alu instid0(VALU_DEP_2) | instskip(NEXT) | instid1(VALU_DEP_1)
	v_add_f32_e32 v8, v8, v3
	v_add_f32_e32 v0, 0x40051340, v8
	s_delay_alu instid0(VALU_DEP_1)
	v_max_num_f32_e32 v0, v1, v0
.LBB65_30:
	s_or_b32 exec_lo, exec_lo, s7
	v_xor_b32_e32 v1, 16, v17
	s_ashr_i32 s15, s14, 31
	s_mov_b32 s8, 0
	s_barrier_signal -1
	s_delay_alu instid0(VALU_DEP_1) | instskip(SKIP_1) | instid1(VALU_DEP_1)
	v_cmp_gt_i32_e64 s6, 32, v1
	s_barrier_wait -1
	v_cndmask_b32_e64 v3, v17, v1, s6
	s_delay_alu instid0(VALU_DEP_1) | instskip(SKIP_4) | instid1(VALU_DEP_2)
	v_lshlrev_b32_e32 v3, 2, v3
	ds_bpermute_b32 v3, v3, v0
	v_dual_max_num_f32 v0, v0, v0 :: v_dual_bitop2_b32 v4, 8, v17 bitop3:0x14
	s_wait_dscnt 0x0
	v_max_num_f32_e32 v3, v3, v3
	v_cmp_gt_i32_e64 s6, 32, v4
	s_delay_alu instid0(VALU_DEP_1) | instskip(NEXT) | instid1(VALU_DEP_1)
	v_dual_max_num_f32 v0, v0, v3 :: v_dual_cndmask_b32 v5, v17, v4, s6
	v_lshlrev_b32_e32 v5, 2, v5
	ds_bpermute_b32 v3, v5, v0
	v_xor_b32_e32 v5, 4, v17
	s_delay_alu instid0(VALU_DEP_1) | instskip(SKIP_1) | instid1(VALU_DEP_1)
	v_cmp_gt_i32_e64 s6, 32, v5
	s_wait_dscnt 0x0
	v_dual_max_num_f32 v3, v3, v3 :: v_dual_cndmask_b32 v6, v17, v5, s6
	s_delay_alu instid0(VALU_DEP_1) | instskip(SKIP_3) | instid1(VALU_DEP_1)
	v_dual_max_num_f32 v0, v0, v3 :: v_dual_lshlrev_b32 v6, 2, v6
	ds_bpermute_b32 v3, v6, v0
	s_wait_dscnt 0x0
	v_dual_max_num_f32 v3, v3, v3 :: v_dual_bitop2_b32 v6, 2, v17 bitop3:0x14
	v_cmp_gt_i32_e64 s6, 32, v6
	s_delay_alu instid0(VALU_DEP_1) | instskip(NEXT) | instid1(VALU_DEP_1)
	v_dual_max_num_f32 v0, v0, v3 :: v_dual_cndmask_b32 v7, v17, v6, s6
	v_lshlrev_b32_e32 v7, 2, v7
	ds_bpermute_b32 v3, v7, v0
	s_wait_dscnt 0x0
	v_dual_max_num_f32 v3, v3, v3 :: v_dual_bitop2_b32 v7, 1, v17 bitop3:0x14
	s_delay_alu instid0(VALU_DEP_1) | instskip(NEXT) | instid1(VALU_DEP_2)
	v_cmp_gt_i32_e64 s6, 32, v7
	v_max_num_f32_e32 v0, v0, v3
	s_delay_alu instid0(VALU_DEP_2) | instskip(NEXT) | instid1(VALU_DEP_1)
	v_cndmask_b32_e64 v10, v17, v7, s6
	v_lshlrev_b32_e32 v10, 2, v10
	ds_bpermute_b32 v3, v10, v0
	s_wait_dscnt 0x0
	v_max_num_f32_e32 v3, v3, v3
	s_delay_alu instid0(VALU_DEP_1) | instskip(NEXT) | instid1(VALU_DEP_1)
	v_max_num_f32_e32 v0, v0, v3
	v_sub_f32_e32 v3, v8, v0
	s_delay_alu instid0(VALU_DEP_1) | instskip(SKIP_1) | instid1(VALU_DEP_2)
	v_mul_f32_e32 v8, 0x3fb8aa3b, v3
	v_cmp_ngt_f32_e64 s6, 0xc2ce8ed0, v3
	v_fma_f32 v10, 0x3fb8aa3b, v3, -v8
	v_rndne_f32_e32 v12, v8
	s_delay_alu instid0(VALU_DEP_2) | instskip(NEXT) | instid1(VALU_DEP_2)
	v_fmac_f32_e32 v10, 0x32a5705f, v3
	v_sub_f32_e32 v8, v8, v12
	s_delay_alu instid0(VALU_DEP_1) | instskip(SKIP_1) | instid1(VALU_DEP_2)
	v_add_f32_e32 v8, v8, v10
	v_cvt_i32_f32_e32 v10, v12
	v_exp_f32_e32 v8, v8
	v_nop
	s_delay_alu instid0(TRANS32_DEP_1) | instskip(NEXT) | instid1(VALU_DEP_1)
	v_ldexp_f32 v8, v8, v10
	v_cndmask_b32_e64 v8, 0, v8, s6
	v_cmp_nlt_f32_e64 s6, 0x42b17218, v3
	s_delay_alu instid0(VALU_DEP_1) | instskip(SKIP_1) | instid1(VALU_DEP_1)
	v_cndmask_b32_e64 v3, 0x7f800000, v8, s6
	v_cmp_gt_u32_e64 s6, s9, v14
	v_dual_mov_b32 v8, 32 :: v_dual_cndmask_b32 v10, 0, v3, s6
	s_mul_u64 s[6:7], s[24:25], s[14:15]
	v_lshl_add_u32 v3, v14, 1, v18
	s_lshl_b64 s[6:7], s[6:7], 2
	s_delay_alu instid0(VALU_DEP_2)
	v_cvt_f16_f32_e32 v12, v10
	s_add_nc_u64 s[6:7], s[10:11], s[6:7]
	ds_store_b16 v3, v12
	s_and_saveexec_b32 s9, s5
	s_cbranch_execz .LBB65_32
; %bb.31:
	v_mul_lo_u32 v12, s14, v21
	v_mbcnt_lo_u32_b32 v3, -1, 0
	s_delay_alu instid0(VALU_DEP_1) | instskip(SKIP_1) | instid1(VALU_DEP_4)
	v_dual_mov_b32 v28, 0 :: v_dual_lshlrev_b32 v29, 20, v3
	v_mul_u32_u24_e32 v3, 0x90, v21
	v_ashrrev_i32_e32 v13, 31, v12
	s_delay_alu instid0(VALU_DEP_3) | instskip(SKIP_1) | instid1(VALU_DEP_3)
	v_add_nc_u64_e32 v[32:33], src_flat_scratch_base_lo, v[28:29]
	v_mov_b32_e32 v28, 0
	v_lshl_add_u64 v[12:13], v[12:13], 2, s[6:7]
	s_delay_alu instid0(VALU_DEP_2) | instskip(SKIP_4) | instid1(VALU_DEP_1)
	v_dual_mov_b32 v29, v28 :: v_dual_mov_b32 v30, v28
	s_clause 0x1
	scratch_store_b32 off, v28, off
	scratch_store_b96 off, v[28:30], off offset:4
	v_add_nc_u64_e32 v[12:13], 0x80, v[12:13]
	v_dual_cndmask_b32 v13, v33, v13 :: v_dual_cndmask_b32 v12, v32, v12
	flat_load_b128 v[28:31], v[12:13]
	s_wait_loadcnt_dscnt 0x0
	ds_store_b128 v3, v[28:31] offset:128
.LBB65_32:
	s_wait_xcnt 0x0
	s_or_b32 exec_lo, exec_lo, s9
	v_mul_lo_u32 v12, s14, v9
	v_mbcnt_lo_u32_b32 v19, -1, 0
	v_mov_b32_e32 v28, 0
	s_mov_b32 s10, s8
	s_mov_b32 s9, s8
	s_delay_alu instid0(SALU_CYCLE_1) | instskip(SKIP_3) | instid1(VALU_DEP_3)
	v_dual_mov_b32 v34, s10 :: v_dual_mov_b32 v33, s9
	v_lshlrev_b32_e32 v29, 20, v19
	v_mad_u32_u24 v9, 0x90, v9, v2
	v_dual_mov_b32 v3, 0 :: v_dual_ashrrev_i32 v13, 31, v12
	v_add_nc_u64_e32 v[36:37], src_flat_scratch_base_lo, v[28:29]
	s_delay_alu instid0(VALU_DEP_2) | instskip(NEXT) | instid1(VALU_DEP_1)
	v_lshl_add_u64 v[12:13], v[12:13], 2, s[6:7]
	v_add_nc_u64_e32 v[12:13], v[12:13], v[2:3]
	s_delay_alu instid0(VALU_DEP_1) | instskip(NEXT) | instid1(VALU_DEP_2)
	v_dual_mov_b32 v32, s8 :: v_dual_cndmask_b32 v13, v37, v13, s3
	v_cndmask_b32_e64 v12, v36, v12, s3
	s_clause 0x1
	scratch_store_b32 off, v3, off
	scratch_store_b96 off, v[32:34], off offset:4
	flat_load_b128 v[28:31], v[12:13]
	s_wait_xcnt 0x0
	v_mul_lo_u32 v12, s14, v11
	s_clause 0x1
	scratch_store_b32 off, v3, off
	scratch_store_b96 off, v[32:34], off offset:4
	v_ashrrev_i32_e32 v13, 31, v12
	s_delay_alu instid0(VALU_DEP_1) | instskip(NEXT) | instid1(VALU_DEP_1)
	v_lshl_add_u64 v[12:13], v[12:13], 2, s[6:7]
	v_add_nc_u64_e32 v[12:13], v[12:13], v[2:3]
	s_wait_xcnt 0x1
	v_sub_f32_e32 v3, v27, v0
	v_mad_u32_u24 v2, 0x90, v11, v2
	s_delay_alu instid0(VALU_DEP_3)
	v_dual_cndmask_b32 v13, v37, v13, s4 :: v_dual_cndmask_b32 v12, v36, v12, s4
	s_wait_loadcnt_dscnt 0x0
	ds_store_b128 v9, v[28:31]
	flat_load_b128 v[28:31], v[12:13]
	v_mul_f32_e32 v9, 0x3fb8aa3b, v3
	s_wait_xcnt 0x0
	s_delay_alu instid0(VALU_DEP_1) | instskip(SKIP_1) | instid1(VALU_DEP_1)
	v_fma_f32 v12, 0x3fb8aa3b, v3, -v9
	v_rndne_f32_e32 v13, v9
	v_sub_f32_e32 v9, v9, v13
	v_cvt_i32_f32_e32 v11, v13
	v_cmp_ngt_f32_e32 vcc_lo, 0xc2ce8ed0, v3
	s_wait_loadcnt_dscnt 0x0
	ds_store_b128 v2, v[28:31]
	s_wait_storecnt_dscnt 0x0
	s_barrier_signal -1
	s_barrier_wait -1
	ds_load_b128 v[26:29], v18
	ds_load_b128 v[34:37], v18 offset:16
	v_fmac_f32_e32 v12, 0x32a5705f, v3
	ds_load_2addr_b64 v[30:33], v16 offset1:18
	ds_load_2addr_b64 v[38:41], v16 offset0:36 offset1:54
	ds_load_2addr_b64 v[42:45], v16 offset0:72 offset1:90
	v_add_f32_e32 v9, v9, v12
	s_delay_alu instid0(VALU_DEP_1) | instskip(SKIP_1) | instid1(TRANS32_DEP_1)
	v_exp_f32_e32 v9, v9
	v_nop
	v_ldexp_f32 v2, v9, v11
	s_wait_dscnt 0x4
	v_and_b32_e32 v9, 0xffff, v26
	v_lshrrev_b32_e32 v11, 16, v26
	v_and_b32_e32 v13, 0xffff, v27
	s_wait_dscnt 0x3
	v_lshrrev_b32_e32 v19, 16, v34
	v_cndmask_b32_e32 v2, 0, v2, vcc_lo
	v_cmp_nlt_f32_e32 vcc_lo, 0x42b17218, v3
	v_mul_u32_u24_e32 v9, 0x10001, v9
	v_mul_u32_u24_e32 v11, 0x10001, v11
	;; [unrolled: 1-line block ×4, first 2 shown]
	v_cndmask_b32_e32 v2, 0x7f800000, v2, vcc_lo
	s_wait_dscnt 0x2
	v_pk_mul_f16 v12, v30, v9
	v_pk_mul_f16 v9, v31, v9
	s_delay_alu instid0(VALU_DEP_3) | instskip(SKIP_1) | instid1(VALU_DEP_2)
	v_cvt_f16_f32_e32 v3, v2
	v_fmac_f32_e32 v10, v20, v2
	v_and_b32_e32 v3, 0xffff, v3
	s_delay_alu instid0(VALU_DEP_2) | instskip(NEXT) | instid1(VALU_DEP_2)
	v_mov_b32_e32 v20, v10
	v_mul_u32_u24_e32 v3, 0x10001, v3
	s_delay_alu instid0(VALU_DEP_1)
	v_pk_fma_f16 v12, v24, v3, v12
	v_pk_fma_f16 v3, v23, v3, v9
	v_lshrrev_b32_e32 v9, 16, v27
	ds_load_2addr_b64 v[22:25], v16 offset0:108 offset1:126
	v_pk_fma_f16 v12, v32, v11, v12
	v_pk_fma_f16 v3, v33, v11, v3
	v_and_b32_e32 v11, 0xffff, v28
	ds_load_2addr_b64 v[30:33], v16 offset0:144 offset1:162
	s_wait_dscnt 0x3
	v_pk_fma_f16 v12, v38, v13, v12
	v_pk_fma_f16 v3, v39, v13, v3
	v_lshrrev_b32_e32 v13, 16, v28
	v_mul_u32_u24_e32 v9, 0x10001, v9
	v_mul_u32_u24_e32 v11, 0x10001, v11
	s_delay_alu instid0(VALU_DEP_3) | instskip(NEXT) | instid1(VALU_DEP_3)
	v_mul_u32_u24_e32 v13, 0x10001, v13
	v_pk_fma_f16 v12, v40, v9, v12
	v_pk_fma_f16 v3, v41, v9, v3
	v_and_b32_e32 v9, 0xffff, v29
	ds_load_b128 v[38:41], v18 offset:32
	s_wait_dscnt 0x3
	v_pk_fma_f16 v12, v42, v11, v12
	v_pk_fma_f16 v3, v43, v11, v3
	v_lshrrev_b32_e32 v11, 16, v29
	v_mul_u32_u24_e32 v9, 0x10001, v9
	ds_load_2addr_b64 v[26:29], v16 offset0:180 offset1:198
	v_pk_fma_f16 v12, v44, v13, v12
	v_pk_fma_f16 v3, v45, v13, v3
	v_and_b32_e32 v13, 0xffff, v34
	v_mul_u32_u24_e32 v11, 0x10001, v11
	ds_load_b128 v[42:45], v18 offset:48
	s_wait_dscnt 0x4
	v_pk_fma_f16 v12, v22, v9, v12
	v_pk_fma_f16 v3, v23, v9, v3
	v_mul_u32_u24_e32 v13, 0x10001, v13
	v_add_nc_u32_e32 v9, 0x400, v16
	s_delay_alu instid0(VALU_DEP_4) | instskip(NEXT) | instid1(VALU_DEP_4)
	v_pk_fma_f16 v12, v24, v11, v12
	v_pk_fma_f16 v3, v25, v11, v3
	ds_load_2addr_b64 v[22:25], v16 offset0:216 offset1:234
	v_and_b32_e32 v11, 0xffff, v35
	s_wait_dscnt 0x3
	v_and_b32_e32 v18, 0xffff, v38
	v_pk_fma_f16 v12, v30, v13, v12
	v_pk_fma_f16 v3, v31, v13, v3
	v_lshrrev_b32_e32 v13, 16, v35
	v_mul_u32_u24_e32 v11, 0x10001, v11
	v_mul_u32_u24_e32 v18, 0x10001, v18
	v_pk_fma_f16 v12, v32, v19, v12
	v_pk_fma_f16 v3, v33, v19, v3
	ds_load_2addr_b64 v[30:33], v9 offset0:124 offset1:142
	v_and_b32_e32 v9, 0xffff, v36
	v_lshrrev_b32_e32 v19, 16, v36
	v_mul_u32_u24_e32 v13, 0x10001, v13
	s_wait_dscnt 0x3
	v_pk_fma_f16 v12, v26, v11, v12
	v_pk_fma_f16 v3, v27, v11, v3
	v_add_nc_u32_e32 v11, 0x800, v16
	v_mul_u32_u24_e32 v9, 0x10001, v9
	v_mul_u32_u24_e32 v19, 0x10001, v19
	v_pk_fma_f16 v12, v28, v13, v12
	v_pk_fma_f16 v3, v29, v13, v3
	ds_load_2addr_b64 v[26:29], v11 offset0:32 offset1:50
	v_and_b32_e32 v13, 0xffff, v37
	s_wait_dscnt 0x2
	v_pk_fma_f16 v12, v22, v9, v12
	v_pk_fma_f16 v3, v23, v9, v3
	v_lshrrev_b32_e32 v9, 16, v37
	v_mul_u32_u24_e32 v13, 0x10001, v13
	s_delay_alu instid0(VALU_DEP_4) | instskip(NEXT) | instid1(VALU_DEP_4)
	v_pk_fma_f16 v12, v24, v19, v12
	v_pk_fma_f16 v3, v25, v19, v3
	ds_load_2addr_b64 v[22:25], v11 offset0:68 offset1:86
	s_wait_dscnt 0x2
	v_pk_fma_f16 v12, v30, v13, v12
	v_pk_fma_f16 v3, v31, v13, v3
	v_lshrrev_b32_e32 v13, 16, v38
	v_mul_u32_u24_e32 v9, 0x10001, v9
	s_delay_alu instid0(VALU_DEP_2) | instskip(NEXT) | instid1(VALU_DEP_2)
	v_mul_u32_u24_e32 v13, 0x10001, v13
	v_pk_fma_f16 v12, v32, v9, v12
	v_pk_fma_f16 v3, v33, v9, v3
	ds_load_2addr_b64 v[30:33], v11 offset0:104 offset1:122
	v_and_b32_e32 v9, 0xffff, v39
	s_wait_dscnt 0x2
	v_pk_fma_f16 v12, v26, v18, v12
	v_pk_fma_f16 v3, v27, v18, v3
	v_lshrrev_b32_e32 v18, 16, v39
	v_mul_u32_u24_e32 v9, 0x10001, v9
	s_delay_alu instid0(VALU_DEP_4) | instskip(NEXT) | instid1(VALU_DEP_4)
	v_pk_fma_f16 v12, v28, v13, v12
	v_pk_fma_f16 v3, v29, v13, v3
	ds_load_2addr_b64 v[26:29], v11 offset0:140 offset1:158
	v_and_b32_e32 v13, 0xffff, v40
	s_wait_dscnt 0x2
	v_pk_fma_f16 v12, v22, v9, v12
	v_pk_fma_f16 v3, v23, v9, v3
	v_lshrrev_b32_e32 v9, 16, v40
	v_mul_u32_u24_e32 v18, 0x10001, v18
	v_mul_u32_u24_e32 v13, 0x10001, v13
	s_delay_alu instid0(VALU_DEP_3) | instskip(NEXT) | instid1(VALU_DEP_3)
	v_mul_u32_u24_e32 v9, 0x10001, v9
	v_pk_fma_f16 v12, v24, v18, v12
	v_pk_fma_f16 v3, v25, v18, v3
	ds_load_2addr_b64 v[22:25], v11 offset0:176 offset1:194
	v_and_b32_e32 v18, 0xffff, v41
	s_wait_dscnt 0x2
	v_pk_fma_f16 v12, v30, v13, v12
	v_pk_fma_f16 v3, v31, v13, v3
	v_lshrrev_b32_e32 v13, 16, v41
	v_mul_u32_u24_e32 v18, 0x10001, v18
	s_delay_alu instid0(VALU_DEP_4) | instskip(NEXT) | instid1(VALU_DEP_4)
	v_pk_fma_f16 v12, v32, v9, v12
	v_pk_fma_f16 v3, v33, v9, v3
	ds_load_2addr_b64 v[30:33], v11 offset0:212 offset1:230
	v_and_b32_e32 v9, 0xffff, v42
	s_wait_dscnt 0x2
	v_pk_fma_f16 v12, v26, v18, v12
	v_pk_fma_f16 v3, v27, v18, v3
	v_lshrrev_b32_e32 v18, 16, v42
	v_mul_u32_u24_e32 v11, 0x10001, v13
	v_add_nc_u32_e32 v13, 0xc00, v16
	v_mul_u32_u24_e32 v9, 0x10001, v9
	s_delay_alu instid0(VALU_DEP_3)
	v_pk_fma_f16 v12, v28, v11, v12
	v_pk_fma_f16 v3, v29, v11, v3
	ds_load_2addr_b64 v[26:29], v13 offset0:120 offset1:138
	v_and_b32_e32 v11, 0xffff, v43
	v_mul_u32_u24_e32 v13, 0x10001, v18
	s_wait_dscnt 0x2
	v_pk_fma_f16 v12, v22, v9, v12
	v_pk_fma_f16 v3, v23, v9, v3
	v_add_nc_u32_e32 v9, 0x1000, v16
	v_lshrrev_b32_e32 v16, 16, v43
	v_mul_u32_u24_e32 v11, 0x10001, v11
	v_pk_fma_f16 v12, v24, v13, v12
	v_pk_fma_f16 v3, v25, v13, v3
	ds_load_2addr_b64 v[22:25], v9 offset0:28 offset1:46
	v_and_b32_e32 v9, 0xffff, v44
	s_wait_dscnt 0x0
	v_pk_fma_f16 v12, v30, v11, v12
	v_pk_fma_f16 v3, v31, v11, v3
	v_lshrrev_b32_e32 v11, 16, v44
	v_mul_u32_u24_e32 v13, 0x10001, v16
	v_mul_u32_u24_e32 v9, 0x10001, v9
	s_barrier_signal -1
	s_barrier_wait -1
	v_mul_u32_u24_e32 v11, 0x10001, v11
	v_pk_fma_f16 v12, v32, v13, v12
	v_pk_fma_f16 v3, v33, v13, v3
	v_and_b32_e32 v13, 0xffff, v45
	s_delay_alu instid0(VALU_DEP_3) | instskip(NEXT) | instid1(VALU_DEP_3)
	v_pk_fma_f16 v12, v26, v9, v12
	v_pk_fma_f16 v3, v27, v9, v3
	v_lshrrev_b32_e32 v9, 16, v45
	s_delay_alu instid0(VALU_DEP_4) | instskip(NEXT) | instid1(VALU_DEP_4)
	v_mul_u32_u24_e32 v13, 0x10001, v13
	v_pk_fma_f16 v12, v28, v11, v12
	s_delay_alu instid0(VALU_DEP_4) | instskip(NEXT) | instid1(VALU_DEP_4)
	v_pk_fma_f16 v3, v29, v11, v3
	v_mul_u32_u24_e32 v9, 0x10001, v9
	s_delay_alu instid0(VALU_DEP_3) | instskip(NEXT) | instid1(VALU_DEP_3)
	v_pk_fma_f16 v11, v22, v13, v12
	v_pk_fma_f16 v3, v23, v13, v3
	s_delay_alu instid0(VALU_DEP_2) | instskip(NEXT) | instid1(VALU_DEP_2)
	v_pk_fma_f16 v24, v24, v9, v11
	v_pk_fma_f16 v23, v25, v9, v3
.LBB65_33:
	v_cmp_lt_i32_e32 vcc_lo, v1, v8
	s_cmp_eq_u64 s[12:13], 0
	s_cselect_b32 s3, -1, 0
	s_cmp_lg_u32 s29, 0
	v_cndmask_b32_e32 v1, v17, v1, vcc_lo
	v_cmp_lt_i32_e32 vcc_lo, v4, v8
	s_cselect_b32 s4, -1, 0
	s_delay_alu instid0(SALU_CYCLE_1) | instskip(NEXT) | instid1(VALU_DEP_2)
	s_or_b32 s3, s4, s3
	v_dual_cndmask_b32 v2, v17, v4 :: v_dual_lshlrev_b32 v1, 2, v1
	v_cmp_lt_i32_e32 vcc_lo, v5, v8
	s_delay_alu instid0(VALU_DEP_2) | instskip(SKIP_4) | instid1(VALU_DEP_2)
	v_lshlrev_b32_e32 v2, 2, v2
	ds_bpermute_b32 v1, v1, v20
	v_cndmask_b32_e32 v3, v17, v5, vcc_lo
	v_cmp_lt_i32_e32 vcc_lo, v6, v8
	s_wait_dscnt 0x0
	v_dual_lshlrev_b32 v3, 2, v3 :: v_dual_add_f32 v1, v20, v1
	ds_bpermute_b32 v2, v2, v1
	s_wait_dscnt 0x0
	v_add_f32_e32 v1, v1, v2
	ds_bpermute_b32 v2, v3, v1
	v_cndmask_b32_e32 v3, v17, v6, vcc_lo
	v_cmp_lt_i32_e32 vcc_lo, v7, v8
	s_wait_dscnt 0x0
	s_delay_alu instid0(VALU_DEP_2) | instskip(SKIP_4) | instid1(VALU_DEP_1)
	v_dual_lshlrev_b32 v3, 2, v3 :: v_dual_add_f32 v1, v1, v2
	ds_bpermute_b32 v2, v3, v1
	v_cndmask_b32_e32 v3, v17, v7, vcc_lo
	s_and_b32 vcc_lo, exec_lo, s3
	s_wait_dscnt 0x0
	v_dual_lshlrev_b32 v3, 2, v3 :: v_dual_add_f32 v1, v1, v2
	ds_bpermute_b32 v2, v3, v1
	s_wait_dscnt 0x0
	v_add_f32_e32 v1, v1, v2
	s_cbranch_vccnz .LBB65_36
; %bb.34:
	v_mov_b32_e32 v2, s33
	global_load_b32 v3, v2, s[12:13] scale_offset
	s_wait_loadcnt 0x0
	v_dual_max_num_f32 v2, v0, v0 :: v_dual_max_num_f32 v4, v3, v3
	s_delay_alu instid0(VALU_DEP_1) | instskip(NEXT) | instid1(VALU_DEP_1)
	v_max_num_f32_e32 v2, v2, v4
	v_sub_f32_e32 v0, v0, v2
	s_delay_alu instid0(VALU_DEP_1) | instskip(NEXT) | instid1(VALU_DEP_1)
	v_mul_f32_e32 v4, 0x3fb8aa3b, v0
	v_rndne_f32_e32 v6, v4
	v_fma_f32 v5, 0x3fb8aa3b, v0, -v4
	s_delay_alu instid0(VALU_DEP_2) | instskip(SKIP_3) | instid1(VALU_DEP_3)
	v_sub_f32_e32 v4, v4, v6
	v_sub_f32_e32 v3, v3, v2
	v_cvt_i32_f32_e32 v6, v6
	v_cmp_ngt_f32_e32 vcc_lo, 0xc2ce8ed0, v0
	v_mul_f32_e32 v7, 0x3fb8aa3b, v3
	s_delay_alu instid0(VALU_DEP_1) | instskip(SKIP_2) | instid1(VALU_DEP_3)
	v_fma_f32 v8, 0x3fb8aa3b, v3, -v7
	v_fmac_f32_e32 v5, 0x32a5705f, v0
	v_rndne_f32_e32 v9, v7
	v_fmac_f32_e32 v8, 0x32a5705f, v3
	s_delay_alu instid0(VALU_DEP_3) | instskip(NEXT) | instid1(VALU_DEP_3)
	v_add_f32_e32 v4, v4, v5
	v_sub_f32_e32 v5, v7, v9
	s_delay_alu instid0(VALU_DEP_1) | instskip(NEXT) | instid1(VALU_DEP_3)
	v_add_f32_e32 v5, v5, v8
	v_exp_f32_e32 v4, v4
	s_delay_alu instid0(VALU_DEP_1) | instskip(NEXT) | instid1(TRANS32_DEP_2)
	v_exp_f32_e32 v5, v5
	v_ldexp_f32 v4, v4, v6
	v_cvt_i32_f32_e32 v6, v9
	s_delay_alu instid0(VALU_DEP_2) | instskip(SKIP_1) | instid1(VALU_DEP_2)
	v_cndmask_b32_e32 v4, 0, v4, vcc_lo
	v_cmp_nlt_f32_e32 vcc_lo, 0x42b17218, v0
	v_cndmask_b32_e32 v0, 0x7f800000, v4, vcc_lo
	s_delay_alu instid0(TRANS32_DEP_1) | instid1(VALU_DEP_4)
	v_ldexp_f32 v4, v5, v6
	v_cmp_ngt_f32_e32 vcc_lo, 0xc2ce8ed0, v3
	s_delay_alu instid0(VALU_DEP_3) | instskip(NEXT) | instid1(VALU_DEP_3)
	v_cvt_f16_f32_e32 v5, v0
	v_cndmask_b32_e32 v4, 0, v4, vcc_lo
	v_cmp_nlt_f32_e32 vcc_lo, 0x42b17218, v3
	s_delay_alu instid0(VALU_DEP_3) | instskip(NEXT) | instid1(VALU_DEP_3)
	v_and_b32_e32 v5, 0xffff, v5
	v_cndmask_b32_e32 v3, 0x7f800000, v4, vcc_lo
	s_delay_alu instid0(VALU_DEP_2) | instskip(NEXT) | instid1(VALU_DEP_2)
	v_mul_u32_u24_e32 v4, 0x10001, v5
	v_fmac_f32_e32 v3, v1, v0
	s_delay_alu instid0(VALU_DEP_2) | instskip(SKIP_1) | instid1(VALU_DEP_3)
	v_pk_mul_f16 v24, v24, v4
	v_pk_mul_f16 v23, v23, v4
	v_mov_b64_e32 v[0:1], v[2:3]
	s_mov_b32 s3, exec_lo
	v_cmpx_gt_i32_e64 s22, v15
	s_cbranch_execnz .LBB65_37
.LBB65_35:
	s_sendmsg sendmsg(MSG_DEALLOC_VGPRS)
	s_endpgm
.LBB65_36:
	s_delay_alu instid0(VALU_DEP_1)
	v_mov_b32_e32 v3, v1
	s_mov_b32 s3, exec_lo
	v_cmpx_gt_i32_e64 s22, v15
	s_cbranch_execz .LBB65_35
.LBB65_37:
	v_mad_u32 v2, s28, s22, v15
	s_load_b32 s0, s[0:1], 0xd4
	s_delay_alu instid0(VALU_DEP_1) | instskip(SKIP_2) | instid1(VALU_DEP_1)
	v_mad_u32 v2, v2, s23, s33
	s_wait_kmcnt 0x0
	s_cmp_lg_u32 s0, 1
	v_mad_u32 v2, s0, v2, s29
	s_cselect_b32 s0, -1, 0
	s_and_saveexec_b32 s1, s2
	s_cbranch_execz .LBB65_39
; %bb.38:
	v_div_scale_f32 v4, null, v3, v3, 1.0
	v_div_scale_f32 v7, vcc_lo, 1.0, v3, 1.0
	v_lshrrev_b32_e32 v9, 16, v23
	s_delay_alu instid0(VALU_DEP_3) | instskip(NEXT) | instid1(VALU_DEP_1)
	v_rcp_f32_e32 v5, v4
	v_cvt_f32_f16_e32 v9, v9
	s_delay_alu instid0(TRANS32_DEP_1) | instskip(NEXT) | instid1(VALU_DEP_1)
	v_fma_f32 v6, -v4, v5, 1.0
	v_fmac_f32_e32 v5, v6, v5
	s_delay_alu instid0(VALU_DEP_1) | instskip(NEXT) | instid1(VALU_DEP_1)
	v_mul_f32_e32 v6, v7, v5
	v_fma_f32 v8, -v4, v6, v7
	s_delay_alu instid0(VALU_DEP_1) | instskip(SKIP_1) | instid1(VALU_DEP_2)
	v_fmac_f32_e32 v6, v8, v5
	v_cvt_f32_f16_e32 v8, v23
	v_fma_f32 v4, -v4, v6, v7
	v_lshlrev_b32_e32 v7, 2, v14
	s_delay_alu instid0(VALU_DEP_2) | instskip(NEXT) | instid1(VALU_DEP_2)
	v_div_fmas_f32 v6, v4, v5, v6
	v_mad_u32 v4, 0x48, v2, v7
	v_dual_lshrrev_b32 v7, 16, v24 :: v_dual_mov_b32 v5, 0
	s_delay_alu instid0(VALU_DEP_3) | instskip(SKIP_1) | instid1(VALU_DEP_3)
	v_div_fixup_f32 v3, v6, v3, 1.0
	v_cvt_f32_f16_e32 v6, v24
	v_cvt_f32_f16_e32 v7, v7
	s_delay_alu instid0(VALU_DEP_3) | instskip(SKIP_1) | instid1(VALU_DEP_2)
	v_cndmask_b32_e64 v10, v3, 1.0, s0
	v_lshl_add_u64 v[12:13], v[4:5], 2, s[16:17]
	v_pk_mul_f32 v[4:5], v[10:11], v[6:7] op_sel_hi:[0,1]
	v_pk_mul_f32 v[6:7], v[10:11], v[8:9] op_sel_hi:[0,1]
	global_store_b128 v[12:13], v[4:7], off
.LBB65_39:
	s_wait_xcnt 0x0
	s_or_b32 exec_lo, exec_lo, s1
	v_cmp_eq_u32_e32 vcc_lo, 0, v14
	s_and_b32 s0, vcc_lo, s0
	s_delay_alu instid0(SALU_CYCLE_1)
	s_and_b32 exec_lo, exec_lo, s0
	s_cbranch_execz .LBB65_35
; %bb.40:
	global_store_b64 v2, v[0:1], s[18:19] scale_offset
	s_sendmsg sendmsg(MSG_DEALLOC_VGPRS)
	s_endpgm
	.section	.rodata,"a",@progbits
	.p2align	6, 0x0
	.amdhsa_kernel _ZL15flash_attn_tileILi72ELi72ELi4ELi1ELb0EEvPKcS1_S1_S1_S1_PKiPfP15HIP_vector_typeIfLj2EEffffjfiS5_IjLj3EEiiiiiiiiiiiliiliiiiil
		.amdhsa_group_segment_fixed_size 6176
		.amdhsa_private_segment_fixed_size 32
		.amdhsa_kernarg_size 464
		.amdhsa_user_sgpr_count 2
		.amdhsa_user_sgpr_dispatch_ptr 0
		.amdhsa_user_sgpr_queue_ptr 0
		.amdhsa_user_sgpr_kernarg_segment_ptr 1
		.amdhsa_user_sgpr_dispatch_id 0
		.amdhsa_user_sgpr_kernarg_preload_length 0
		.amdhsa_user_sgpr_kernarg_preload_offset 0
		.amdhsa_user_sgpr_private_segment_size 0
		.amdhsa_wavefront_size32 1
		.amdhsa_uses_dynamic_stack 0
		.amdhsa_enable_private_segment 1
		.amdhsa_system_sgpr_workgroup_id_x 1
		.amdhsa_system_sgpr_workgroup_id_y 1
		.amdhsa_system_sgpr_workgroup_id_z 1
		.amdhsa_system_sgpr_workgroup_info 0
		.amdhsa_system_vgpr_workitem_id 1
		.amdhsa_next_free_vgpr 69
		.amdhsa_next_free_sgpr 46
		.amdhsa_named_barrier_count 0
		.amdhsa_reserve_vcc 1
		.amdhsa_float_round_mode_32 0
		.amdhsa_float_round_mode_16_64 0
		.amdhsa_float_denorm_mode_32 3
		.amdhsa_float_denorm_mode_16_64 3
		.amdhsa_fp16_overflow 0
		.amdhsa_memory_ordered 1
		.amdhsa_forward_progress 1
		.amdhsa_inst_pref_size 75
		.amdhsa_round_robin_scheduling 0
		.amdhsa_exception_fp_ieee_invalid_op 0
		.amdhsa_exception_fp_denorm_src 0
		.amdhsa_exception_fp_ieee_div_zero 0
		.amdhsa_exception_fp_ieee_overflow 0
		.amdhsa_exception_fp_ieee_underflow 0
		.amdhsa_exception_fp_ieee_inexact 0
		.amdhsa_exception_int_div_zero 0
	.end_amdhsa_kernel
	.section	.text._ZL15flash_attn_tileILi72ELi72ELi4ELi1ELb0EEvPKcS1_S1_S1_S1_PKiPfP15HIP_vector_typeIfLj2EEffffjfiS5_IjLj3EEiiiiiiiiiiiliiliiiiil,"axG",@progbits,_ZL15flash_attn_tileILi72ELi72ELi4ELi1ELb0EEvPKcS1_S1_S1_S1_PKiPfP15HIP_vector_typeIfLj2EEffffjfiS5_IjLj3EEiiiiiiiiiiiliiliiiiil,comdat
.Lfunc_end65:
	.size	_ZL15flash_attn_tileILi72ELi72ELi4ELi1ELb0EEvPKcS1_S1_S1_S1_PKiPfP15HIP_vector_typeIfLj2EEffffjfiS5_IjLj3EEiiiiiiiiiiiliiliiiiil, .Lfunc_end65-_ZL15flash_attn_tileILi72ELi72ELi4ELi1ELb0EEvPKcS1_S1_S1_S1_PKiPfP15HIP_vector_typeIfLj2EEffffjfiS5_IjLj3EEiiiiiiiiiiiliiliiiiil
                                        ; -- End function
	.set _ZL15flash_attn_tileILi72ELi72ELi4ELi1ELb0EEvPKcS1_S1_S1_S1_PKiPfP15HIP_vector_typeIfLj2EEffffjfiS5_IjLj3EEiiiiiiiiiiiliiliiiiil.num_vgpr, 69
	.set _ZL15flash_attn_tileILi72ELi72ELi4ELi1ELb0EEvPKcS1_S1_S1_S1_PKiPfP15HIP_vector_typeIfLj2EEffffjfiS5_IjLj3EEiiiiiiiiiiiliiliiiiil.num_agpr, 0
	.set _ZL15flash_attn_tileILi72ELi72ELi4ELi1ELb0EEvPKcS1_S1_S1_S1_PKiPfP15HIP_vector_typeIfLj2EEffffjfiS5_IjLj3EEiiiiiiiiiiiliiliiiiil.numbered_sgpr, 46
	.set _ZL15flash_attn_tileILi72ELi72ELi4ELi1ELb0EEvPKcS1_S1_S1_S1_PKiPfP15HIP_vector_typeIfLj2EEffffjfiS5_IjLj3EEiiiiiiiiiiiliiliiiiil.num_named_barrier, 0
	.set _ZL15flash_attn_tileILi72ELi72ELi4ELi1ELb0EEvPKcS1_S1_S1_S1_PKiPfP15HIP_vector_typeIfLj2EEffffjfiS5_IjLj3EEiiiiiiiiiiiliiliiiiil.private_seg_size, 32
	.set _ZL15flash_attn_tileILi72ELi72ELi4ELi1ELb0EEvPKcS1_S1_S1_S1_PKiPfP15HIP_vector_typeIfLj2EEffffjfiS5_IjLj3EEiiiiiiiiiiiliiliiiiil.uses_vcc, 1
	.set _ZL15flash_attn_tileILi72ELi72ELi4ELi1ELb0EEvPKcS1_S1_S1_S1_PKiPfP15HIP_vector_typeIfLj2EEffffjfiS5_IjLj3EEiiiiiiiiiiiliiliiiiil.uses_flat_scratch, 1
	.set _ZL15flash_attn_tileILi72ELi72ELi4ELi1ELb0EEvPKcS1_S1_S1_S1_PKiPfP15HIP_vector_typeIfLj2EEffffjfiS5_IjLj3EEiiiiiiiiiiiliiliiiiil.has_dyn_sized_stack, 0
	.set _ZL15flash_attn_tileILi72ELi72ELi4ELi1ELb0EEvPKcS1_S1_S1_S1_PKiPfP15HIP_vector_typeIfLj2EEffffjfiS5_IjLj3EEiiiiiiiiiiiliiliiiiil.has_recursion, 0
	.set _ZL15flash_attn_tileILi72ELi72ELi4ELi1ELb0EEvPKcS1_S1_S1_S1_PKiPfP15HIP_vector_typeIfLj2EEffffjfiS5_IjLj3EEiiiiiiiiiiiliiliiiiil.has_indirect_call, 0
	.section	.AMDGPU.csdata,"",@progbits
; Kernel info:
; codeLenInByte = 9572
; TotalNumSgprs: 48
; NumVgprs: 69
; ScratchSize: 32
; MemoryBound: 0
; FloatMode: 240
; IeeeMode: 1
; LDSByteSize: 6176 bytes/workgroup (compile time only)
; SGPRBlocks: 0
; VGPRBlocks: 4
; NumSGPRsForWavesPerEU: 48
; NumVGPRsForWavesPerEU: 69
; NamedBarCnt: 0
; Occupancy: 12
; WaveLimiterHint : 1
; COMPUTE_PGM_RSRC2:SCRATCH_EN: 1
; COMPUTE_PGM_RSRC2:USER_SGPR: 2
; COMPUTE_PGM_RSRC2:TRAP_HANDLER: 0
; COMPUTE_PGM_RSRC2:TGID_X_EN: 1
; COMPUTE_PGM_RSRC2:TGID_Y_EN: 1
; COMPUTE_PGM_RSRC2:TGID_Z_EN: 1
; COMPUTE_PGM_RSRC2:TIDIG_COMP_CNT: 1
	.section	.text._ZL33flash_attn_stream_k_fixup_uniformILi72ELi4ELi1EEvPfPK15HIP_vector_typeIfLj2EEiiiiiiS1_IjLj3EES5_S5_,"axG",@progbits,_ZL33flash_attn_stream_k_fixup_uniformILi72ELi4ELi1EEvPfPK15HIP_vector_typeIfLj2EEiiiiiiS1_IjLj3EES5_S5_,comdat
	.globl	_ZL33flash_attn_stream_k_fixup_uniformILi72ELi4ELi1EEvPfPK15HIP_vector_typeIfLj2EEiiiiiiS1_IjLj3EES5_S5_ ; -- Begin function _ZL33flash_attn_stream_k_fixup_uniformILi72ELi4ELi1EEvPfPK15HIP_vector_typeIfLj2EEiiiiiiS1_IjLj3EES5_S5_
	.p2align	8
	.type	_ZL33flash_attn_stream_k_fixup_uniformILi72ELi4ELi1EEvPfPK15HIP_vector_typeIfLj2EEiiiiiiS1_IjLj3EES5_S5_,@function
_ZL33flash_attn_stream_k_fixup_uniformILi72ELi4ELi1EEvPfPK15HIP_vector_typeIfLj2EEiiiiiiS1_IjLj3EES5_S5_: ; @_ZL33flash_attn_stream_k_fixup_uniformILi72ELi4ELi1EEvPfPK15HIP_vector_typeIfLj2EEiiiiiiS1_IjLj3EES5_S5_
; %bb.0:
	s_load_b256 s[4:11], s[0:1], 0x1c
	s_bfe_u32 s2, ttmp6, 0x40014
	s_lshr_b32 s3, ttmp7, 16
	s_add_co_i32 s2, s2, 1
	s_bfe_u32 s13, ttmp6, 0x40010
	s_mul_i32 s2, s3, s2
	s_bfe_u32 s12, ttmp6, 0x40008
	s_and_b32 s14, ttmp7, 0xffff
	s_add_co_i32 s13, s13, 1
	s_bfe_u32 s15, ttmp6, 0x4000c
	s_add_co_i32 s2, s12, s2
	s_mul_i32 s12, s14, s13
	s_bfe_u32 s13, ttmp6, 0x40004
	s_add_co_i32 s15, s15, 1
	s_add_co_i32 s13, s13, s12
	s_and_b32 s12, ttmp6, 15
	s_mul_i32 s15, ttmp9, s15
	s_getreg_b32 s20, hwreg(HW_REG_IB_STS2, 6, 4)
	s_add_co_i32 s12, s12, s15
	s_load_b128 s[16:19], s[0:1], 0x3c
	s_cmp_eq_u32 s20, 0
	s_cselect_b32 s12, ttmp9, s12
	s_cselect_b32 s13, s14, s13
	s_wait_kmcnt 0x0
	s_mul_hi_u32 s7, s7, s12
	s_cselect_b32 s14, s3, s2
	s_add_co_i32 s2, s12, s7
	s_delay_alu instid0(SALU_CYCLE_1) | instskip(NEXT) | instid1(SALU_CYCLE_1)
	s_lshr_b32 s7, s2, s8
	s_mul_i32 s2, s7, s9
	s_delay_alu instid0(SALU_CYCLE_1) | instskip(NEXT) | instid1(SALU_CYCLE_1)
	s_sub_co_i32 s8, s12, s2
	s_mul_hi_u32 s2, s8, s10
	s_delay_alu instid0(SALU_CYCLE_1) | instskip(SKIP_2) | instid1(SALU_CYCLE_1)
	s_add_co_i32 s9, s8, s2
	s_load_b64 s[2:3], s[0:1], 0x10
	s_lshr_b32 s15, s9, s11
	s_mul_i32 s9, s15, s16
	s_delay_alu instid0(SALU_CYCLE_1) | instskip(NEXT) | instid1(SALU_CYCLE_1)
	s_sub_co_i32 s8, s8, s9
	s_mul_hi_u32 s9, s8, s17
	s_delay_alu instid0(SALU_CYCLE_1) | instskip(NEXT) | instid1(SALU_CYCLE_1)
	s_add_co_i32 s9, s8, s9
	s_lshr_b32 s17, s9, s18
	s_delay_alu instid0(SALU_CYCLE_1) | instskip(NEXT) | instid1(SALU_CYCLE_1)
	s_mul_i32 s9, s17, s19
	s_sub_co_i32 s16, s8, s9
	s_delay_alu instid0(SALU_CYCLE_1) | instskip(NEXT) | instid1(SALU_CYCLE_1)
	s_lshl_b32 s8, s16, 2
	s_add_co_i32 s8, s8, s13
	s_wait_kmcnt 0x0
	s_cmp_lt_i32 s8, s2
	s_cselect_b32 s8, -1, 0
	s_add_co_i32 s17, s17, s14
	s_delay_alu instid0(SALU_CYCLE_1) | instskip(SKIP_1) | instid1(SALU_CYCLE_1)
	s_cmp_lt_i32 s17, s5
	s_cselect_b32 s9, -1, 0
	s_and_b32 s8, s8, s9
	s_delay_alu instid0(SALU_CYCLE_1)
	s_and_not1_b32 vcc_lo, exec_lo, s8
	s_cbranch_vccnz .LBB66_6
; %bb.1:
	s_load_b128 s[8:11], s[0:1], 0x0
	s_wait_xcnt 0x0
	s_mul_i32 s0, s7, s2
	s_mul_i32 s15, s15, s5
	s_add_co_i32 s0, s0, s13
	s_add_co_i32 s1, s17, s15
	s_mul_i32 s0, s0, s3
	s_mul_i32 s2, s3, s16
	s_add_co_i32 s0, s1, s0
	s_mulk_i32 s2, 0x120
	s_mulk_i32 s0, 0x48
	s_mul_i32 s7, s6, s12
	v_add3_u32 v4, s0, s2, v0
	s_add_co_i32 s5, s7, s6
	s_add_co_i32 s13, s13, s14
	s_lshl_b32 s0, s5, 2
	s_add_co_i32 s2, s5, -2
	s_add_co_i32 s0, s13, s0
	v_ashrrev_i32_e32 v5, 31, v4
	s_add_co_i32 s0, s0, -4
	s_delay_alu instid0(SALU_CYCLE_1)
	s_ashr_i32 s1, s0, 31
	s_wait_kmcnt 0x0
	global_load_b32 v3, v4, s[8:9] scale_offset
	s_lshl_b64 s[0:1], s[0:1], 3
	s_cmp_lt_i32 s2, s7
	s_add_nc_u64 s[0:1], s[10:11], s[0:1]
	s_load_b32 s14, s[0:1], 0x4
	s_cbranch_scc1 .LBB66_4
; %bb.2:
	s_wait_xcnt 0x0
	s_load_b32 s0, s[0:1], 0x0
	s_add_co_i32 s12, s12, 1
	s_lshl_b32 s2, s4, 4
	s_wait_xcnt 0x0
	s_mul_i32 s1, s6, s12
	s_mul_i32 s6, s13, 0x48
	s_lshl_b32 s12, s1, 2
	s_mulk_i32 s1, 0x120
	s_ashr_i32 s3, s2, 31
	s_add_co_i32 s6, s6, s1
	s_add_co_i32 s12, s13, s12
	s_lshl_b32 s1, s4, 2
	v_add3_u32 v0, s6, v0, 0xfffffdc0
	s_wait_kmcnt 0x0
	v_mov_b32_e32 v2, s14
	s_lshl_b64 s[2:3], s[2:3], 2
	s_add_co_i32 s4, s12, s1
	s_add_nc_u64 s[2:3], s[10:11], s[2:3]
	s_add_co_i32 s1, s5, -1
	s_add_co_i32 s4, s4, -8
.LBB66_3:                               ; =>This Inner Loop Header: Depth=1
	global_load_b32 v7, v0, s[2:3] scale_offset
	s_ashr_i32 s5, s4, 31
	v_max_num_f32_e64 v1, s0, s0
	s_lshl_b64 s[12:13], s[4:5], 3
	s_delay_alu instid0(SALU_CYCLE_1) | instskip(SKIP_1) | instid1(VALU_DEP_1)
	s_add_nc_u64 s[12:13], s[10:11], s[12:13]
	s_load_b64 s[12:13], s[12:13], 0x0
	v_readfirstlane_b32 s5, v1
	v_add_nc_u32_e32 v0, 0xfffffee0, v0
	s_wait_kmcnt 0x0
	v_max_num_f32_e64 v1, s12, s12
	s_delay_alu instid0(VALU_DEP_1) | instskip(SKIP_1) | instid1(SALU_CYCLE_3)
	v_readfirstlane_b32 s6, v1
	s_max_num_f32 s5, s5, s6
	s_sub_f32 s0, s0, s5
	s_sub_f32 s6, s12, s5
	s_delay_alu instid0(SALU_CYCLE_2) | instskip(NEXT) | instid1(SALU_CYCLE_2)
	s_mul_f32 s12, s0, 0x3fb8aa3b
	s_mul_f32 s14, s6, 0x3fb8aa3b
	s_delay_alu instid0(SALU_CYCLE_2)
	s_xor_b32 s15, s12, 0x80000000
	s_rndne_f32 s16, s12
	s_fmamk_f32 s15, s0, 0x3fb8aa3b, s15
	s_cmp_nlt_f32 s0, 0xc2ce8ed0
	s_rndne_f32 s17, s14
	s_sub_f32 s12, s12, s16
	s_fmamk_f32 s15, s0, 0x32a5705f, s15
	s_cselect_b32 vcc_lo, -1, 0
	s_cmp_ngt_f32 s0, 0x42b17218
	s_delay_alu instid0(SALU_CYCLE_1) | instskip(SKIP_2) | instid1(SALU_CYCLE_1)
	s_add_f32 s12, s12, s15
	s_cvt_i32_f32 s15, s16
	s_sub_f32 s16, s14, s17
	v_s_exp_f32 s12, s12
	v_nop
	s_delay_alu instid0(TRANS32_DEP_1) | instskip(SKIP_1) | instid1(VALU_DEP_1)
	v_ldexp_f32 v1, s12, s15
	s_cvt_i32_f32 s12, s17
	v_cndmask_b32_e32 v1, 0, v1, vcc_lo
	s_cselect_b32 vcc_lo, -1, 0
	s_cmp_ge_f32 s0, 0xc1a00000
	s_delay_alu instid0(VALU_DEP_1)
	v_cndmask_b32_e32 v1, 0x7f800000, v1, vcc_lo
	s_cselect_b32 vcc_lo, -1, 0
	s_xor_b32 s0, s14, 0x80000000
	s_cmp_nlt_f32 s6, 0xc2ce8ed0
	s_fmamk_f32 s0, s6, 0x3fb8aa3b, s0
	v_cndmask_b32_e32 v10, 0, v1, vcc_lo
	s_delay_alu instid0(SALU_CYCLE_2) | instskip(NEXT) | instid1(SALU_CYCLE_3)
	s_fmamk_f32 s0, s6, 0x32a5705f, s0
	s_add_f32 s0, s16, s0
	s_delay_alu instid0(SALU_CYCLE_3) | instskip(SKIP_1) | instid1(TRANS32_DEP_1)
	v_s_exp_f32 s0, s0
	v_nop
	v_ldexp_f32 v6, s0, s12
	s_cselect_b32 s0, -1, 0
	s_cmp_ngt_f32 s6, 0x42b17218
	s_delay_alu instid0(VALU_DEP_1) | instskip(SKIP_2) | instid1(VALU_DEP_1)
	v_cndmask_b32_e64 v6, 0, v6, s0
	s_cselect_b32 s0, -1, 0
	s_cmp_ge_f32 s6, 0xc1a00000
	v_cndmask_b32_e64 v8, 0x7f800000, v6, s0
	s_cselect_b32 s0, -1, 0
	v_mov_b32_e32 v6, s13
	s_add_co_i32 s1, s1, -1
	s_add_co_i32 s4, s4, -4
	v_cndmask_b32_e64 v8, 0, v8, s0
	s_cmp_le_i32 s1, s7
	s_mov_b32 s0, s5
	s_wait_loadcnt 0x0
	s_delay_alu instid0(VALU_DEP_1) | instskip(NEXT) | instid1(VALU_DEP_1)
	v_pk_mul_f32 v[6:7], v[6:7], v[8:9] op_sel_hi:[1,0]
	v_pk_fma_f32 v[2:3], v[2:3], v[10:11], v[6:7] op_sel_hi:[1,0,1]
	s_cbranch_scc0 .LBB66_3
	s_branch .LBB66_5
.LBB66_4:
	s_wait_kmcnt 0x0
	v_mov_b32_e32 v2, s14
.LBB66_5:
	v_lshl_add_u64 v[0:1], v[4:5], 2, s[8:9]
	s_wait_loadcnt 0x0
	s_delay_alu instid0(VALU_DEP_2) | instskip(NEXT) | instid1(VALU_DEP_1)
	v_div_scale_f32 v4, null, v2, v2, v3
	v_rcp_f32_e32 v5, v4
	v_nop
	s_delay_alu instid0(TRANS32_DEP_1) | instskip(NEXT) | instid1(VALU_DEP_1)
	v_fma_f32 v6, -v4, v5, 1.0
	v_fmac_f32_e32 v5, v6, v5
	v_div_scale_f32 v6, vcc_lo, v3, v2, v3
	s_delay_alu instid0(VALU_DEP_1) | instskip(NEXT) | instid1(VALU_DEP_1)
	v_mul_f32_e32 v7, v6, v5
	v_fma_f32 v8, -v4, v7, v6
	s_delay_alu instid0(VALU_DEP_1) | instskip(NEXT) | instid1(VALU_DEP_1)
	v_fmac_f32_e32 v7, v8, v5
	v_fma_f32 v4, -v4, v7, v6
	s_delay_alu instid0(VALU_DEP_1) | instskip(NEXT) | instid1(VALU_DEP_1)
	v_div_fmas_f32 v4, v4, v5, v7
	v_div_fixup_f32 v2, v4, v2, v3
	global_store_b32 v[0:1], v2, off
.LBB66_6:
	s_endpgm
	.section	.rodata,"a",@progbits
	.p2align	6, 0x0
	.amdhsa_kernel _ZL33flash_attn_stream_k_fixup_uniformILi72ELi4ELi1EEvPfPK15HIP_vector_typeIfLj2EEiiiiiiS1_IjLj3EES5_S5_
		.amdhsa_group_segment_fixed_size 0
		.amdhsa_private_segment_fixed_size 0
		.amdhsa_kernarg_size 76
		.amdhsa_user_sgpr_count 2
		.amdhsa_user_sgpr_dispatch_ptr 0
		.amdhsa_user_sgpr_queue_ptr 0
		.amdhsa_user_sgpr_kernarg_segment_ptr 1
		.amdhsa_user_sgpr_dispatch_id 0
		.amdhsa_user_sgpr_kernarg_preload_length 0
		.amdhsa_user_sgpr_kernarg_preload_offset 0
		.amdhsa_user_sgpr_private_segment_size 0
		.amdhsa_wavefront_size32 1
		.amdhsa_uses_dynamic_stack 0
		.amdhsa_enable_private_segment 0
		.amdhsa_system_sgpr_workgroup_id_x 1
		.amdhsa_system_sgpr_workgroup_id_y 1
		.amdhsa_system_sgpr_workgroup_id_z 1
		.amdhsa_system_sgpr_workgroup_info 0
		.amdhsa_system_vgpr_workitem_id 0
		.amdhsa_next_free_vgpr 12
		.amdhsa_next_free_sgpr 21
		.amdhsa_named_barrier_count 0
		.amdhsa_reserve_vcc 1
		.amdhsa_float_round_mode_32 0
		.amdhsa_float_round_mode_16_64 0
		.amdhsa_float_denorm_mode_32 3
		.amdhsa_float_denorm_mode_16_64 3
		.amdhsa_fp16_overflow 0
		.amdhsa_memory_ordered 1
		.amdhsa_forward_progress 1
		.amdhsa_inst_pref_size 9
		.amdhsa_round_robin_scheduling 0
		.amdhsa_exception_fp_ieee_invalid_op 0
		.amdhsa_exception_fp_denorm_src 0
		.amdhsa_exception_fp_ieee_div_zero 0
		.amdhsa_exception_fp_ieee_overflow 0
		.amdhsa_exception_fp_ieee_underflow 0
		.amdhsa_exception_fp_ieee_inexact 0
		.amdhsa_exception_int_div_zero 0
	.end_amdhsa_kernel
	.section	.text._ZL33flash_attn_stream_k_fixup_uniformILi72ELi4ELi1EEvPfPK15HIP_vector_typeIfLj2EEiiiiiiS1_IjLj3EES5_S5_,"axG",@progbits,_ZL33flash_attn_stream_k_fixup_uniformILi72ELi4ELi1EEvPfPK15HIP_vector_typeIfLj2EEiiiiiiS1_IjLj3EES5_S5_,comdat
.Lfunc_end66:
	.size	_ZL33flash_attn_stream_k_fixup_uniformILi72ELi4ELi1EEvPfPK15HIP_vector_typeIfLj2EEiiiiiiS1_IjLj3EES5_S5_, .Lfunc_end66-_ZL33flash_attn_stream_k_fixup_uniformILi72ELi4ELi1EEvPfPK15HIP_vector_typeIfLj2EEiiiiiiS1_IjLj3EES5_S5_
                                        ; -- End function
	.set _ZL33flash_attn_stream_k_fixup_uniformILi72ELi4ELi1EEvPfPK15HIP_vector_typeIfLj2EEiiiiiiS1_IjLj3EES5_S5_.num_vgpr, 12
	.set _ZL33flash_attn_stream_k_fixup_uniformILi72ELi4ELi1EEvPfPK15HIP_vector_typeIfLj2EEiiiiiiS1_IjLj3EES5_S5_.num_agpr, 0
	.set _ZL33flash_attn_stream_k_fixup_uniformILi72ELi4ELi1EEvPfPK15HIP_vector_typeIfLj2EEiiiiiiS1_IjLj3EES5_S5_.numbered_sgpr, 21
	.set _ZL33flash_attn_stream_k_fixup_uniformILi72ELi4ELi1EEvPfPK15HIP_vector_typeIfLj2EEiiiiiiS1_IjLj3EES5_S5_.num_named_barrier, 0
	.set _ZL33flash_attn_stream_k_fixup_uniformILi72ELi4ELi1EEvPfPK15HIP_vector_typeIfLj2EEiiiiiiS1_IjLj3EES5_S5_.private_seg_size, 0
	.set _ZL33flash_attn_stream_k_fixup_uniformILi72ELi4ELi1EEvPfPK15HIP_vector_typeIfLj2EEiiiiiiS1_IjLj3EES5_S5_.uses_vcc, 1
	.set _ZL33flash_attn_stream_k_fixup_uniformILi72ELi4ELi1EEvPfPK15HIP_vector_typeIfLj2EEiiiiiiS1_IjLj3EES5_S5_.uses_flat_scratch, 0
	.set _ZL33flash_attn_stream_k_fixup_uniformILi72ELi4ELi1EEvPfPK15HIP_vector_typeIfLj2EEiiiiiiS1_IjLj3EES5_S5_.has_dyn_sized_stack, 0
	.set _ZL33flash_attn_stream_k_fixup_uniformILi72ELi4ELi1EEvPfPK15HIP_vector_typeIfLj2EEiiiiiiS1_IjLj3EES5_S5_.has_recursion, 0
	.set _ZL33flash_attn_stream_k_fixup_uniformILi72ELi4ELi1EEvPfPK15HIP_vector_typeIfLj2EEiiiiiiS1_IjLj3EES5_S5_.has_indirect_call, 0
	.section	.AMDGPU.csdata,"",@progbits
; Kernel info:
; codeLenInByte = 1072
; TotalNumSgprs: 23
; NumVgprs: 12
; ScratchSize: 0
; MemoryBound: 0
; FloatMode: 240
; IeeeMode: 1
; LDSByteSize: 0 bytes/workgroup (compile time only)
; SGPRBlocks: 0
; VGPRBlocks: 0
; NumSGPRsForWavesPerEU: 23
; NumVGPRsForWavesPerEU: 12
; NamedBarCnt: 0
; Occupancy: 16
; WaveLimiterHint : 0
; COMPUTE_PGM_RSRC2:SCRATCH_EN: 0
; COMPUTE_PGM_RSRC2:USER_SGPR: 2
; COMPUTE_PGM_RSRC2:TRAP_HANDLER: 0
; COMPUTE_PGM_RSRC2:TGID_X_EN: 1
; COMPUTE_PGM_RSRC2:TGID_Y_EN: 1
; COMPUTE_PGM_RSRC2:TGID_Z_EN: 1
; COMPUTE_PGM_RSRC2:TIDIG_COMP_CNT: 0
	.section	.text._ZL33flash_attn_stream_k_fixup_generalILi72ELi4ELi1EEvPfPK15HIP_vector_typeIfLj2EEiiiiS1_IjLj3EES5_S5_S5_,"axG",@progbits,_ZL33flash_attn_stream_k_fixup_generalILi72ELi4ELi1EEvPfPK15HIP_vector_typeIfLj2EEiiiiS1_IjLj3EES5_S5_S5_,comdat
	.globl	_ZL33flash_attn_stream_k_fixup_generalILi72ELi4ELi1EEvPfPK15HIP_vector_typeIfLj2EEiiiiS1_IjLj3EES5_S5_S5_ ; -- Begin function _ZL33flash_attn_stream_k_fixup_generalILi72ELi4ELi1EEvPfPK15HIP_vector_typeIfLj2EEiiiiS1_IjLj3EES5_S5_S5_
	.p2align	8
	.type	_ZL33flash_attn_stream_k_fixup_generalILi72ELi4ELi1EEvPfPK15HIP_vector_typeIfLj2EEiiiiS1_IjLj3EES5_S5_S5_,@function
_ZL33flash_attn_stream_k_fixup_generalILi72ELi4ELi1EEvPfPK15HIP_vector_typeIfLj2EEiiiiS1_IjLj3EES5_S5_S5_: ; @_ZL33flash_attn_stream_k_fixup_generalILi72ELi4ELi1EEvPfPK15HIP_vector_typeIfLj2EEiiiiS1_IjLj3EES5_S5_S5_
; %bb.0:
	s_clause 0x1
	s_load_b128 s[4:7], s[0:1], 0x10
	s_load_b32 s16, s[0:1], 0x50
	s_bfe_u32 s2, ttmp6, 0x4000c
	s_and_b32 s3, ttmp6, 15
	s_add_co_i32 s2, s2, 1
	s_getreg_b32 s15, hwreg(HW_REG_IB_STS2, 6, 4)
	s_mul_i32 s2, ttmp9, s2
	s_mov_b32 s17, 0
	s_add_co_i32 s3, s3, s2
	s_cmp_eq_u32 s15, 0
	s_cselect_b32 s2, ttmp9, s3
	s_delay_alu instid0(SALU_CYCLE_1) | instskip(SKIP_3) | instid1(SALU_CYCLE_1)
	s_ashr_i32 s3, s2, 31
	s_wait_kmcnt 0x0
	s_ashr_i32 s19, s7, 31
	s_mov_b32 s18, s7
	s_mul_u64 s[8:9], s[18:19], s[2:3]
	s_delay_alu instid0(SALU_CYCLE_1) | instskip(NEXT) | instid1(SALU_CYCLE_1)
	s_and_b64 s[10:11], s[8:9], 0xffffffff00000000
	s_cmp_lg_u64 s[10:11], 0
	s_cbranch_scc0 .LBB67_21
; %bb.1:
	s_add_nc_u64 s[10:11], s[16:17], 0
	s_mov_b32 s23, s17
	s_xor_b64 s[10:11], s[10:11], 0
	s_mov_b32 s27, s17
	s_cvt_f32_u32 s3, s10
	s_cvt_f32_u32 s7, s11
	s_sub_nc_u64 s[20:21], 0, s[10:11]
	s_delay_alu instid0(SALU_CYCLE_2) | instskip(NEXT) | instid1(SALU_CYCLE_3)
	s_fmamk_f32 s3, s7, 0x4f800000, s3
	v_s_rcp_f32 s3, s3
	s_delay_alu instid0(TRANS32_DEP_1) | instskip(NEXT) | instid1(SALU_CYCLE_3)
	s_mul_f32 s3, s3, 0x5f7ffffc
	s_mul_f32 s7, s3, 0x2f800000
	s_delay_alu instid0(SALU_CYCLE_3) | instskip(NEXT) | instid1(SALU_CYCLE_3)
	s_trunc_f32 s7, s7
	s_fmamk_f32 s3, s7, 0xcf800000, s3
	s_cvt_u32_f32 s13, s7
	s_delay_alu instid0(SALU_CYCLE_2) | instskip(NEXT) | instid1(SALU_CYCLE_3)
	s_cvt_u32_f32 s12, s3
	s_mul_u64 s[24:25], s[20:21], s[12:13]
	s_delay_alu instid0(SALU_CYCLE_1)
	s_mul_hi_u32 s29, s12, s25
	s_mul_i32 s28, s12, s25
	s_mul_hi_u32 s22, s12, s24
	s_mul_i32 s7, s13, s24
	s_add_nc_u64 s[22:23], s[22:23], s[28:29]
	s_mul_hi_u32 s3, s13, s24
	s_mul_hi_u32 s14, s13, s25
	s_add_co_u32 s7, s22, s7
	s_add_co_ci_u32 s26, s23, s3
	s_mul_i32 s24, s13, s25
	s_add_co_ci_u32 s25, s14, 0
	s_delay_alu instid0(SALU_CYCLE_1) | instskip(SKIP_3) | instid1(SALU_CYCLE_1)
	s_add_nc_u64 s[22:23], s[26:27], s[24:25]
	s_mov_b32 s25, s17
	s_add_co_u32 s12, s12, s22
	s_cselect_b32 s3, -1, 0
	s_cmp_lg_u32 s3, 0
	s_add_co_ci_u32 s13, s13, s23
	s_mov_b32 s23, s17
	s_mul_u64 s[20:21], s[20:21], s[12:13]
	s_delay_alu instid0(SALU_CYCLE_1)
	s_mul_hi_u32 s27, s12, s21
	s_mul_i32 s26, s12, s21
	s_mul_hi_u32 s22, s12, s20
	s_mul_i32 s7, s13, s20
	s_add_nc_u64 s[22:23], s[22:23], s[26:27]
	s_mul_hi_u32 s3, s13, s20
	s_mul_hi_u32 s14, s13, s21
	s_add_co_u32 s7, s22, s7
	s_add_co_ci_u32 s24, s23, s3
	s_mul_i32 s20, s13, s21
	s_add_co_ci_u32 s21, s14, 0
	s_mov_b32 s23, s17
	s_add_nc_u64 s[20:21], s[24:25], s[20:21]
	s_delay_alu instid0(SALU_CYCLE_1) | instskip(SKIP_1) | instid1(SALU_CYCLE_1)
	s_add_co_u32 s3, s12, s20
	s_cselect_b32 s7, -1, 0
	s_cmp_lg_u32 s7, 0
	s_add_co_ci_u32 s7, s13, s21
	s_ashr_i32 s12, s9, 31
	s_delay_alu instid0(SALU_CYCLE_1) | instskip(NEXT) | instid1(SALU_CYCLE_1)
	s_mov_b32 s13, s12
	s_add_nc_u64 s[20:21], s[8:9], s[12:13]
	s_delay_alu instid0(SALU_CYCLE_1) | instskip(NEXT) | instid1(SALU_CYCLE_1)
	s_xor_b64 s[20:21], s[20:21], s[12:13]
	s_mul_hi_u32 s27, s20, s7
	s_mul_i32 s26, s20, s7
	s_mul_hi_u32 s22, s20, s3
	s_mul_hi_u32 s14, s21, s3
	s_mul_i32 s3, s21, s3
	s_add_nc_u64 s[22:23], s[22:23], s[26:27]
	s_mul_hi_u32 s9, s21, s7
	s_add_co_u32 s3, s22, s3
	s_add_co_ci_u32 s24, s23, s14
	s_mul_i32 s26, s21, s7
	s_add_co_ci_u32 s27, s9, 0
	s_delay_alu instid0(SALU_CYCLE_1) | instskip(NEXT) | instid1(SALU_CYCLE_1)
	s_add_nc_u64 s[22:23], s[24:25], s[26:27]
	s_and_b64 s[24:25], s[22:23], 0xffffffff00000000
	s_delay_alu instid0(SALU_CYCLE_1) | instskip(NEXT) | instid1(SALU_CYCLE_1)
	s_or_b32 s24, s24, s22
	s_mul_u64 s[22:23], s[10:11], s[24:25]
	s_add_nc_u64 s[26:27], s[24:25], 1
	s_sub_co_u32 s3, s20, s22
	s_cselect_b32 s7, -1, 0
	s_sub_co_i32 s9, s21, s23
	s_cmp_lg_u32 s7, 0
	s_add_nc_u64 s[28:29], s[24:25], 2
	s_sub_co_ci_u32 s9, s9, s11
	s_sub_co_u32 s14, s3, s10
	s_cselect_b32 s20, -1, 0
	s_delay_alu instid0(SALU_CYCLE_1) | instskip(SKIP_1) | instid1(SALU_CYCLE_1)
	s_cmp_lg_u32 s20, 0
	s_sub_co_ci_u32 s9, s9, 0
	s_cmp_ge_u32 s9, s11
	s_cselect_b32 s20, -1, 0
	s_cmp_ge_u32 s14, s10
	s_cselect_b32 s14, -1, 0
	s_cmp_eq_u32 s9, s11
	s_cselect_b32 s9, s14, s20
	s_delay_alu instid0(SALU_CYCLE_1) | instskip(SKIP_4) | instid1(SALU_CYCLE_1)
	s_cmp_lg_u32 s9, 0
	s_cselect_b32 s9, s28, s26
	s_cselect_b32 s14, s29, s27
	s_cmp_lg_u32 s7, 0
	s_sub_co_ci_u32 s7, s21, s23
	s_cmp_ge_u32 s7, s11
	s_cselect_b32 s20, -1, 0
	s_cmp_ge_u32 s3, s10
	s_cselect_b32 s3, -1, 0
	s_cmp_eq_u32 s7, s11
	s_cselect_b32 s3, s3, s20
	s_delay_alu instid0(SALU_CYCLE_1) | instskip(SKIP_4) | instid1(SALU_CYCLE_1)
	s_cmp_lg_u32 s3, 0
	s_mov_b32 s3, s17
	s_cselect_b32 s11, s14, s25
	s_cselect_b32 s10, s9, s24
	s_xor_b64 s[12:13], s[12:13], 0
	s_xor_b64 s[10:11], s[10:11], s[12:13]
	s_delay_alu instid0(SALU_CYCLE_1)
	s_sub_nc_u64 s[20:21], s[10:11], s[12:13]
	s_and_not1_b32 vcc_lo, exec_lo, s3
	s_cbranch_vccnz .LBB67_3
.LBB67_2:
	v_cvt_f32_u32_e32 v1, s16
	s_sub_co_i32 s7, 0, s16
	s_mov_b32 s21, 0
	s_delay_alu instid0(VALU_DEP_1) | instskip(SKIP_1) | instid1(TRANS32_DEP_1)
	v_rcp_iflag_f32_e32 v1, v1
	v_nop
	v_mul_f32_e32 v1, 0x4f7ffffe, v1
	s_delay_alu instid0(VALU_DEP_1) | instskip(NEXT) | instid1(VALU_DEP_1)
	v_cvt_u32_f32_e32 v1, v1
	v_readfirstlane_b32 s3, v1
	s_mul_i32 s7, s7, s3
	s_delay_alu instid0(SALU_CYCLE_1) | instskip(NEXT) | instid1(SALU_CYCLE_1)
	s_mul_hi_u32 s7, s3, s7
	s_add_co_i32 s3, s3, s7
	s_delay_alu instid0(SALU_CYCLE_1) | instskip(NEXT) | instid1(SALU_CYCLE_1)
	s_mul_hi_u32 s3, s8, s3
	s_mul_i32 s7, s3, s16
	s_delay_alu instid0(SALU_CYCLE_1)
	s_sub_co_i32 s7, s8, s7
	s_add_co_i32 s8, s3, 1
	s_sub_co_i32 s9, s7, s16
	s_cmp_ge_u32 s7, s16
	s_cselect_b32 s3, s8, s3
	s_cselect_b32 s7, s9, s7
	s_add_co_i32 s8, s3, 1
	s_cmp_ge_u32 s7, s16
	s_cselect_b32 s20, s8, s3
.LBB67_3:
	s_add_co_i32 s8, s2, 1
	s_delay_alu instid0(SALU_CYCLE_1) | instskip(NEXT) | instid1(SALU_CYCLE_1)
	s_ashr_i32 s9, s8, 31
	s_mul_u64 s[8:9], s[18:19], s[8:9]
	s_delay_alu instid0(SALU_CYCLE_1) | instskip(NEXT) | instid1(SALU_CYCLE_1)
	s_and_b64 s[10:11], s[8:9], 0xffffffff00000000
	s_cmp_lg_u64 s[10:11], 0
	s_cbranch_scc0 .LBB67_22
; %bb.4:
	s_add_nc_u64 s[10:11], s[16:17], 0
	s_delay_alu instid0(SALU_CYCLE_1) | instskip(SKIP_4) | instid1(SALU_CYCLE_2)
	s_xor_b64 s[12:13], s[10:11], 0
	s_mov_b32 s11, 0
	s_cvt_f32_u32 s3, s12
	s_cvt_f32_u32 s7, s13
	s_sub_nc_u64 s[24:25], 0, s[12:13]
	s_fmamk_f32 s3, s7, 0x4f800000, s3
	s_delay_alu instid0(SALU_CYCLE_3) | instskip(NEXT) | instid1(TRANS32_DEP_1)
	v_s_rcp_f32 s3, s3
	s_mul_f32 s3, s3, 0x5f7ffffc
	s_delay_alu instid0(SALU_CYCLE_3) | instskip(NEXT) | instid1(SALU_CYCLE_3)
	s_mul_f32 s7, s3, 0x2f800000
	s_trunc_f32 s7, s7
	s_delay_alu instid0(SALU_CYCLE_3) | instskip(SKIP_1) | instid1(SALU_CYCLE_2)
	s_fmamk_f32 s3, s7, 0xcf800000, s3
	s_cvt_u32_f32 s23, s7
	s_cvt_u32_f32 s22, s3
	s_delay_alu instid0(SALU_CYCLE_3) | instskip(NEXT) | instid1(SALU_CYCLE_1)
	s_mul_u64 s[26:27], s[24:25], s[22:23]
	s_mul_hi_u32 s29, s22, s27
	s_mul_i32 s28, s22, s27
	s_mul_hi_u32 s10, s22, s26
	s_mul_i32 s7, s23, s26
	s_add_nc_u64 s[28:29], s[10:11], s[28:29]
	s_mul_hi_u32 s3, s23, s26
	s_mul_hi_u32 s14, s23, s27
	s_add_co_u32 s7, s28, s7
	s_add_co_ci_u32 s10, s29, s3
	s_mul_i32 s26, s23, s27
	s_add_co_ci_u32 s27, s14, 0
	s_delay_alu instid0(SALU_CYCLE_1) | instskip(NEXT) | instid1(SALU_CYCLE_1)
	s_add_nc_u64 s[26:27], s[10:11], s[26:27]
	s_add_co_u32 s22, s22, s26
	s_cselect_b32 s3, -1, 0
	s_delay_alu instid0(SALU_CYCLE_1) | instskip(SKIP_1) | instid1(SALU_CYCLE_1)
	s_cmp_lg_u32 s3, 0
	s_add_co_ci_u32 s23, s23, s27
	s_mul_u64 s[24:25], s[24:25], s[22:23]
	s_delay_alu instid0(SALU_CYCLE_1)
	s_mul_hi_u32 s27, s22, s25
	s_mul_i32 s26, s22, s25
	s_mul_hi_u32 s10, s22, s24
	s_mul_i32 s7, s23, s24
	s_add_nc_u64 s[26:27], s[10:11], s[26:27]
	s_mul_hi_u32 s3, s23, s24
	s_mul_hi_u32 s14, s23, s25
	s_add_co_u32 s7, s26, s7
	s_add_co_ci_u32 s10, s27, s3
	s_mul_i32 s24, s23, s25
	s_add_co_ci_u32 s25, s14, 0
	s_delay_alu instid0(SALU_CYCLE_1) | instskip(NEXT) | instid1(SALU_CYCLE_1)
	s_add_nc_u64 s[24:25], s[10:11], s[24:25]
	s_add_co_u32 s3, s22, s24
	s_cselect_b32 s7, -1, 0
	s_delay_alu instid0(SALU_CYCLE_1) | instskip(SKIP_2) | instid1(SALU_CYCLE_1)
	s_cmp_lg_u32 s7, 0
	s_add_co_ci_u32 s7, s23, s25
	s_ashr_i32 s22, s9, 31
	s_mov_b32 s23, s22
	s_delay_alu instid0(SALU_CYCLE_1) | instskip(NEXT) | instid1(SALU_CYCLE_1)
	s_add_nc_u64 s[24:25], s[8:9], s[22:23]
	s_xor_b64 s[24:25], s[24:25], s[22:23]
	s_delay_alu instid0(SALU_CYCLE_1)
	s_mul_hi_u32 s27, s24, s7
	s_mul_i32 s26, s24, s7
	s_mul_hi_u32 s10, s24, s3
	s_mul_hi_u32 s14, s25, s3
	s_mul_i32 s3, s25, s3
	s_add_nc_u64 s[26:27], s[10:11], s[26:27]
	s_mul_hi_u32 s9, s25, s7
	s_add_co_u32 s3, s26, s3
	s_add_co_ci_u32 s10, s27, s14
	s_mul_i32 s28, s25, s7
	s_add_co_ci_u32 s29, s9, 0
	s_delay_alu instid0(SALU_CYCLE_1) | instskip(NEXT) | instid1(SALU_CYCLE_1)
	s_add_nc_u64 s[26:27], s[10:11], s[28:29]
	s_and_b64 s[28:29], s[26:27], 0xffffffff00000000
	s_delay_alu instid0(SALU_CYCLE_1) | instskip(NEXT) | instid1(SALU_CYCLE_1)
	s_or_b32 s28, s28, s26
	s_mul_u64 s[26:27], s[12:13], s[28:29]
	s_add_nc_u64 s[30:31], s[28:29], 1
	s_sub_co_u32 s3, s24, s26
	s_cselect_b32 s7, -1, 0
	s_sub_co_i32 s9, s25, s27
	s_cmp_lg_u32 s7, 0
	s_add_nc_u64 s[34:35], s[28:29], 2
	s_sub_co_ci_u32 s9, s9, s13
	s_sub_co_u32 s10, s3, s12
	s_cselect_b32 s14, -1, 0
	s_delay_alu instid0(SALU_CYCLE_1) | instskip(SKIP_1) | instid1(SALU_CYCLE_1)
	s_cmp_lg_u32 s14, 0
	s_sub_co_ci_u32 s9, s9, 0
	s_cmp_ge_u32 s9, s13
	s_cselect_b32 s14, -1, 0
	s_cmp_ge_u32 s10, s12
	s_cselect_b32 s10, -1, 0
	s_cmp_eq_u32 s9, s13
	s_cselect_b32 s9, s10, s14
	s_delay_alu instid0(SALU_CYCLE_1) | instskip(SKIP_4) | instid1(SALU_CYCLE_1)
	s_cmp_lg_u32 s9, 0
	s_cselect_b32 s9, s34, s30
	s_cselect_b32 s10, s35, s31
	s_cmp_lg_u32 s7, 0
	s_sub_co_ci_u32 s7, s25, s27
	s_cmp_ge_u32 s7, s13
	s_cselect_b32 s14, -1, 0
	s_cmp_ge_u32 s3, s12
	s_cselect_b32 s3, -1, 0
	s_cmp_eq_u32 s7, s13
	s_cselect_b32 s3, s3, s14
	s_delay_alu instid0(SALU_CYCLE_1) | instskip(SKIP_3) | instid1(SALU_CYCLE_1)
	s_cmp_lg_u32 s3, 0
	s_cselect_b32 s13, s10, s29
	s_cselect_b32 s12, s9, s28
	s_xor_b64 s[22:23], s[22:23], 0
	s_xor_b64 s[12:13], s[12:13], s[22:23]
	s_delay_alu instid0(SALU_CYCLE_1)
	s_sub_nc_u64 s[24:25], s[12:13], s[22:23]
	s_load_b96 s[12:14], s[0:1], 0x44
	s_cbranch_execnz .LBB67_6
.LBB67_5:
	v_cvt_f32_u32_e32 v1, s16
	s_sub_co_i32 s7, 0, s16
	s_delay_alu instid0(VALU_DEP_1) | instskip(SKIP_1) | instid1(TRANS32_DEP_1)
	v_rcp_iflag_f32_e32 v1, v1
	v_nop
	v_mul_f32_e32 v1, 0x4f7ffffe, v1
	s_delay_alu instid0(VALU_DEP_1) | instskip(NEXT) | instid1(VALU_DEP_1)
	v_cvt_u32_f32_e32 v1, v1
	v_readfirstlane_b32 s3, v1
	s_mul_i32 s7, s7, s3
	s_delay_alu instid0(SALU_CYCLE_1) | instskip(NEXT) | instid1(SALU_CYCLE_1)
	s_mul_hi_u32 s7, s3, s7
	s_add_co_i32 s3, s3, s7
	s_delay_alu instid0(SALU_CYCLE_1) | instskip(NEXT) | instid1(SALU_CYCLE_1)
	s_mul_hi_u32 s3, s8, s3
	s_mul_i32 s7, s3, s16
	s_delay_alu instid0(SALU_CYCLE_1)
	s_sub_co_i32 s7, s8, s7
	s_add_co_i32 s8, s3, 1
	s_sub_co_i32 s9, s7, s16
	s_cmp_ge_u32 s7, s16
	s_cselect_b32 s3, s8, s3
	s_cselect_b32 s7, s9, s7
	s_add_co_i32 s8, s3, 1
	s_cmp_ge_u32 s7, s16
	s_cselect_b32 s24, s8, s3
.LBB67_6:
	s_delay_alu instid0(SALU_CYCLE_1)
	s_cmp_eq_u32 s20, s24
	s_mov_b64 s[8:9], 0xffffffff
	s_cselect_b32 s3, -1, 0
	s_and_b64 s[8:9], s[20:21], s[8:9]
	s_mov_b32 s23, 0
	s_wait_kmcnt 0x0
	s_mov_b32 s22, s12
	s_mov_b32 s25, s23
	s_mul_u64 s[10:11], s[8:9], s[22:23]
	s_delay_alu instid0(SALU_CYCLE_1) | instskip(SKIP_2) | instid1(SALU_CYCLE_1)
	s_add_co_i32 s7, s11, s20
	s_mul_u64 s[10:11], s[24:25], s[22:23]
	s_lshr_b32 s12, s7, s13
	s_mul_i32 s7, s12, s14
	s_delay_alu instid0(SALU_CYCLE_1) | instskip(SKIP_2) | instid1(SALU_CYCLE_1)
	s_cmp_eq_u32 s7, s20
	s_cselect_b32 s7, -1, 0
	s_add_co_i32 s10, s11, s24
	s_lshr_b32 s10, s10, s13
	s_delay_alu instid0(SALU_CYCLE_1)
	s_cmp_eq_u32 s12, s10
	s_mul_i32 s10, s10, s14
	s_cselect_b32 s11, -1, 0
	s_cmp_lg_u32 s10, s24
	s_cselect_b32 s10, -1, 0
	s_or_b32 s3, s3, s7
	s_and_b32 s10, s11, s10
	s_delay_alu instid0(SALU_CYCLE_1) | instskip(NEXT) | instid1(SALU_CYCLE_1)
	s_or_b32 s3, s3, s10
	s_and_b32 vcc_lo, exec_lo, s3
	s_cbranch_vccnz .LBB67_24
; %bb.7:
	s_load_b256 s[24:31], s[0:1], 0x20
	s_bfe_u32 s7, ttmp6, 0x40014
	s_bfe_u32 s33, ttmp6, 0x40010
	s_lshr_b32 s3, ttmp7, 16
	s_add_co_i32 s7, s7, 1
	s_and_b32 s21, ttmp7, 0xffff
	s_add_co_i32 s33, s33, 1
	s_bfe_u32 s10, ttmp6, 0x40008
	s_mul_i32 s7, s3, s7
	s_bfe_u32 s34, ttmp6, 0x40004
	s_mul_i32 s33, s21, s33
	s_mov_b32 s11, s23
	s_add_co_i32 s7, s10, s7
	s_add_co_i32 s34, s34, s33
	s_cmp_eq_u32 s15, 0
	s_cselect_b32 s15, s21, s34
	s_cselect_b32 s3, s3, s7
	s_wait_kmcnt 0x0
	s_mov_b32 s10, s24
	s_delay_alu instid0(SALU_CYCLE_1) | instskip(SKIP_2) | instid1(SALU_CYCLE_1)
	s_mul_u64 s[8:9], s[8:9], s[10:11]
	s_load_b32 s8, s[0:1], 0x40
	s_add_co_i32 s7, s9, s20
	s_lshr_b32 s7, s7, s25
	s_delay_alu instid0(SALU_CYCLE_1) | instskip(NEXT) | instid1(SALU_CYCLE_1)
	s_mul_i32 s9, s7, s26
	s_sub_co_i32 s9, s20, s9
	s_delay_alu instid0(SALU_CYCLE_1) | instskip(NEXT) | instid1(SALU_CYCLE_1)
	s_mul_hi_u32 s10, s9, s27
	s_add_co_i32 s10, s9, s10
	s_delay_alu instid0(SALU_CYCLE_1) | instskip(NEXT) | instid1(SALU_CYCLE_1)
	s_lshr_b32 s21, s10, s28
	s_mul_i32 s10, s21, s29
	s_delay_alu instid0(SALU_CYCLE_1) | instskip(NEXT) | instid1(SALU_CYCLE_1)
	s_sub_co_i32 s10, s9, s10
	s_mul_hi_u32 s9, s10, s30
	s_delay_alu instid0(SALU_CYCLE_1) | instskip(NEXT) | instid1(SALU_CYCLE_1)
	s_add_co_i32 s9, s10, s9
	s_lshr_b32 s25, s9, s31
	s_mov_b32 s9, s23
	s_wait_kmcnt 0x0
	s_mul_i32 s8, s25, s8
	s_delay_alu instid0(SALU_CYCLE_1) | instskip(NEXT) | instid1(SALU_CYCLE_1)
	s_sub_co_i32 s8, s10, s8
	s_mul_u64 s[10:11], s[8:9], s[22:23]
	s_delay_alu instid0(SALU_CYCLE_1) | instskip(NEXT) | instid1(SALU_CYCLE_1)
	s_add_co_i32 s8, s8, s11
	s_lshr_b32 s24, s8, s13
	s_delay_alu instid0(SALU_CYCLE_1) | instskip(NEXT) | instid1(SALU_CYCLE_1)
	s_lshl_b32 s8, s24, 2
	s_add_co_i32 s8, s8, s15
	s_delay_alu instid0(SALU_CYCLE_1) | instskip(SKIP_2) | instid1(SALU_CYCLE_1)
	s_cmp_lt_i32 s8, s4
	s_cselect_b32 s8, -1, 0
	s_add_co_i32 s25, s25, s3
	s_cmp_lt_i32 s25, s6
	s_cselect_b32 s9, -1, 0
	s_delay_alu instid0(SALU_CYCLE_1) | instskip(NEXT) | instid1(SALU_CYCLE_1)
	s_and_b32 s8, s8, s9
	s_and_not1_b32 vcc_lo, exec_lo, s8
	s_cbranch_vccnz .LBB67_24
; %bb.8:
	s_load_b128 s[8:11], s[0:1], 0x0
	s_wait_xcnt 0x0
	s_mul_i32 s0, s7, s4
	s_mul_i32 s21, s21, s6
	s_add_co_i32 s0, s0, s15
	s_add_co_i32 s1, s25, s21
	s_mul_i32 s0, s0, s5
	s_mul_i32 s4, s5, s24
	s_add_co_i32 s0, s1, s0
	s_mulk_i32 s4, 0x120
	s_mulk_i32 s0, 0x48
	s_add_co_i32 s15, s15, s3
	v_add3_u32 v2, s4, s0, v0
	s_add_nc_u64 s[0:1], s[16:17], 0
	v_cvt_f32_u32_e32 v4, s16
	s_xor_b64 s[6:7], s[0:1], 0
	s_lshl_b32 s0, s2, 2
	s_cvt_f32_u32 s3, s6
	s_cvt_f32_u32 s4, s7
	s_add_co_i32 s0, s0, s15
	v_rcp_iflag_f32_e32 v4, v4
	s_wait_kmcnt 0x0
	global_load_b32 v1, v2, s[8:9] scale_offset
	s_fmamk_f32 s3, s4, 0x4f800000, s3
	s_ashr_i32 s1, s0, 31
	s_lshl_b32 s24, s16, 4
	s_lshl_b64 s[0:1], s[0:1], 3
	v_s_rcp_f32 s3, s3
	s_add_nc_u64 s[0:1], s[10:11], s[0:1]
	s_mov_b32 s25, 0
	s_load_b64 s[28:29], s[0:1], 0x0
	v_mad_u32 v6, 0x48, s15, v0
	v_dual_mul_f32 v4, 0x4f7ffffe, v4 :: v_dual_ashrrev_i32 v3, 31, v2
	s_wait_xcnt 0x0
	s_lshl_b64 s[0:1], s[24:25], 2
	s_mul_f32 s3, s3, 0x5f7ffffc
	s_add_nc_u64 s[26:27], s[10:11], s[0:1]
	v_lshl_add_u64 v[2:3], v[2:3], 2, s[8:9]
	v_cvt_u32_f32_e32 v7, v4
	s_mul_f32 s4, s3, 0x2f800000
	s_mov_b64 s[8:9], 0xffffffff
	s_add_co_i32 s36, s2, -1
	s_sub_nc_u64 s[34:35], 0, s[6:7]
	s_trunc_f32 s4, s4
	s_delay_alu instid0(SALU_CYCLE_3)
	s_fmamk_f32 s0, s4, 0xcf800000, s3
	s_cvt_u32_f32 s31, s4
	s_wait_kmcnt 0x0
	v_mov_b32_e32 v0, s29
	s_cvt_u32_f32 s30, s0
.LBB67_9:                               ; =>This Inner Loop Header: Depth=1
	s_ashr_i32 s37, s36, 31
                                        ; implicit-def: $sgpr40_sgpr41
	s_delay_alu instid0(SALU_CYCLE_1) | instskip(NEXT) | instid1(SALU_CYCLE_1)
	s_mul_u64 s[0:1], s[36:37], s[18:19]
	s_and_b64 s[2:3], s[0:1], 0xffffffff00000000
	s_delay_alu instid0(SALU_CYCLE_1)
	s_cmp_lg_u64 s[2:3], 0
	s_mov_b32 s2, -1
	s_cbranch_scc0 .LBB67_11
; %bb.10:                               ;   in Loop: Header=BB67_9 Depth=1
	s_mul_u64 s[2:3], s[34:35], s[30:31]
	s_delay_alu instid0(SALU_CYCLE_1)
	s_mul_hi_u32 s5, s30, s3
	s_mul_i32 s4, s30, s3
	s_mul_hi_u32 s24, s30, s2
	s_mul_hi_u32 s17, s31, s2
	s_add_nc_u64 s[4:5], s[24:25], s[4:5]
	s_mul_i32 s2, s31, s2
	s_mul_hi_u32 s21, s31, s3
	s_add_co_u32 s2, s4, s2
	s_add_co_ci_u32 s24, s5, s17
	s_add_co_ci_u32 s5, s21, 0
	s_mul_i32 s4, s31, s3
	s_delay_alu instid0(SALU_CYCLE_1) | instskip(NEXT) | instid1(SALU_CYCLE_1)
	s_add_nc_u64 s[2:3], s[24:25], s[4:5]
	s_add_co_u32 s2, s30, s2
	s_cselect_b32 s4, -1, 0
	s_delay_alu instid0(SALU_CYCLE_1) | instskip(SKIP_1) | instid1(SALU_CYCLE_1)
	s_cmp_lg_u32 s4, 0
	s_add_co_ci_u32 s3, s31, s3
	s_mul_u64 s[4:5], s[34:35], s[2:3]
	s_delay_alu instid0(SALU_CYCLE_1)
	s_mul_hi_u32 s39, s2, s5
	s_mul_i32 s38, s2, s5
	s_mul_hi_u32 s24, s2, s4
	s_mul_hi_u32 s17, s3, s4
	s_mul_i32 s4, s3, s4
	s_add_nc_u64 s[38:39], s[24:25], s[38:39]
	s_mul_hi_u32 s21, s3, s5
	s_add_co_u32 s4, s38, s4
	s_add_co_ci_u32 s24, s39, s17
	s_mul_i32 s4, s3, s5
	s_add_co_ci_u32 s5, s21, 0
	s_delay_alu instid0(SALU_CYCLE_1) | instskip(NEXT) | instid1(SALU_CYCLE_1)
	s_add_nc_u64 s[4:5], s[24:25], s[4:5]
	s_add_co_u32 s17, s2, s4
	s_cselect_b32 s2, -1, 0
	s_delay_alu instid0(SALU_CYCLE_1) | instskip(SKIP_2) | instid1(SALU_CYCLE_1)
	s_cmp_lg_u32 s2, 0
	s_add_co_ci_u32 s21, s3, s5
	s_ashr_i32 s2, s1, 31
	s_mov_b32 s3, s2
	s_delay_alu instid0(SALU_CYCLE_1) | instskip(NEXT) | instid1(SALU_CYCLE_1)
	s_add_nc_u64 s[4:5], s[0:1], s[2:3]
	s_xor_b64 s[4:5], s[4:5], s[2:3]
	s_delay_alu instid0(SALU_CYCLE_1)
	s_mul_hi_u32 s39, s4, s21
	s_mul_i32 s38, s4, s21
	s_mul_hi_u32 s24, s4, s17
	s_mul_hi_u32 s29, s5, s17
	s_mul_i32 s17, s5, s17
	s_add_nc_u64 s[38:39], s[24:25], s[38:39]
	s_mul_hi_u32 s1, s5, s21
	s_add_co_u32 s17, s38, s17
	s_add_co_ci_u32 s24, s39, s29
	s_mul_i32 s40, s5, s21
	s_add_co_ci_u32 s41, s1, 0
	s_delay_alu instid0(SALU_CYCLE_1) | instskip(NEXT) | instid1(SALU_CYCLE_1)
	s_add_nc_u64 s[38:39], s[24:25], s[40:41]
	s_and_b64 s[40:41], s[38:39], 0xffffffff00000000
	s_delay_alu instid0(SALU_CYCLE_1) | instskip(NEXT) | instid1(SALU_CYCLE_1)
	s_or_b32 s40, s40, s38
	s_mul_u64 s[38:39], s[6:7], s[40:41]
	s_add_nc_u64 s[42:43], s[40:41], 1
	s_sub_co_u32 s1, s4, s38
	s_cselect_b32 s4, -1, 0
	s_sub_co_i32 s17, s5, s39
	s_cmp_lg_u32 s4, 0
	s_add_nc_u64 s[44:45], s[40:41], 2
	s_sub_co_ci_u32 s17, s17, s7
	s_sub_co_u32 s21, s1, s6
	s_cselect_b32 s24, -1, 0
	s_delay_alu instid0(SALU_CYCLE_1) | instskip(SKIP_1) | instid1(SALU_CYCLE_1)
	s_cmp_lg_u32 s24, 0
	s_sub_co_ci_u32 s17, s17, 0
	s_cmp_ge_u32 s17, s7
	s_cselect_b32 s24, -1, 0
	s_cmp_ge_u32 s21, s6
	s_cselect_b32 s21, -1, 0
	s_cmp_eq_u32 s17, s7
	s_cselect_b32 s17, s21, s24
	s_delay_alu instid0(SALU_CYCLE_1) | instskip(SKIP_4) | instid1(SALU_CYCLE_1)
	s_cmp_lg_u32 s17, 0
	s_cselect_b32 s17, s44, s42
	s_cselect_b32 s21, s45, s43
	s_cmp_lg_u32 s4, 0
	s_sub_co_ci_u32 s4, s5, s39
	s_cmp_ge_u32 s4, s7
	s_cselect_b32 s5, -1, 0
	s_cmp_ge_u32 s1, s6
	s_cselect_b32 s1, -1, 0
	s_cmp_eq_u32 s4, s7
	s_cselect_b32 s1, s1, s5
	s_delay_alu instid0(SALU_CYCLE_1) | instskip(SKIP_3) | instid1(SALU_CYCLE_1)
	s_cmp_lg_u32 s1, 0
	s_cselect_b32 s5, s21, s41
	s_cselect_b32 s4, s17, s40
	s_xor_b64 s[2:3], s[2:3], 0
	s_xor_b64 s[4:5], s[4:5], s[2:3]
	s_delay_alu instid0(SALU_CYCLE_1)
	s_sub_nc_u64 s[40:41], s[4:5], s[2:3]
	s_mov_b32 s2, 0
.LBB67_11:                              ;   in Loop: Header=BB67_9 Depth=1
	s_delay_alu instid0(SALU_CYCLE_1)
	s_and_not1_b32 vcc_lo, exec_lo, s2
	s_cbranch_vccnz .LBB67_13
; %bb.12:                               ;   in Loop: Header=BB67_9 Depth=1
	v_readfirstlane_b32 s1, v7
	s_sub_co_i32 s2, 0, s16
	s_delay_alu instid0(SALU_CYCLE_1) | instskip(NEXT) | instid1(SALU_CYCLE_1)
	s_mul_i32 s2, s2, s1
	s_mul_hi_u32 s2, s1, s2
	s_delay_alu instid0(SALU_CYCLE_1) | instskip(NEXT) | instid1(SALU_CYCLE_1)
	s_add_co_i32 s1, s1, s2
	s_mul_hi_u32 s1, s0, s1
	s_delay_alu instid0(SALU_CYCLE_1) | instskip(NEXT) | instid1(SALU_CYCLE_1)
	s_mul_i32 s2, s1, s16
	s_sub_co_i32 s0, s0, s2
	s_add_co_i32 s2, s1, 1
	s_sub_co_i32 s3, s0, s16
	s_cmp_ge_u32 s0, s16
	s_cselect_b32 s1, s2, s1
	s_cselect_b32 s0, s3, s0
	s_add_co_i32 s2, s1, 1
	s_cmp_ge_u32 s0, s16
	s_cselect_b32 s24, s2, s1
	s_delay_alu instid0(SALU_CYCLE_1)
	s_mov_b64 s[40:41], s[24:25]
.LBB67_13:                              ;   in Loop: Header=BB67_9 Depth=1
	s_delay_alu instid0(SALU_CYCLE_1)
	s_cmp_lg_u32 s20, s40
	s_mov_b32 s0, -1
                                        ; implicit-def: $vgpr4_vgpr5
                                        ; implicit-def: $sgpr24
                                        ; implicit-def: $sgpr17
                                        ; implicit-def: $sgpr21
                                        ; implicit-def: $sgpr29
	s_cbranch_scc0 .LBB67_18
; %bb.14:                               ;   in Loop: Header=BB67_9 Depth=1
	s_add_co_i32 s0, s36, s16
	v_max_num_f32_e64 v4, s28, s28
	s_lshl_b32 s0, s0, 2
	s_mov_b32 s29, s20
	s_add_co_i32 s0, s0, s15
	s_load_b64 s[38:39], s[10:11], s0 offset:0x0 scale_offset
	s_wait_xcnt 0x0
	v_readfirstlane_b32 s0, v4
	s_wait_kmcnt 0x0
	v_max_num_f32_e64 v5, s38, s38
	s_delay_alu instid0(VALU_DEP_1) | instskip(SKIP_1) | instid1(SALU_CYCLE_3)
	v_readfirstlane_b32 s1, v5
	s_max_num_f32 s17, s0, s1
	s_sub_f32 s33, s28, s17
	s_sub_f32 s37, s38, s17
	s_delay_alu instid0(SALU_CYCLE_2)
	s_cmp_nlt_f32 s33, 0xc2ce8ed0
	s_cselect_b32 s1, -1, 0
	s_cmp_ngt_f32 s33, 0x42b17218
	s_cselect_b32 s2, -1, 0
	s_cmp_ge_f32 s33, 0xc1a00000
	s_cselect_b32 s0, -1, 0
	s_cmp_nlt_f32 s37, 0xc2ce8ed0
	s_cselect_b32 s3, -1, 0
	s_cmp_ngt_f32 s37, 0x42b17218
	s_cselect_b32 s4, -1, 0
	s_cmp_ge_f32 s37, 0xc1a00000
	s_cselect_b32 s5, -1, 0
	s_and_b64 s[42:43], s[40:41], s[8:9]
	s_delay_alu instid0(SALU_CYCLE_1) | instskip(NEXT) | instid1(SALU_CYCLE_1)
	s_mul_u64 s[42:43], s[42:43], s[22:23]
	s_add_co_i32 s21, s43, s40
	s_delay_alu instid0(SALU_CYCLE_1) | instskip(NEXT) | instid1(SALU_CYCLE_1)
	s_lshr_b32 s21, s21, s13
	s_mul_i32 s24, s21, s14
	s_delay_alu instid0(SALU_CYCLE_1) | instskip(SKIP_3) | instid1(SALU_CYCLE_1)
	s_cmp_eq_u32 s24, s40
	s_cselect_b32 s24, -1, 0
	s_cmp_lt_u32 s21, s12
	s_cselect_b32 s21, -1, 0
	s_or_b32 s21, s21, s24
	s_mov_b32 s24, -1
	s_and_b32 vcc_lo, exec_lo, s21
	s_mov_b32 s21, s36
	s_cbranch_vccnz .LBB67_16
; %bb.15:                               ;   in Loop: Header=BB67_9 Depth=1
	s_add_co_i32 s21, s36, -1
	s_mov_b32 s24, 0
	s_mov_b32 s29, s40
.LBB67_16:                              ;   in Loop: Header=BB67_9 Depth=1
	v_mad_u32 v4, 0x120, s36, v6
	s_mul_f32 s40, s33, 0x3fb8aa3b
	s_mul_f32 s38, s37, 0x3fb8aa3b
	s_delay_alu instid0(SALU_CYCLE_2)
	s_xor_b32 s42, s40, 0x80000000
	s_rndne_f32 s44, s40
	s_fmamk_f32 s42, s33, 0x3fb8aa3b, s42
	s_xor_b32 s41, s38, 0x80000000
	s_rndne_f32 s43, s38
	s_sub_f32 s40, s40, s44
	global_load_b32 v5, v4, s[26:27] scale_offset
	s_fmamk_f32 s33, s33, 0x32a5705f, s42
	s_fmamk_f32 s41, s37, 0x3fb8aa3b, s41
	s_sub_f32 s38, s38, s43
	s_delay_alu instid0(SALU_CYCLE_1) | instskip(NEXT) | instid1(SALU_CYCLE_1)
	s_add_f32 s33, s40, s33
	s_fmamk_f32 s37, s37, 0x32a5705f, s41
	s_cvt_i32_f32 s40, s44
	s_delay_alu instid0(SALU_CYCLE_1) | instskip(NEXT) | instid1(SALU_CYCLE_1)
	v_s_exp_f32 s33, s33
	s_add_f32 s37, s38, s37
	s_cvt_i32_f32 s38, s43
	s_delay_alu instid0(SALU_CYCLE_2) | instskip(NEXT) | instid1(TRANS32_DEP_2)
	v_s_exp_f32 s37, s37
	v_ldexp_f32 v8, s33, s40
	s_wait_xcnt 0x0
	s_delay_alu instid0(TRANS32_DEP_1) | instskip(NEXT) | instid1(VALU_DEP_2)
	v_ldexp_f32 v4, s37, s38
	v_cndmask_b32_e64 v8, 0, v8, s1
	s_delay_alu instid0(VALU_DEP_1) | instskip(NEXT) | instid1(VALU_DEP_1)
	v_cndmask_b32_e64 v9, 0x7f800000, v8, s2
	v_dual_cndmask_b32 v4, 0, v4, s3 :: v_dual_cndmask_b32 v10, 0, v9, s0
	s_delay_alu instid0(VALU_DEP_1) | instskip(NEXT) | instid1(VALU_DEP_1)
	v_cndmask_b32_e64 v4, 0x7f800000, v4, s4
	v_dual_cndmask_b32 v8, 0, v4, s5 :: v_dual_mov_b32 v4, s39
	s_wait_loadcnt 0x0
	s_delay_alu instid0(VALU_DEP_1) | instskip(NEXT) | instid1(VALU_DEP_1)
	v_pk_mul_f32 v[4:5], v[4:5], v[8:9] op_sel_hi:[1,0]
	v_pk_fma_f32 v[4:5], v[0:1], v[10:11], v[4:5] op_sel_hi:[1,0,1]
	s_cbranch_execz .LBB67_19
.LBB67_17:                              ;   in Loop: Header=BB67_9 Depth=1
	s_and_not1_b32 vcc_lo, exec_lo, s24
	s_cbranch_vccnz .LBB67_20
	s_branch .LBB67_23
.LBB67_18:                              ;   in Loop: Header=BB67_9 Depth=1
	s_and_not1_b32 vcc_lo, exec_lo, s0
	s_cbranch_vccnz .LBB67_17
.LBB67_19:                              ;   in Loop: Header=BB67_9 Depth=1
	s_wait_loadcnt 0x0
	v_mov_b64_e32 v[4:5], v[0:1]
	s_add_co_i32 s21, s36, -1
	s_mov_b32 s29, s20
	s_mov_b32 s17, s28
	s_cbranch_execz .LBB67_23
.LBB67_20:                              ;   in Loop: Header=BB67_9 Depth=1
	s_wait_loadcnt 0x0
	s_delay_alu instid0(VALU_DEP_1)
	v_mov_b64_e32 v[0:1], v[4:5]
	s_mov_b32 s20, s29
	s_mov_b32 s36, s21
	;; [unrolled: 1-line block ×3, first 2 shown]
	s_branch .LBB67_9
.LBB67_21:
                                        ; implicit-def: $sgpr20_sgpr21
	s_branch .LBB67_2
.LBB67_22:
                                        ; implicit-def: $sgpr24_sgpr25
	s_load_b96 s[12:14], s[0:1], 0x44
	s_branch .LBB67_5
.LBB67_23:
	s_delay_alu instid0(VALU_DEP_1) | instskip(SKIP_1) | instid1(VALU_DEP_1)
	v_div_scale_f32 v0, null, v4, v4, v5
	s_wait_loadcnt 0x0
	v_rcp_f32_e32 v1, v0
	v_nop
	s_delay_alu instid0(TRANS32_DEP_1) | instskip(NEXT) | instid1(VALU_DEP_1)
	v_fma_f32 v6, -v0, v1, 1.0
	v_fmac_f32_e32 v1, v6, v1
	v_div_scale_f32 v6, vcc_lo, v5, v4, v5
	s_delay_alu instid0(VALU_DEP_1) | instskip(NEXT) | instid1(VALU_DEP_1)
	v_mul_f32_e32 v7, v6, v1
	v_fma_f32 v8, -v0, v7, v6
	s_delay_alu instid0(VALU_DEP_1) | instskip(NEXT) | instid1(VALU_DEP_1)
	v_fmac_f32_e32 v7, v8, v1
	v_fma_f32 v0, -v0, v7, v6
	s_delay_alu instid0(VALU_DEP_1) | instskip(NEXT) | instid1(VALU_DEP_1)
	v_div_fmas_f32 v0, v0, v1, v7
	v_div_fixup_f32 v0, v0, v4, v5
	global_store_b32 v[2:3], v0, off
.LBB67_24:
	s_endpgm
	.section	.rodata,"a",@progbits
	.p2align	6, 0x0
	.amdhsa_kernel _ZL33flash_attn_stream_k_fixup_generalILi72ELi4ELi1EEvPfPK15HIP_vector_typeIfLj2EEiiiiS1_IjLj3EES5_S5_S5_
		.amdhsa_group_segment_fixed_size 0
		.amdhsa_private_segment_fixed_size 0
		.amdhsa_kernarg_size 336
		.amdhsa_user_sgpr_count 2
		.amdhsa_user_sgpr_dispatch_ptr 0
		.amdhsa_user_sgpr_queue_ptr 0
		.amdhsa_user_sgpr_kernarg_segment_ptr 1
		.amdhsa_user_sgpr_dispatch_id 0
		.amdhsa_user_sgpr_kernarg_preload_length 0
		.amdhsa_user_sgpr_kernarg_preload_offset 0
		.amdhsa_user_sgpr_private_segment_size 0
		.amdhsa_wavefront_size32 1
		.amdhsa_uses_dynamic_stack 0
		.amdhsa_enable_private_segment 0
		.amdhsa_system_sgpr_workgroup_id_x 1
		.amdhsa_system_sgpr_workgroup_id_y 1
		.amdhsa_system_sgpr_workgroup_id_z 1
		.amdhsa_system_sgpr_workgroup_info 0
		.amdhsa_system_vgpr_workitem_id 0
		.amdhsa_next_free_vgpr 12
		.amdhsa_next_free_sgpr 46
		.amdhsa_named_barrier_count 0
		.amdhsa_reserve_vcc 1
		.amdhsa_float_round_mode_32 0
		.amdhsa_float_round_mode_16_64 0
		.amdhsa_float_denorm_mode_32 3
		.amdhsa_float_denorm_mode_16_64 3
		.amdhsa_fp16_overflow 0
		.amdhsa_memory_ordered 1
		.amdhsa_forward_progress 1
		.amdhsa_inst_pref_size 27
		.amdhsa_round_robin_scheduling 0
		.amdhsa_exception_fp_ieee_invalid_op 0
		.amdhsa_exception_fp_denorm_src 0
		.amdhsa_exception_fp_ieee_div_zero 0
		.amdhsa_exception_fp_ieee_overflow 0
		.amdhsa_exception_fp_ieee_underflow 0
		.amdhsa_exception_fp_ieee_inexact 0
		.amdhsa_exception_int_div_zero 0
	.end_amdhsa_kernel
	.section	.text._ZL33flash_attn_stream_k_fixup_generalILi72ELi4ELi1EEvPfPK15HIP_vector_typeIfLj2EEiiiiS1_IjLj3EES5_S5_S5_,"axG",@progbits,_ZL33flash_attn_stream_k_fixup_generalILi72ELi4ELi1EEvPfPK15HIP_vector_typeIfLj2EEiiiiS1_IjLj3EES5_S5_S5_,comdat
.Lfunc_end67:
	.size	_ZL33flash_attn_stream_k_fixup_generalILi72ELi4ELi1EEvPfPK15HIP_vector_typeIfLj2EEiiiiS1_IjLj3EES5_S5_S5_, .Lfunc_end67-_ZL33flash_attn_stream_k_fixup_generalILi72ELi4ELi1EEvPfPK15HIP_vector_typeIfLj2EEiiiiS1_IjLj3EES5_S5_S5_
                                        ; -- End function
	.set _ZL33flash_attn_stream_k_fixup_generalILi72ELi4ELi1EEvPfPK15HIP_vector_typeIfLj2EEiiiiS1_IjLj3EES5_S5_S5_.num_vgpr, 12
	.set _ZL33flash_attn_stream_k_fixup_generalILi72ELi4ELi1EEvPfPK15HIP_vector_typeIfLj2EEiiiiS1_IjLj3EES5_S5_S5_.num_agpr, 0
	.set _ZL33flash_attn_stream_k_fixup_generalILi72ELi4ELi1EEvPfPK15HIP_vector_typeIfLj2EEiiiiS1_IjLj3EES5_S5_S5_.numbered_sgpr, 46
	.set _ZL33flash_attn_stream_k_fixup_generalILi72ELi4ELi1EEvPfPK15HIP_vector_typeIfLj2EEiiiiS1_IjLj3EES5_S5_S5_.num_named_barrier, 0
	.set _ZL33flash_attn_stream_k_fixup_generalILi72ELi4ELi1EEvPfPK15HIP_vector_typeIfLj2EEiiiiS1_IjLj3EES5_S5_S5_.private_seg_size, 0
	.set _ZL33flash_attn_stream_k_fixup_generalILi72ELi4ELi1EEvPfPK15HIP_vector_typeIfLj2EEiiiiS1_IjLj3EES5_S5_S5_.uses_vcc, 1
	.set _ZL33flash_attn_stream_k_fixup_generalILi72ELi4ELi1EEvPfPK15HIP_vector_typeIfLj2EEiiiiS1_IjLj3EES5_S5_S5_.uses_flat_scratch, 0
	.set _ZL33flash_attn_stream_k_fixup_generalILi72ELi4ELi1EEvPfPK15HIP_vector_typeIfLj2EEiiiiS1_IjLj3EES5_S5_S5_.has_dyn_sized_stack, 0
	.set _ZL33flash_attn_stream_k_fixup_generalILi72ELi4ELi1EEvPfPK15HIP_vector_typeIfLj2EEiiiiS1_IjLj3EES5_S5_S5_.has_recursion, 0
	.set _ZL33flash_attn_stream_k_fixup_generalILi72ELi4ELi1EEvPfPK15HIP_vector_typeIfLj2EEiiiiS1_IjLj3EES5_S5_S5_.has_indirect_call, 0
	.section	.AMDGPU.csdata,"",@progbits
; Kernel info:
; codeLenInByte = 3344
; TotalNumSgprs: 48
; NumVgprs: 12
; ScratchSize: 0
; MemoryBound: 0
; FloatMode: 240
; IeeeMode: 1
; LDSByteSize: 0 bytes/workgroup (compile time only)
; SGPRBlocks: 0
; VGPRBlocks: 0
; NumSGPRsForWavesPerEU: 48
; NumVGPRsForWavesPerEU: 12
; NamedBarCnt: 0
; Occupancy: 16
; WaveLimiterHint : 0
; COMPUTE_PGM_RSRC2:SCRATCH_EN: 0
; COMPUTE_PGM_RSRC2:USER_SGPR: 2
; COMPUTE_PGM_RSRC2:TRAP_HANDLER: 0
; COMPUTE_PGM_RSRC2:TGID_X_EN: 1
; COMPUTE_PGM_RSRC2:TGID_Y_EN: 1
; COMPUTE_PGM_RSRC2:TGID_Z_EN: 1
; COMPUTE_PGM_RSRC2:TIDIG_COMP_CNT: 0
	.section	.text._ZL15flash_attn_tileILi72ELi72ELi2ELi1ELb0EEvPKcS1_S1_S1_S1_PKiPfP15HIP_vector_typeIfLj2EEffffjfiS5_IjLj3EEiiiiiiiiiiiliiliiiiil,"axG",@progbits,_ZL15flash_attn_tileILi72ELi72ELi2ELi1ELb0EEvPKcS1_S1_S1_S1_PKiPfP15HIP_vector_typeIfLj2EEffffjfiS5_IjLj3EEiiiiiiiiiiiliiliiiiil,comdat
	.globl	_ZL15flash_attn_tileILi72ELi72ELi2ELi1ELb0EEvPKcS1_S1_S1_S1_PKiPfP15HIP_vector_typeIfLj2EEffffjfiS5_IjLj3EEiiiiiiiiiiiliiliiiiil ; -- Begin function _ZL15flash_attn_tileILi72ELi72ELi2ELi1ELb0EEvPKcS1_S1_S1_S1_PKiPfP15HIP_vector_typeIfLj2EEffffjfiS5_IjLj3EEiiiiiiiiiiiliiliiiiil
	.p2align	8
	.type	_ZL15flash_attn_tileILi72ELi72ELi2ELi1ELb0EEvPKcS1_S1_S1_S1_PKiPfP15HIP_vector_typeIfLj2EEffffjfiS5_IjLj3EEiiiiiiiiiiiliiliiiiil,@function
_ZL15flash_attn_tileILi72ELi72ELi2ELi1ELb0EEvPKcS1_S1_S1_S1_PKiPfP15HIP_vector_typeIfLj2EEffffjfiS5_IjLj3EEiiiiiiiiiiiliiliiiiil: ; @_ZL15flash_attn_tileILi72ELi72ELi2ELi1ELb0EEvPKcS1_S1_S1_S1_PKiPfP15HIP_vector_typeIfLj2EEffffjfiS5_IjLj3EEiiiiiiiiiiiliiliiiiil
; %bb.0:
	s_clause 0x1
	s_load_b128 s[20:23], s[0:1], 0x5c
	s_load_b64 s[34:35], s[0:1], 0x80
	s_bfe_u32 s4, ttmp6, 0x40014
	s_lshr_b32 s3, ttmp7, 16
	s_add_co_i32 s4, s4, 1
	s_bfe_u32 s5, ttmp6, 0x40008
	s_mul_i32 s4, s3, s4
	s_getreg_b32 s38, hwreg(HW_REG_IB_STS2, 6, 4)
	s_add_co_i32 s5, s5, s4
	s_mov_b32 s37, 0
	s_mov_b64 s[30:31], 0
	s_wait_kmcnt 0x0
	s_cvt_f32_u32 s2, s23
	s_sub_co_i32 s6, 0, s23
	s_delay_alu instid0(SALU_CYCLE_2) | instskip(SKIP_1) | instid1(TRANS32_DEP_1)
	v_rcp_iflag_f32_e32 v1, s2
	v_nop
	v_readfirstlane_b32 s2, v1
	s_mul_f32 s2, s2, 0x4f7ffffe
	s_delay_alu instid0(SALU_CYCLE_3) | instskip(NEXT) | instid1(SALU_CYCLE_3)
	s_cvt_u32_f32 s2, s2
	s_mul_i32 s6, s6, s2
	s_delay_alu instid0(SALU_CYCLE_1) | instskip(NEXT) | instid1(SALU_CYCLE_1)
	s_mul_hi_u32 s6, s2, s6
	s_add_co_i32 s2, s2, s6
	s_cmp_eq_u32 s38, 0
	s_cselect_b32 s3, s3, s5
	s_delay_alu instid0(SALU_CYCLE_1) | instskip(NEXT) | instid1(SALU_CYCLE_1)
	s_mul_hi_u32 s2, s3, s2
	s_mul_i32 s4, s2, s23
	s_add_co_i32 s5, s2, 1
	s_sub_co_i32 s4, s3, s4
	s_delay_alu instid0(SALU_CYCLE_1)
	s_sub_co_i32 s6, s4, s23
	s_cmp_ge_u32 s4, s23
	s_cselect_b32 s2, s5, s2
	s_cselect_b32 s4, s6, s4
	s_add_co_i32 s5, s2, 1
	s_cmp_ge_u32 s4, s23
	s_cselect_b32 s28, s5, s2
	s_abs_i32 s2, s35
	s_abs_i32 s7, s23
	s_cvt_f32_u32 s4, s2
	s_sub_co_i32 s5, 0, s2
	s_xor_b32 s6, s23, s35
	s_delay_alu instid0(SALU_CYCLE_1) | instskip(SKIP_2) | instid1(TRANS32_DEP_1)
	v_rcp_iflag_f32_e32 v1, s4
	s_ashr_i32 s6, s6, 31
	v_nop
	v_readfirstlane_b32 s4, v1
	s_mul_f32 s4, s4, 0x4f7ffffe
	s_delay_alu instid0(SALU_CYCLE_3) | instskip(NEXT) | instid1(SALU_CYCLE_3)
	s_cvt_u32_f32 s4, s4
	s_mul_i32 s5, s5, s4
	s_delay_alu instid0(SALU_CYCLE_1) | instskip(NEXT) | instid1(SALU_CYCLE_1)
	s_mul_hi_u32 s5, s4, s5
	s_add_co_i32 s4, s4, s5
	s_mul_i32 s5, s28, s23
	s_mul_hi_u32 s4, s7, s4
	s_sub_co_i32 s33, s3, s5
	s_mul_i32 s8, s4, s2
	s_add_co_i32 s5, s4, 1
	s_sub_co_i32 s3, s7, s8
	s_delay_alu instid0(SALU_CYCLE_1)
	s_sub_co_i32 s7, s3, s2
	s_cmp_ge_u32 s3, s2
	s_cselect_b32 s4, s5, s4
	s_cselect_b32 s3, s7, s3
	s_add_co_i32 s5, s4, 1
	s_cmp_ge_u32 s3, s2
	s_cselect_b32 s2, s5, s4
	s_delay_alu instid0(SALU_CYCLE_1) | instskip(NEXT) | instid1(SALU_CYCLE_1)
	s_xor_b32 s2, s2, s6
	s_sub_co_i32 s29, s2, s6
	s_delay_alu instid0(SALU_CYCLE_1) | instskip(NEXT) | instid1(SALU_CYCLE_1)
	s_abs_i32 s39, s29
	s_cvt_f32_u32 s2, s39
	s_delay_alu instid0(SALU_CYCLE_3) | instskip(SKIP_4) | instid1(TRANS32_DEP_1)
	v_rcp_iflag_f32_e32 v1, s2
	s_clause 0x1
	s_load_b512 s[4:19], s[0:1], 0x0
	s_load_b64 s[2:3], s[0:1], 0xb8
	v_nop
	v_readfirstlane_b32 s24, v1
	s_mul_f32 s24, s24, 0x4f7ffffe
	s_delay_alu instid0(SALU_CYCLE_3) | instskip(SKIP_4) | instid1(SALU_CYCLE_1)
	s_cvt_u32_f32 s35, s24
	s_sub_co_i32 s24, 0, s39
	s_wait_kmcnt 0x0
	s_cmp_eq_u64 s[10:11], 0
	s_mul_i32 s24, s24, s35
	s_mul_hi_u32 s40, s35, s24
	s_cbranch_scc1 .LBB68_2
; %bb.1:
	s_abs_i32 s2, s2
	s_abs_i32 s26, s28
	s_cvt_f32_u32 s24, s2
	s_sub_co_i32 s25, 0, s2
	s_delay_alu instid0(SALU_CYCLE_2) | instskip(SKIP_1) | instid1(TRANS32_DEP_1)
	v_rcp_iflag_f32_e32 v1, s24
	v_nop
	v_readfirstlane_b32 s24, v1
	s_mul_f32 s24, s24, 0x4f7ffffe
	s_delay_alu instid0(SALU_CYCLE_3) | instskip(NEXT) | instid1(SALU_CYCLE_3)
	s_cvt_u32_f32 s24, s24
	s_mul_i32 s25, s25, s24
	s_delay_alu instid0(SALU_CYCLE_1) | instskip(NEXT) | instid1(SALU_CYCLE_1)
	s_mul_hi_u32 s25, s24, s25
	s_add_co_i32 s24, s24, s25
	s_delay_alu instid0(SALU_CYCLE_1) | instskip(SKIP_2) | instid1(SALU_CYCLE_1)
	s_mul_hi_u32 s27, s26, s24
	s_load_b64 s[24:25], s[0:1], 0xc8
	s_mul_i32 s27, s27, s2
	s_sub_co_i32 s26, s26, s27
	s_ashr_i32 s27, s28, 31
	s_sub_co_i32 s30, s26, s2
	s_cmp_ge_u32 s26, s2
	s_cselect_b32 s26, s30, s26
	s_delay_alu instid0(SALU_CYCLE_1) | instskip(SKIP_2) | instid1(SALU_CYCLE_1)
	s_sub_co_i32 s30, s26, s2
	s_cmp_ge_u32 s26, s2
	s_cselect_b32 s2, s30, s26
	s_xor_b32 s2, s2, s27
	s_delay_alu instid0(SALU_CYCLE_1) | instskip(NEXT) | instid1(SALU_CYCLE_1)
	s_sub_co_i32 s26, s2, s27
	s_ashr_i32 s27, s26, 31
	s_wait_kmcnt 0x0
	s_mul_u64 s[24:25], s[24:25], s[26:27]
	s_delay_alu instid0(SALU_CYCLE_1)
	s_add_nc_u64 s[30:31], s[10:11], s[24:25]
.LBB68_2:
	s_clause 0x1
	s_load_b128 s[24:27], s[0:1], 0x40
	s_load_b32 s2, s[0:1], 0x50
	s_abs_i32 s36, s33
	s_add_co_i32 s10, s35, s40
	v_mov_b32_e32 v27, 1.0
	s_wait_kmcnt 0x0
	s_cmp_le_f32 s25, 0
	s_cbranch_scc1 .LBB68_4
; %bb.3:
	v_sub_co_u32 v1, s2, s33, s2
	s_and_b32 s35, s2, exec_lo
	s_cselect_b32 s26, s26, s27
	s_add_co_i32 s27, s33, 1
	v_readfirstlane_b32 s11, v1
	s_lshl_b32 s11, s11, 1
	s_delay_alu instid0(SALU_CYCLE_1) | instskip(SKIP_4) | instid1(SALU_CYCLE_3)
	s_or_b32 s11, s11, 1
	s_and_b32 s2, s2, exec_lo
	s_cselect_b32 s2, s27, s11
	s_cmp_neq_f32 s26, 1.0
	s_cvt_f32_i32 s2, s2
	s_cselect_b32 s11, s2, 1.0
	s_delay_alu instid0(SALU_CYCLE_1) | instskip(SKIP_1) | instid1(SALU_CYCLE_1)
	s_cmp_neq_f32 s11, 0
	s_cselect_b32 s2, s26, 1.0
	v_cvt_f64_f32_e64 v[2:3], |s2|
	s_delay_alu instid0(VALU_DEP_1) | instskip(SKIP_1) | instid1(VALU_DEP_1)
	v_frexp_exp_i32_f64_e32 v1, v[2:3]
	v_frexp_mant_f32_e64 v2, |s2|
	v_readfirstlane_b32 s26, v2
	s_cmp_lt_f32 s26, 0x3f2aaaab
	s_cselect_b32 vcc_lo, -1, 0
	s_delay_alu instid0(SALU_CYCLE_1) | instskip(SKIP_1) | instid1(SALU_CYCLE_1)
	s_and_b32 s27, vcc_lo, exec_lo
	s_cselect_b32 s27, 2.0, 1.0
	s_mul_f32 s26, s26, s27
	s_delay_alu instid0(SALU_CYCLE_3) | instskip(SKIP_1) | instid1(SALU_CYCLE_2)
	s_add_f32 s27, s26, 1.0
	s_add_f32 s40, s26, -1.0
	v_s_rcp_f32 s35, s27
	s_add_f32 s43, s27, -1.0
	v_subrev_co_ci_u32_e64 v1, null, 0, v1, vcc_lo
	s_delay_alu instid0(SALU_CYCLE_2) | instskip(NEXT) | instid1(TRANS32_DEP_1)
	s_sub_f32 s26, s26, s43
	s_mul_f32 s41, s40, s35
	v_cvt_f32_i32_e32 v1, v1
	s_delay_alu instid0(SALU_CYCLE_2) | instskip(NEXT) | instid1(SALU_CYCLE_3)
	s_mul_f32 s42, s27, s41
	v_dual_mov_b32 v3, s40 :: v_dual_mov_b32 v4, s42
	s_xor_b32 s44, s42, 0x80000000
	s_delay_alu instid0(SALU_CYCLE_1) | instskip(NEXT) | instid1(SALU_CYCLE_3)
	s_fmac_f32 s44, s41, s27
	s_fmac_f32 s44, s41, s26
	s_delay_alu instid0(SALU_CYCLE_3) | instskip(SKIP_2) | instid1(SALU_CYCLE_1)
	s_add_f32 s26, s42, s44
	v_mov_b32_e32 v6, s44
	s_mov_b32 s42, 0x3e76c4e1
	s_sub_f32 s27, s40, s26
	v_dual_mov_b32 v2, s26 :: v_dual_mov_b32 v7, s26
	s_delay_alu instid0(SALU_CYCLE_2) | instskip(NEXT) | instid1(VALU_DEP_1)
	v_mov_b32_e32 v5, s27
	v_pk_add_f32 v[2:3], v[2:3], v[4:5] neg_lo:[0,1] neg_hi:[0,1]
	s_delay_alu instid0(VALU_DEP_1) | instskip(NEXT) | instid1(VALU_DEP_1)
	v_pk_add_f32 v[2:3], v[2:3], v[6:7] neg_lo:[0,1] neg_hi:[0,1]
	v_readfirstlane_b32 s26, v3
	s_delay_alu instid0(VALU_DEP_2) | instskip(SKIP_1) | instid1(SALU_CYCLE_3)
	v_readfirstlane_b32 s40, v2
	s_add_f32 s26, s40, s26
	s_add_f32 s26, s27, s26
	s_delay_alu instid0(SALU_CYCLE_3) | instskip(NEXT) | instid1(SALU_CYCLE_3)
	s_mul_f32 s27, s35, s26
	s_add_f32 s26, s41, s27
	s_delay_alu instid0(SALU_CYCLE_3) | instskip(SKIP_1) | instid1(SALU_CYCLE_2)
	s_sub_f32 s35, s26, s41
	s_mul_f32 s41, s26, s26
	s_sub_f32 s35, s27, s35
	s_delay_alu instid0(SALU_CYCLE_2) | instskip(NEXT) | instid1(SALU_CYCLE_1)
	s_xor_b32 s27, s41, 0x80000000
	s_fmac_f32 s27, s26, s26
	s_delay_alu instid0(SALU_CYCLE_1) | instskip(NEXT) | instid1(SALU_CYCLE_3)
	s_add_f32 s40, s35, s35
	s_fmac_f32 s27, s26, s40
	s_delay_alu instid0(SALU_CYCLE_3) | instskip(NEXT) | instid1(SALU_CYCLE_3)
	s_add_f32 s40, s41, s27
	s_fmaak_f32 s42, s40, s42, 0x3e91f4c4
	s_sub_f32 s41, s40, s41
	s_delay_alu instid0(SALU_CYCLE_2) | instskip(NEXT) | instid1(SALU_CYCLE_2)
	s_fmaak_f32 s42, s40, s42, 0x3ecccdef
	s_sub_f32 s45, s27, s41
	s_delay_alu instid0(SALU_CYCLE_2) | instskip(NEXT) | instid1(SALU_CYCLE_3)
	s_mul_f32 s43, s40, s42
	s_xor_b32 s44, s43, 0x80000000
	s_delay_alu instid0(SALU_CYCLE_1) | instskip(NEXT) | instid1(SALU_CYCLE_3)
	s_fmac_f32 s44, s40, s42
	s_fmac_f32 s44, s45, s42
	s_delay_alu instid0(SALU_CYCLE_3) | instskip(NEXT) | instid1(SALU_CYCLE_3)
	s_add_f32 s41, s43, s44
	s_sub_f32 s27, s41, s43
	s_add_f32 s42, s41, 0x3f2aaaaa
	s_delay_alu instid0(SALU_CYCLE_2) | instskip(NEXT) | instid1(SALU_CYCLE_2)
	s_sub_f32 s27, s44, s27
	s_add_f32 s43, s42, 0xbf2aaaaa
	s_delay_alu instid0(SALU_CYCLE_2) | instskip(NEXT) | instid1(SALU_CYCLE_2)
	s_add_f32 s27, s27, 0x31739010
	s_sub_f32 s41, s41, s43
	s_delay_alu instid0(SALU_CYCLE_2) | instskip(NEXT) | instid1(SALU_CYCLE_2)
	v_mov_b64_e32 v[2:3], s[26:27]
	v_mov_b64_e32 v[4:5], s[40:41]
	s_delay_alu instid0(VALU_DEP_1) | instskip(SKIP_2) | instid1(VALU_DEP_3)
	v_pk_mul_f32 v[6:7], v[2:3], v[4:5]
	v_pk_add_f32 v[2:3], v[2:3], v[4:5]
	v_mov_b32_e32 v9, s42
	v_xor_b32_e32 v8, 0x80000000, v6
	s_delay_alu instid0(VALU_DEP_3) | instskip(NEXT) | instid1(VALU_DEP_2)
	v_mov_b32_e32 v7, v3
	v_fmac_f32_e64 v8, s40, s26
	s_delay_alu instid0(VALU_DEP_1) | instskip(NEXT) | instid1(VALU_DEP_1)
	v_fmac_f32_e64 v8, s40, s35
	v_fmac_f32_e64 v8, s45, s26
	s_delay_alu instid0(VALU_DEP_1) | instskip(NEXT) | instid1(VALU_DEP_1)
	v_pk_add_f32 v[4:5], v[6:7], v[8:9]
	v_dual_mov_b32 v2, v5 :: v_dual_sub_f32 v7, s42, v5
	v_mul_f32_e32 v12, 0x3f317218, v1
	s_delay_alu instid0(VALU_DEP_2) | instskip(NEXT) | instid1(VALU_DEP_3)
	v_pk_mul_f32 v[10:11], v[4:5], v[2:3]
	v_add_f32_e32 v3, v3, v7
	s_delay_alu instid0(VALU_DEP_3) | instskip(NEXT) | instid1(VALU_DEP_3)
	v_xor_b32_e32 v7, 0x80000000, v12
	v_xor_b32_e32 v2, 0x80000000, v10
	s_delay_alu instid0(VALU_DEP_2) | instskip(NEXT) | instid1(VALU_DEP_2)
	v_dual_sub_f32 v6, v4, v6 :: v_dual_fmac_f32 v7, 0x3f317218, v1
	v_fmac_f32_e32 v2, v4, v5
	s_delay_alu instid0(VALU_DEP_2) | instskip(NEXT) | instid1(VALU_DEP_2)
	v_sub_f32_e32 v6, v8, v6
	v_fmac_f32_e32 v2, v4, v3
	s_delay_alu instid0(VALU_DEP_1) | instskip(SKIP_3) | instid1(VALU_DEP_2)
	v_fmac_f32_e32 v2, v6, v5
	v_fmamk_f32 v4, v1, 0xb102e308, v7
	v_ldexp_f32 v5, s26, 1
	v_ldexp_f32 v1, s35, 1
	v_dual_add_f32 v13, v10, v2 :: v_dual_mov_b32 v11, v5
	s_delay_alu instid0(VALU_DEP_1) | instskip(SKIP_1) | instid1(VALU_DEP_2)
	v_pk_add_f32 v[6:7], v[12:13], v[4:5]
	v_dual_mov_b32 v8, v13 :: v_dual_mov_b32 v3, v13
	v_dual_mov_b32 v9, v7 :: v_dual_mov_b32 v5, v6
	v_mov_b32_e32 v14, v7
	s_delay_alu instid0(VALU_DEP_2) | instskip(NEXT) | instid1(VALU_DEP_1)
	v_pk_add_f32 v[8:9], v[8:9], v[10:11] neg_lo:[0,1] neg_hi:[0,1]
	v_pk_add_f32 v[2:3], v[2:3], v[8:9] neg_lo:[0,1] neg_hi:[0,1]
	s_delay_alu instid0(VALU_DEP_1) | instskip(NEXT) | instid1(VALU_DEP_1)
	v_add_f32_e32 v1, v1, v2
	v_add_f32_e32 v13, v1, v3
	s_delay_alu instid0(VALU_DEP_1) | instskip(SKIP_1) | instid1(VALU_DEP_2)
	v_pk_add_f32 v[2:3], v[6:7], v[12:13]
	v_pk_add_f32 v[8:9], v[6:7], v[12:13] neg_lo:[0,1] neg_hi:[0,1]
	v_mov_b32_e32 v9, v3
	s_delay_alu instid0(VALU_DEP_1) | instskip(SKIP_2) | instid1(VALU_DEP_3)
	v_pk_add_f32 v[10:11], v[4:5], v[8:9]
	v_pk_add_f32 v[4:5], v[4:5], v[8:9] neg_lo:[0,1] neg_hi:[0,1]
	v_dual_mov_b32 v16, v3 :: v_dual_mov_b32 v5, v6
	v_dual_mov_b32 v12, v11 :: v_dual_mov_b32 v17, v11
	s_delay_alu instid0(VALU_DEP_3) | instskip(NEXT) | instid1(VALU_DEP_2)
	v_readfirstlane_b32 s26, v4
	v_pk_add_f32 v[8:9], v[12:13], v[6:7] neg_lo:[0,1] neg_hi:[0,1]
	s_delay_alu instid0(VALU_DEP_2) | instskip(NEXT) | instid1(VALU_DEP_2)
	v_dual_mov_b32 v4, v13 :: v_dual_mov_b32 v10, s26
	v_dual_mov_b32 v15, v8 :: v_dual_mov_b32 v1, v8
	s_delay_alu instid0(VALU_DEP_1) | instskip(NEXT) | instid1(VALU_DEP_2)
	v_pk_add_f32 v[6:7], v[16:17], v[14:15] neg_lo:[0,1] neg_hi:[0,1]
	v_pk_add_f32 v[2:3], v[2:3], v[0:1] neg_lo:[0,1] neg_hi:[0,1]
	v_mov_b32_e32 v2, s26
	s_delay_alu instid0(VALU_DEP_3) | instskip(NEXT) | instid1(VALU_DEP_1)
	v_pk_add_f32 v[4:5], v[4:5], v[6:7] neg_lo:[0,1] neg_hi:[0,1]
	v_pk_add_f32 v[2:3], v[2:3], v[4:5]
	s_delay_alu instid0(VALU_DEP_1) | instskip(NEXT) | instid1(VALU_DEP_2)
	v_readfirstlane_b32 s27, v2
	v_mov_b32_e32 v6, v3
	s_delay_alu instid0(VALU_DEP_1) | instskip(NEXT) | instid1(VALU_DEP_3)
	v_pk_add_f32 v[6:7], v[2:3], v[6:7]
	v_mov_b32_e32 v2, s27
	s_delay_alu instid0(VALU_DEP_2) | instskip(SKIP_1) | instid1(VALU_DEP_2)
	v_pk_add_f32 v[8:9], v[12:13], v[6:7]
	v_mov_b32_e32 v5, v6
	v_readfirstlane_b32 s35, v8
	s_delay_alu instid0(VALU_DEP_1) | instskip(NEXT) | instid1(VALU_DEP_1)
	v_mov_b32_e32 v3, s35
	v_pk_add_f32 v[2:3], v[2:3], v[10:11] neg_lo:[0,1] neg_hi:[0,1]
	s_delay_alu instid0(VALU_DEP_1) | instskip(NEXT) | instid1(VALU_DEP_2)
	v_readfirstlane_b32 s40, v2
	v_pk_add_f32 v[2:3], v[4:5], v[2:3] neg_lo:[0,1] neg_hi:[0,1]
	s_sub_f32 s27, s27, s40
	s_delay_alu instid0(VALU_DEP_1) | instskip(NEXT) | instid1(SALU_CYCLE_2)
	v_readfirstlane_b32 s40, v2
	s_sub_f32 s26, s26, s27
	v_readfirstlane_b32 s27, v3
	s_delay_alu instid0(SALU_CYCLE_2) | instskip(NEXT) | instid1(SALU_CYCLE_3)
	s_add_f32 s26, s40, s26
	s_add_f32 s26, s26, s27
	s_delay_alu instid0(SALU_CYCLE_3) | instskip(NEXT) | instid1(SALU_CYCLE_3)
	s_add_f32 s27, s35, s26
	s_mul_f32 s40, s11, s27
	s_sub_f32 s35, s27, s35
	s_delay_alu instid0(SALU_CYCLE_2) | instskip(NEXT) | instid1(SALU_CYCLE_2)
	s_xor_b32 s41, s40, 0x80000000
	s_sub_f32 s26, s26, s35
	s_fmac_f32 s41, s11, s27
	s_delay_alu instid0(SALU_CYCLE_3) | instskip(SKIP_1) | instid1(SALU_CYCLE_2)
	s_fmac_f32 s41, s11, s26
	v_cmp_class_f32_e64 s26, s40, 0x204
	s_add_f32 s27, s40, s41
	s_and_b32 s26, s26, exec_lo
	s_delay_alu instid0(SALU_CYCLE_2) | instskip(SKIP_1) | instid1(SALU_CYCLE_1)
	s_sub_f32 s26, s27, s40
	s_cselect_b32 s27, s40, s27
	s_and_b32 s35, s27, 0x7fffffff
	s_delay_alu instid0(SALU_CYCLE_1) | instskip(SKIP_1) | instid1(SALU_CYCLE_2)
	s_sub_f32 s26, s41, s26
	s_cmp_neq_f32 s35, 0x7f800000
	s_cselect_b32 s26, s26, 0
	s_cmp_eq_f32 s27, 0x42b17218
	s_cselect_b32 s35, 0x37000000, 0
	s_delay_alu instid0(SALU_CYCLE_1) | instskip(SKIP_1) | instid1(SALU_CYCLE_2)
	s_sub_f32 s27, s27, s35
	s_add_f32 s26, s35, s26
	s_mul_f32 s40, s27, 0x3fb8aa3b
	s_delay_alu instid0(SALU_CYCLE_3) | instskip(SKIP_3) | instid1(SALU_CYCLE_1)
	s_xor_b32 s41, s40, 0x80000000
	s_rndne_f32 s42, s40
	s_fmamk_f32 s41, s27, 0x3fb8aa3b, s41
	s_cmp_nlt_f32 s27, 0xc2ce8ed0
	s_sub_f32 s40, s40, s42
	s_delay_alu instid0(SALU_CYCLE_1)
	s_fmamk_f32 s41, s27, 0x32a5705f, s41
	s_cselect_b32 vcc_lo, -1, 0
	s_cmp_ngt_f32 s27, 0x42b17218
	s_trunc_f32 s27, s11
	s_add_f32 s40, s40, s41
	s_cvt_i32_f32 s41, s42
	s_delay_alu instid0(SALU_CYCLE_2)
	v_s_exp_f32 s40, s40
	v_nop
	s_delay_alu instid0(TRANS32_DEP_1) | instid1(SALU_CYCLE_1)
	v_ldexp_f32 v1, s40, s41
	s_mul_f32 s40, s11, 0.5
	s_delay_alu instid0(VALU_DEP_1) | instskip(SKIP_3) | instid1(VALU_DEP_1)
	v_cndmask_b32_e32 v1, 0, v1, vcc_lo
	s_cselect_b32 vcc_lo, -1, 0
	s_cmp_eq_f32 s27, s11
	s_trunc_f32 s41, s40
	v_cndmask_b32_e32 v1, 0x7f800000, v1, vcc_lo
	s_cselect_b32 s42, -1, 0
	s_delay_alu instid0(SALU_CYCLE_1) | instskip(NEXT) | instid1(VALU_DEP_1)
	s_cmp_neq_f32 s41, s40
	v_fma_f32 v2, s26, v1, v1
	v_cmp_class_f32_e64 vcc_lo, v1, 0x204
	s_cselect_b32 s35, -1, 0
	s_delay_alu instid0(SALU_CYCLE_1)
	s_and_b32 s26, s42, s35
	v_cndmask_b32_e32 v1, v2, v1, vcc_lo
	s_and_b32 s35, s26, exec_lo
	s_cselect_b32 s35, s2, 1.0
	s_cmp_eq_f32 s27, s11
	v_cmp_class_f32_e64 s27, s2, 0x204
	v_bfi_b32 v1, 0x7fffffff, v1, s35
	s_cselect_b32 vcc_lo, -1, 0
	s_cmp_lt_f32 s2, 0
	s_delay_alu instid0(VALU_DEP_1) | instskip(SKIP_2) | instid1(VALU_DEP_1)
	v_cndmask_b32_e32 v2, 0x7fc00000, v1, vcc_lo
	s_cselect_b32 vcc_lo, -1, 0
	s_cmp_eq_f32 s2, 0
	v_cndmask_b32_e32 v1, v1, v2, vcc_lo
	s_cselect_b32 s35, -1, 0
	s_delay_alu instid0(SALU_CYCLE_1) | instskip(SKIP_2) | instid1(SALU_CYCLE_1)
	s_or_b32 vcc_lo, s35, s27
	s_cmp_lt_f32 s11, 0
	s_cselect_b32 s11, -1, 0
	s_xor_b32 s11, s11, s35
	s_delay_alu instid0(SALU_CYCLE_1)
	s_and_b32 s11, s11, exec_lo
	s_cselect_b32 s11, 0, 0x7f800000
	s_and_b32 s26, s26, exec_lo
	s_cselect_b32 s26, s2, 0
	s_cmp_o_f32 s2, s2
	v_mov_b32_e32 v2, s26
	s_delay_alu instid0(VALU_DEP_1) | instskip(NEXT) | instid1(VALU_DEP_1)
	v_bfi_b32 v2, 0x7fffffff, s11, v2
	v_cndmask_b32_e32 v1, v1, v2, vcc_lo
	s_cselect_b32 vcc_lo, -1, 0
	s_delay_alu instid0(VALU_DEP_1)
	v_cndmask_b32_e32 v27, 0x7fc00000, v1, vcc_lo
.LBB68_4:
	s_bfe_u32 s2, ttmp6, 0x4000c
	s_and_b32 s11, ttmp6, 15
	s_add_co_i32 s2, s2, 1
	v_bfe_u32 v34, v0, 10, 10
	s_mul_i32 s2, ttmp9, s2
	v_and_b32_e32 v22, 0x3ff, v0
	s_add_co_i32 s11, s11, s2
	s_cmp_eq_u32 s38, 0
	s_movk_i32 s27, 0x90
	s_cselect_b32 s26, ttmp9, s11
	v_cmp_gt_u32_e64 s2, 18, v22
	s_lshl_b32 s11, s26, 1
	v_mad_u32_u24 v30, v34, s27, 0x14e0
	v_lshlrev_b32_e32 v24, 3, v22
	v_add_nc_u32_e32 v23, s11, v34
	s_mov_b32 s11, s37
	s_and_saveexec_b32 s27, s2
	s_cbranch_execz .LBB68_6
; %bb.5:
	s_delay_alu instid0(VALU_DEP_1) | instskip(SKIP_1) | instid1(VALU_DEP_1)
	v_mul_hi_u32 v0, s20, v23
	s_load_b96 s[40:42], s[0:1], 0x70
	v_dual_mov_b32 v1, 0 :: v_dual_add_nc_u32 v0, v23, v0
	s_delay_alu instid0(VALU_DEP_1) | instskip(SKIP_2) | instid1(VALU_DEP_1)
	v_lshrrev_b32_e32 v0, s21, v0
	s_wait_kmcnt 0x0
	s_mul_i32 s44, s33, s41
	v_mul_lo_u32 v0, v0, s22
	s_ashr_i32 s41, s40, 31
	s_ashr_i32 s45, s44, 31
	s_lshr_b64 s[40:41], s[40:41], 2
	s_delay_alu instid0(VALU_DEP_1) | instskip(NEXT) | instid1(VALU_DEP_1)
	v_sub_nc_u32_e32 v0, v23, v0
	v_mul_u64_e32 v[2:3], s[40:41], v[0:1]
	s_mul_i32 s40, s28, s42
	v_lshlrev_b32_e32 v0, 4, v22
	s_ashr_i32 s41, s40, 31
	s_delay_alu instid0(SALU_CYCLE_1) | instskip(NEXT) | instid1(SALU_CYCLE_1)
	s_add_nc_u64 s[4:5], s[4:5], s[40:41]
	s_add_nc_u64 s[4:5], s[4:5], s[44:45]
	s_delay_alu instid0(VALU_DEP_2) | instid1(SALU_CYCLE_1)
	v_lshl_add_u64 v[2:3], v[2:3], 2, s[4:5]
	s_delay_alu instid0(VALU_DEP_1) | instskip(SKIP_4) | instid1(VALU_DEP_1)
	v_add_nc_u64_e32 v[0:1], v[2:3], v[0:1]
	global_load_b128 v[0:3], v[0:1], off
	s_wait_loadcnt 0x0
	v_fma_mixlo_f16 v4, s24, v0, 0
	v_mov_b32_e32 v0, v3
	v_pk_mul_f32 v[0:1], s[24:25], v[0:1] op_sel_hi:[0,1]
	s_delay_alu instid0(VALU_DEP_1) | instskip(SKIP_2) | instid1(VALU_DEP_3)
	v_cvt_pk_f16_f32 v0, v0, v1
	v_fma_mixlo_f16 v1, s24, v2, 0
	v_and_b32_e32 v2, 0xffff, v4
	v_and_b32_e32 v3, 0xffff0000, v0
	s_delay_alu instid0(VALU_DEP_3) | instskip(NEXT) | instid1(VALU_DEP_2)
	v_and_b32_e32 v1, 0xffff, v1
	v_dual_lshlrev_b32 v0, 16, v0 :: v_dual_bitop2_b32 v2, v3, v2 bitop3:0x54
	v_add_nc_u32_e32 v3, v30, v24
	s_delay_alu instid0(VALU_DEP_2) | instskip(NEXT) | instid1(VALU_DEP_3)
	v_or3_b32 v1, v0, v1, 0
	v_or3_b32 v0, 0, 0, v2
	ds_store_b64 v3, v[0:1]
.LBB68_6:
	s_or_b32 exec_lo, exec_lo, s27
	s_ashr_i32 s40, s33, 31
	s_ashr_i32 s41, s29, 31
	s_mul_u64 s[4:5], s[36:37], s[10:11]
	s_cmp_eq_u64 s[14:15], 0
	s_wait_dscnt 0x0
	s_barrier_signal -1
	s_barrier_wait -1
	s_cbranch_scc1 .LBB68_8
; %bb.7:
	s_load_b32 s4, s[0:1], 0xd0
	s_wait_kmcnt 0x0
	s_mul_i32 s4, s4, s28
	s_delay_alu instid0(SALU_CYCLE_1)
	s_add_co_i32 s4, s4, s26
	s_load_b32 s34, s[14:15], s4 offset:0x0 scale_offset
.LBB68_8:
	s_clause 0x1
	s_load_b64 s[10:11], s[0:1], 0x8c
	s_load_b128 s[24:27], s[0:1], 0x98
	s_wait_xcnt 0x0
	s_load_b64 s[14:15], s[0:1], 0xa8
	s_mul_i32 s4, s5, s39
	s_ashr_i32 s35, s3, 1
	s_sub_co_i32 s36, s36, s4
	s_ashr_i32 s29, s28, 31
	s_xor_b32 s3, s40, s41
	s_add_co_i32 s37, s5, 1
	s_sub_co_i32 s40, s36, s39
	v_lshl_add_u32 v29, v34, 5, v22
	v_lshrrev_b32_e32 v36, 3, v22
	v_mul_u32_u24_e32 v33, 0xa0, v22
	v_lshl_add_u32 v26, v34, 6, 0x1600
	v_mbcnt_lo_u32_b32 v25, -1, 0
	s_wait_kmcnt 0x0
	s_ashr_i32 s4, s10, 2
	s_ashr_i32 s10, s26, 2
	s_cmp_ge_u32 s36, s39
	s_mul_u64 s[24:25], s[24:25], s[28:29]
	s_cselect_b32 s5, s37, s5
	s_cselect_b32 s26, s40, s36
	s_mul_u64 s[14:15], s[14:15], s[28:29]
	s_add_co_i32 s29, s5, 1
	s_cmp_ge_u32 s26, s39
	s_add_nc_u64 s[6:7], s[6:7], s[24:25]
	s_cselect_b32 s5, s29, s5
	s_bfe_u32 s24, ttmp6, 0x40010
	s_xor_b32 s5, s5, s3
	s_and_b32 s26, ttmp7, 0xffff
	s_add_co_i32 s24, s24, 1
	s_sub_co_i32 s3, s5, s3
	s_bfe_u32 s25, ttmp6, 0x40004
	s_mul_i32 s5, s26, s24
	s_mul_i32 s24, s3, s11
	;; [unrolled: 1-line block ×3, first 2 shown]
	s_add_co_i32 s3, s25, s5
	s_ashr_i32 s25, s24, 31
	s_ashr_i32 s41, s40, 31
	s_cmp_eq_u32 s38, 0
	s_add_nc_u64 s[24:25], s[6:7], s[24:25]
	s_cselect_b32 s29, s26, s3
	s_sub_co_i32 s36, s34, 32
	s_lshl_b32 s26, s29, 5
	s_add_nc_u64 s[6:7], s[8:9], s[14:15]
	s_cmp_ge_i32 s26, s36
	s_add_nc_u64 s[14:15], s[6:7], s[40:41]
	s_cbranch_scc1 .LBB68_19
; %bb.9:
	v_mul_hi_u32 v0, s20, v23
	v_lshl_add_u32 v28, v34, 2, v36
	v_dual_lshlrev_b32 v3, 2, v22 :: v_dual_mov_b32 v1, 0
	s_lshl_b32 s6, s4, 3
	v_mul_lo_u32 v2, s4, v29
	s_delay_alu instid0(VALU_DEP_3)
	v_mul_lo_u32 v4, s4, v28
	s_ashr_i32 s5, s4, 31
	s_movk_i32 s7, 0x80
	s_cmp_lg_u64 s[30:31], 0
	v_mad_u32_u24 v37, 0xa0, v29, s7
	v_dual_add_nc_u32 v5, v23, v0 :: v_dual_bitop2_b32 v0, 28, v3 bitop3:0x40
	s_cselect_b32 s37, -1, 0
	s_lshl_b32 s7, s10, 3
	v_mul_lo_u32 v6, s10, v29
	s_delay_alu instid0(VALU_DEP_2) | instskip(SKIP_2) | instid1(VALU_DEP_3)
	v_dual_lshrrev_b32 v3, s21, v5 :: v_dual_add_nc_u32 v11, 24, v28
	v_dual_add_nc_u32 v8, s6, v4 :: v_dual_ashrrev_i32 v5, 31, v4
	v_mul_lo_u32 v12, s10, v28
	v_mul_lo_u32 v7, v3, s22
	s_delay_alu instid0(VALU_DEP_4) | instskip(NEXT) | instid1(VALU_DEP_4)
	v_mul_lo_u32 v10, s10, v11
	v_add_nc_u32_e32 v14, s6, v8
	v_dual_lshlrev_b32 v31, 2, v0 :: v_dual_ashrrev_i32 v3, 31, v2
	v_cmp_gt_u32_e64 s3, 32, v29
	v_lshlrev_b32_e32 v0, 2, v0
	v_mbcnt_lo_u32_b32 v48, -1, 0
	s_delay_alu instid0(VALU_DEP_4)
	v_mad_u32_u24 v38, 0xa0, v28, v31
	v_mad_u32_u24 v43, 0x90, v11, v31
	;; [unrolled: 1-line block ×3, first 2 shown]
	v_sub_nc_u32_e32 v7, v23, v7
	v_subrev_nc_u32_e32 v18, s7, v10
	v_dual_add_nc_u32 v16, s6, v14 :: v_dual_ashrrev_i32 v9, 31, v8
	s_movk_i32 s6, 0x90
	s_delay_alu instid0(VALU_DEP_3) | instskip(NEXT) | instid1(VALU_DEP_3)
	v_mad_u32 v42, v7, s35, v22
	v_subrev_nc_u32_e32 v20, s7, v18
	v_dual_mov_b32 v32, v1 :: v_dual_add_nc_u32 v39, 0x500, v38
	v_dual_mov_b32 v31, v1 :: v_dual_add_nc_u32 v40, 0xa00, v38
	v_add_nc_u32_e32 v41, 0xf00, v38
	v_dual_ashrrev_i32 v15, 31, v14 :: v_dual_ashrrev_i32 v17, 31, v16
	v_dual_ashrrev_i32 v7, 31, v6 :: v_dual_ashrrev_i32 v21, 31, v20
	v_mad_u32_u24 v44, v29, s6, 0x80
	v_dual_ashrrev_i32 v11, 31, v10 :: v_dual_ashrrev_i32 v13, 31, v12
	v_dual_mov_b32 v50, 0xfeffffff :: v_dual_ashrrev_i32 v19, 31, v18
	v_add_nc_u32_e32 v45, 0xfffffb80, v43
	v_dual_mov_b32 v49, v1 :: v_dual_add_nc_u32 v46, 0xfffff700, v43
	s_ashr_i32 s11, s10, 31
	s_add_nc_u64 s[6:7], s[0:1], 0xd0
.LBB68_10:                              ; =>This Inner Loop Header: Depth=1
	s_ashr_i32 s27, s26, 31
	s_delay_alu instid0(SALU_CYCLE_1) | instskip(NEXT) | instid1(SALU_CYCLE_1)
	s_mul_u64 s[8:9], s[26:27], s[4:5]
	s_lshl_b64 s[8:9], s[8:9], 2
	s_delay_alu instid0(SALU_CYCLE_1)
	s_add_nc_u64 s[8:9], s[24:25], s[8:9]
	s_and_saveexec_b32 s38, s3
	s_cbranch_execz .LBB68_12
; %bb.11:                               ;   in Loop: Header=BB68_10 Depth=1
	v_lshl_add_u64 v[52:53], v[2:3], 2, s[8:9]
	global_load_b128 v[52:55], v[52:53], off offset:128
	s_wait_loadcnt 0x0
	ds_store_b128 v37, v[52:55]
.LBB68_12:                              ;   in Loop: Header=BB68_10 Depth=1
	s_or_b32 exec_lo, exec_lo, s38
	v_lshl_add_u64 v[52:53], v[4:5], 2, s[8:9]
	v_lshl_add_u64 v[54:55], v[8:9], 2, s[8:9]
	;; [unrolled: 1-line block ×4, first 2 shown]
	v_mov_b32_e32 v35, 0
	v_add_nc_u64_e32 v[68:69], v[52:53], v[0:1]
	v_add_nc_u64_e32 v[70:71], v[54:55], v[0:1]
	;; [unrolled: 1-line block ×4, first 2 shown]
	s_and_not1_b32 vcc_lo, exec_lo, s37
	s_clause 0x3
	global_load_b128 v[52:55], v[68:69], off
	global_load_b128 v[56:59], v[70:71], off
	;; [unrolled: 1-line block ×4, first 2 shown]
	s_wait_loadcnt 0x3
	ds_store_b128 v38, v[52:55]
	s_wait_loadcnt 0x2
	ds_store_b128 v39, v[56:59]
	;; [unrolled: 2-line block ×4, first 2 shown]
	s_wait_dscnt 0x0
	s_barrier_signal -1
	s_barrier_wait -1
	ds_load_b128 v[52:55], v33
	ds_load_b128 v[56:59], v30
	s_wait_dscnt 0x0
	;;#ASMSTART
	v_dot2_f32_f16 v35, v52, v56, v35
	;;#ASMEND
	;;#ASMSTART
	v_dot2_f32_f16 v35, v53, v57, v35
	;;#ASMEND
	;;#ASMSTART
	v_dot2_f32_f16 v35, v54, v58, v35
	;;#ASMEND
	;;#ASMSTART
	v_dot2_f32_f16 v35, v55, v59, v35
	;;#ASMEND
	ds_load_b128 v[52:55], v33 offset:16
	ds_load_b128 v[56:59], v30 offset:16
	s_wait_dscnt 0x0
	;;#ASMSTART
	v_dot2_f32_f16 v35, v52, v56, v35
	;;#ASMEND
	;;#ASMSTART
	v_dot2_f32_f16 v35, v53, v57, v35
	;;#ASMEND
	;;#ASMSTART
	v_dot2_f32_f16 v35, v54, v58, v35
	;;#ASMEND
	;;#ASMSTART
	v_dot2_f32_f16 v35, v55, v59, v35
	;;#ASMEND
	ds_load_b128 v[52:55], v33 offset:32
	ds_load_b128 v[56:59], v30 offset:32
	;; [unrolled: 15-line block ×8, first 2 shown]
	s_wait_dscnt 0x0
	;;#ASMSTART
	v_dot2_f32_f16 v35, v52, v56, v35
	;;#ASMEND
	;;#ASMSTART
	v_dot2_f32_f16 v35, v53, v57, v35
	;;#ASMEND
	;; [unrolled: 3-line block ×4, first 2 shown]
	s_cbranch_vccnz .LBB68_14
; %bb.13:                               ;   in Loop: Header=BB68_10 Depth=1
	v_add_nc_u32_e32 v28, s26, v42
	global_load_u16 v28, v28, s[30:31] scale_offset
	s_wait_loadcnt 0x0
	v_cvt_f32_f16_e32 v28, v28
	s_delay_alu instid0(VALU_DEP_1)
	v_mul_f32_e32 v28, v27, v28
	s_branch .LBB68_15
.LBB68_14:                              ;   in Loop: Header=BB68_10 Depth=1
	v_mov_b32_e32 v28, 0
.LBB68_15:                              ;   in Loop: Header=BB68_10 Depth=1
	v_xor_b32_e32 v51, 16, v48
	s_delay_alu instid0(VALU_DEP_2) | instskip(SKIP_1) | instid1(VALU_DEP_2)
	v_dual_add_f32 v28, v35, v28 :: v_dual_max_num_f32 v35, v50, v50
	s_mul_u64 s[8:9], s[26:27], s[10:11]
	v_cmp_gt_i32_e32 vcc_lo, 32, v51
	s_lshl_b64 s[8:9], s[8:9], 2
	s_barrier_signal -1
	s_add_nc_u64 s[8:9], s[14:15], s[8:9]
	s_barrier_wait -1
	v_dual_cndmask_b32 v51, v48, v51 :: v_dual_add_f32 v52, 0x40051340, v28
	s_delay_alu instid0(VALU_DEP_1) | instskip(SKIP_1) | instid1(VALU_DEP_1)
	v_dual_lshlrev_b32 v51, 2, v51 :: v_dual_max_num_f32 v35, v35, v52
	v_xor_b32_e32 v52, 8, v48
	v_cmp_gt_i32_e32 vcc_lo, 32, v52
	v_cndmask_b32_e32 v52, v48, v52, vcc_lo
	ds_bpermute_b32 v51, v51, v35
	s_wait_dscnt 0x0
	v_dual_max_num_f32 v51, v51, v51 :: v_dual_lshlrev_b32 v52, 2, v52
	s_delay_alu instid0(VALU_DEP_1) | instskip(SKIP_3) | instid1(VALU_DEP_1)
	v_max_num_f32_e32 v35, v35, v51
	ds_bpermute_b32 v51, v52, v35
	s_wait_dscnt 0x0
	v_dual_max_num_f32 v51, v51, v51 :: v_dual_bitop2_b32 v52, 4, v48 bitop3:0x14
	v_cmp_gt_i32_e32 vcc_lo, 32, v52
	s_delay_alu instid0(VALU_DEP_2) | instskip(NEXT) | instid1(VALU_DEP_1)
	v_dual_max_num_f32 v35, v35, v51 :: v_dual_cndmask_b32 v52, v48, v52
	v_lshlrev_b32_e32 v52, 2, v52
	ds_bpermute_b32 v51, v52, v35
	s_wait_dscnt 0x0
	v_dual_max_num_f32 v51, v51, v51 :: v_dual_bitop2_b32 v52, 2, v48 bitop3:0x14
	s_delay_alu instid0(VALU_DEP_1) | instskip(NEXT) | instid1(VALU_DEP_2)
	v_max_num_f32_e32 v35, v35, v51
	v_cmp_gt_i32_e32 vcc_lo, 32, v52
	v_cndmask_b32_e32 v52, v48, v52, vcc_lo
	s_delay_alu instid0(VALU_DEP_1) | instskip(SKIP_2) | instid1(VALU_DEP_1)
	v_lshlrev_b32_e32 v52, 2, v52
	ds_bpermute_b32 v51, v52, v35
	v_xor_b32_e32 v52, 1, v48
	v_cmp_gt_i32_e32 vcc_lo, 32, v52
	s_wait_dscnt 0x0
	v_max_num_f32_e32 v51, v51, v51
	s_delay_alu instid0(VALU_DEP_1) | instskip(NEXT) | instid1(VALU_DEP_1)
	v_dual_max_num_f32 v35, v35, v51 :: v_dual_cndmask_b32 v52, v48, v52
	v_lshlrev_b32_e32 v52, 2, v52
	ds_bpermute_b32 v51, v52, v35
	s_wait_dscnt 0x0
	v_max_num_f32_e32 v51, v51, v51
	s_delay_alu instid0(VALU_DEP_1) | instskip(NEXT) | instid1(VALU_DEP_1)
	v_max_num_f32_e32 v35, v35, v51
	v_sub_f32_e32 v28, v28, v35
	s_delay_alu instid0(VALU_DEP_1) | instskip(SKIP_1) | instid1(VALU_DEP_2)
	v_mul_f32_e32 v51, 0x3fb8aa3b, v28
	v_cmp_ngt_f32_e32 vcc_lo, 0xc2ce8ed0, v28
	v_fma_f32 v52, 0x3fb8aa3b, v28, -v51
	v_rndne_f32_e32 v53, v51
	s_delay_alu instid0(VALU_DEP_1) | instskip(NEXT) | instid1(VALU_DEP_1)
	v_dual_fmac_f32 v52, 0x32a5705f, v28 :: v_dual_sub_f32 v51, v51, v53
	v_add_f32_e32 v51, v51, v52
	v_cvt_i32_f32_e32 v52, v53
	s_delay_alu instid0(VALU_DEP_2) | instskip(SKIP_1) | instid1(TRANS32_DEP_1)
	v_exp_f32_e32 v51, v51
	v_nop
	v_ldexp_f32 v51, v51, v52
	v_lshl_add_u32 v52, v22, 1, v26
	s_delay_alu instid0(VALU_DEP_2) | instskip(SKIP_1) | instid1(VALU_DEP_2)
	v_cndmask_b32_e32 v51, 0, v51, vcc_lo
	v_cmp_nlt_f32_e32 vcc_lo, 0x42b17218, v28
	v_cndmask_b32_e32 v28, 0x7f800000, v51, vcc_lo
	s_delay_alu instid0(VALU_DEP_1)
	v_cvt_f16_f32_e32 v51, v28
	ds_store_b16 v52, v51
	s_and_saveexec_b32 s27, s3
	s_cbranch_execz .LBB68_17
; %bb.16:                               ;   in Loop: Header=BB68_10 Depth=1
	v_lshl_add_u64 v[52:53], v[6:7], 2, s[8:9]
	global_load_b128 v[52:55], v[52:53], off offset:128
	s_wait_loadcnt 0x0
	ds_store_b128 v44, v[52:55]
.LBB68_17:                              ;   in Loop: Header=BB68_10 Depth=1
	s_or_b32 exec_lo, exec_lo, s27
	v_lshl_add_u64 v[52:53], v[12:13], 2, s[8:9]
	v_lshl_add_u64 v[54:55], v[20:21], 2, s[8:9]
	;; [unrolled: 1-line block ×4, first 2 shown]
	s_delay_alu instid0(VALU_DEP_4) | instskip(NEXT) | instid1(VALU_DEP_4)
	v_add_nc_u64_e32 v[68:69], v[52:53], v[0:1]
	v_add_nc_u64_e32 v[70:71], v[54:55], v[0:1]
	s_delay_alu instid0(VALU_DEP_4) | instskip(NEXT) | instid1(VALU_DEP_4)
	v_add_nc_u64_e32 v[72:73], v[56:57], v[0:1]
	v_add_nc_u64_e32 v[74:75], v[58:59], v[0:1]
	s_clause 0x3
	global_load_b128 v[52:55], v[68:69], off
	global_load_b128 v[56:59], v[70:71], off
	;; [unrolled: 1-line block ×4, first 2 shown]
	s_wait_xcnt 0x3
	v_sub_f32_e32 v68, v50, v35
	s_wait_xcnt 0x0
	v_add_nc_u32_e32 v74, 0x800, v24
	s_wait_loadcnt 0x3
	ds_store_b128 v47, v[52:55]
	s_wait_loadcnt 0x2
	ds_store_b128 v46, v[56:59]
	;; [unrolled: 2-line block ×4, first 2 shown]
	v_mul_f32_e32 v50, 0x3fb8aa3b, v68
	s_wait_dscnt 0x0
	s_barrier_signal -1
	s_barrier_wait -1
	s_delay_alu instid0(VALU_DEP_1) | instskip(SKIP_1) | instid1(VALU_DEP_1)
	v_fma_f32 v51, 0x3fb8aa3b, v68, -v50
	v_rndne_f32_e32 v69, v50
	v_sub_f32_e32 v50, v50, v69
	v_cmp_ngt_f32_e32 vcc_lo, 0xc2ce8ed0, v68
	s_delay_alu instid0(VALU_DEP_4) | instskip(SKIP_1) | instid1(VALU_DEP_2)
	v_fmac_f32_e32 v51, 0x32a5705f, v68
	v_cvt_i32_f32_e32 v69, v69
	v_add_f32_e32 v50, v50, v51
	s_delay_alu instid0(VALU_DEP_1) | instskip(SKIP_3) | instid1(VALU_DEP_1)
	v_exp_f32_e32 v70, v50
	ds_load_b128 v[50:53], v26
	v_nop
	v_ldexp_f32 v54, v70, v69
	v_cndmask_b32_e32 v58, 0, v54, vcc_lo
	ds_load_2addr_b64 v[54:57], v24 offset1:18
	v_cmp_nlt_f32_e32 vcc_lo, 0x42b17218, v68
	v_cndmask_b32_e32 v78, 0x7f800000, v58, vcc_lo
	ds_load_b128 v[58:61], v26 offset:16
	s_wait_dscnt 0x2
	v_and_b32_e32 v66, 0xffff, v50
	v_lshrrev_b32_e32 v50, 16, v50
	v_and_b32_e32 v71, 0xffff, v51
	v_cvt_f16_f32_e32 v62, v78
	v_lshrrev_b32_e32 v51, 16, v51
	v_mul_u32_u24_e32 v66, 0x10001, v66
	v_mul_u32_u24_e32 v50, 0x10001, v50
	s_delay_alu instid0(VALU_DEP_4)
	v_and_b32_e32 v67, 0xffff, v62
	ds_load_2addr_b64 v[62:65], v24 offset0:36 offset1:54
	v_mul_u32_u24_e32 v51, 0x10001, v51
	s_wait_dscnt 0x2
	v_pk_mul_f16 v54, v54, v66
	v_mul_u32_u24_e32 v70, 0x10001, v67
	v_pk_mul_f16 v55, v55, v66
	ds_load_2addr_b64 v[66:69], v24 offset0:72 offset1:90
	v_pk_fma_f16 v32, v32, v70, v54
	v_pk_fma_f16 v31, v31, v70, v55
	v_mul_u32_u24_e32 v70, 0x10001, v71
	s_wait_dscnt 0x2
	v_and_b32_e32 v71, 0xffff, v59
	v_lshrrev_b32_e32 v59, 16, v59
	v_pk_fma_f16 v32, v56, v50, v32
	v_pk_fma_f16 v31, v57, v50, v31
	ds_load_2addr_b64 v[54:57], v24 offset0:108 offset1:126
	v_and_b32_e32 v50, 0xffff, v52
	v_lshrrev_b32_e32 v52, 16, v52
	v_mul_u32_u24_e32 v71, 0x10001, v71
	s_wait_dscnt 0x2
	v_pk_fma_f16 v32, v62, v70, v32
	v_pk_fma_f16 v31, v63, v70, v31
	v_mul_u32_u24_e32 v50, 0x10001, v50
	v_mul_u32_u24_e32 v52, 0x10001, v52
	v_add_nc_u32_e32 v70, 0x400, v24
	v_pk_fma_f16 v32, v64, v51, v32
	v_pk_fma_f16 v31, v65, v51, v31
	ds_load_2addr_b64 v[62:65], v24 offset0:144 offset1:162
	v_and_b32_e32 v51, 0xffff, v53
	v_mul_u32_u24_e32 v59, 0x10001, v59
	s_wait_dscnt 0x2
	v_pk_fma_f16 v32, v66, v50, v32
	v_pk_fma_f16 v31, v67, v50, v31
	v_lshrrev_b32_e32 v66, 16, v53
	v_mul_u32_u24_e32 v67, 0x10001, v51
	v_dual_fmac_f32 v28, v49, v78 :: v_dual_add_nc_u32 v75, 0xc00, v24
	v_pk_fma_f16 v32, v68, v52, v32
	v_pk_fma_f16 v31, v69, v52, v31
	ds_load_2addr_b64 v[50:53], v24 offset0:180 offset1:198
	v_and_b32_e32 v68, 0xffff, v58
	v_mul_u32_u24_e32 v66, 0x10001, v66
	s_wait_dscnt 0x2
	v_pk_fma_f16 v32, v54, v67, v32
	v_pk_fma_f16 v31, v55, v67, v31
	v_lshrrev_b32_e32 v58, 16, v58
	v_mul_u32_u24_e32 v67, 0x10001, v68
	s_delay_alu instid0(VALU_DEP_4) | instskip(NEXT) | instid1(VALU_DEP_4)
	v_pk_fma_f16 v32, v56, v66, v32
	v_pk_fma_f16 v31, v57, v66, v31
	ds_load_2addr_b64 v[54:57], v24 offset0:216 offset1:234
	v_mul_u32_u24_e32 v58, 0x10001, v58
	s_wait_dscnt 0x2
	v_pk_fma_f16 v32, v62, v67, v32
	v_pk_fma_f16 v31, v63, v67, v31
	ds_load_b128 v[66:69], v26 offset:32
	v_pk_fma_f16 v32, v64, v58, v32
	v_pk_fma_f16 v31, v65, v58, v31
	ds_load_2addr_b64 v[62:65], v70 offset0:124 offset1:142
	v_and_b32_e32 v58, 0xffff, v60
	v_lshrrev_b32_e32 v60, 16, v60
	s_wait_dscnt 0x3
	v_pk_fma_f16 v32, v50, v71, v32
	v_pk_fma_f16 v31, v51, v71, v31
	ds_load_b128 v[70:73], v26 offset:48
	v_mul_u32_u24_e32 v58, 0x10001, v58
	v_mul_u32_u24_e32 v60, 0x10001, v60
	v_pk_fma_f16 v32, v52, v59, v32
	v_pk_fma_f16 v31, v53, v59, v31
	ds_load_2addr_b64 v[50:53], v74 offset0:32 offset1:50
	v_and_b32_e32 v59, 0xffff, v61
	s_wait_dscnt 0x4
	v_pk_fma_f16 v32, v54, v58, v32
	v_pk_fma_f16 v31, v55, v58, v31
	v_lshrrev_b32_e32 v58, 16, v61
	v_mul_u32_u24_e32 v59, 0x10001, v59
	s_wait_dscnt 0x3
	v_and_b32_e32 v79, 0xffff, v69
	v_pk_fma_f16 v32, v56, v60, v32
	v_pk_fma_f16 v31, v57, v60, v31
	ds_load_2addr_b64 v[54:57], v74 offset0:68 offset1:86
	v_and_b32_e32 v60, 0xffff, v66
	s_wait_dscnt 0x3
	v_pk_fma_f16 v32, v62, v59, v32
	v_pk_fma_f16 v31, v63, v59, v31
	v_lshrrev_b32_e32 v62, 16, v66
	v_mul_u32_u24_e32 v58, 0x10001, v58
	v_mul_u32_u24_e32 v63, 0x10001, v60
	v_add_nc_u32_e32 v66, 0x1000, v24
	s_delay_alu instid0(VALU_DEP_4) | instskip(NEXT) | instid1(VALU_DEP_4)
	v_mul_u32_u24_e32 v62, 0x10001, v62
	v_pk_fma_f16 v32, v64, v58, v32
	v_pk_fma_f16 v31, v65, v58, v31
	ds_load_2addr_b64 v[58:61], v74 offset0:104 offset1:122
	v_and_b32_e32 v64, 0xffff, v67
	s_wait_dscnt 0x2
	v_pk_fma_f16 v32, v50, v63, v32
	v_pk_fma_f16 v31, v51, v63, v31
	v_lshrrev_b32_e32 v63, 16, v67
	v_mul_u32_u24_e32 v64, 0x10001, v64
	v_and_b32_e32 v67, 0xffff, v68
	v_pk_fma_f16 v32, v52, v62, v32
	v_pk_fma_f16 v31, v53, v62, v31
	ds_load_2addr_b64 v[50:53], v74 offset0:140 offset1:158
	v_lshrrev_b32_e32 v68, 16, v68
	v_mul_u32_u24_e32 v76, 0x10001, v63
	s_wait_dscnt 0x2
	v_pk_fma_f16 v32, v54, v64, v32
	v_pk_fma_f16 v31, v55, v64, v31
	v_mul_u32_u24_e32 v67, 0x10001, v67
	ds_load_2addr_b64 v[62:65], v74 offset0:176 offset1:194
	v_mul_u32_u24_e32 v68, 0x10001, v68
	v_pk_fma_f16 v32, v56, v76, v32
	v_pk_fma_f16 v31, v57, v76, v31
	ds_load_2addr_b64 v[54:57], v74 offset0:212 offset1:230
	ds_load_2addr_b64 v[74:77], v75 offset0:120 offset1:138
	s_wait_dscnt 0x4
	v_pk_fma_f16 v32, v58, v67, v32
	v_pk_fma_f16 v31, v59, v67, v31
	v_lshrrev_b32_e32 v67, 16, v69
	v_mul_u32_u24_e32 v69, 0x10001, v79
	s_delay_alu instid0(VALU_DEP_4) | instskip(NEXT) | instid1(VALU_DEP_4)
	v_pk_fma_f16 v32, v60, v68, v32
	v_pk_fma_f16 v31, v61, v68, v31
	ds_load_2addr_b64 v[58:61], v66 offset0:28 offset1:46
	v_and_b32_e32 v66, 0xffff, v70
	s_wait_dscnt 0x0
	v_pk_fma_f16 v32, v50, v69, v32
	v_pk_fma_f16 v31, v51, v69, v31
	v_lshrrev_b32_e32 v50, 16, v70
	v_mul_u32_u24_e32 v67, 0x10001, v67
	v_mul_u32_u24_e32 v51, 0x10001, v66
	s_barrier_signal -1
	s_barrier_wait -1
	v_mul_u32_u24_e32 v50, 0x10001, v50
	v_pk_fma_f16 v32, v52, v67, v32
	v_pk_fma_f16 v31, v53, v67, v31
	v_and_b32_e32 v52, 0xffff, v71
	s_load_b32 s8, s[6:7], 0x4
	s_delay_alu instid0(VALU_DEP_3) | instskip(NEXT) | instid1(VALU_DEP_3)
	v_pk_fma_f16 v32, v62, v51, v32
	v_pk_fma_f16 v31, v63, v51, v31
	v_lshrrev_b32_e32 v51, 16, v71
	v_mul_u32_u24_e32 v52, 0x10001, v52
	s_delay_alu instid0(VALU_DEP_4) | instskip(NEXT) | instid1(VALU_DEP_4)
	v_pk_fma_f16 v32, v64, v50, v32
	v_pk_fma_f16 v31, v65, v50, v31
	v_and_b32_e32 v50, 0xffff, v72
	s_delay_alu instid0(VALU_DEP_3) | instskip(NEXT) | instid1(VALU_DEP_3)
	v_pk_fma_f16 v32, v54, v52, v32
	v_pk_fma_f16 v31, v55, v52, v31
	v_lshrrev_b32_e32 v52, 16, v72
	v_mul_u32_u24_e32 v51, 0x10001, v51
	v_mul_u32_u24_e32 v50, 0x10001, v50
	s_delay_alu instid0(VALU_DEP_3) | instskip(NEXT) | instid1(VALU_DEP_3)
	v_mul_u32_u24_e32 v52, 0x10001, v52
	v_pk_fma_f16 v32, v56, v51, v32
	v_pk_fma_f16 v31, v57, v51, v31
	v_and_b32_e32 v51, 0xffff, v73
	s_wait_kmcnt 0x0
	s_lshl_b32 s8, s8, 5
	v_pk_fma_f16 v32, v74, v50, v32
	v_pk_fma_f16 v31, v75, v50, v31
	v_lshrrev_b32_e32 v50, 16, v73
	v_mul_u32_u24_e32 v51, 0x10001, v51
	s_add_co_i32 s26, s8, s26
	v_pk_fma_f16 v32, v76, v52, v32
	v_pk_fma_f16 v31, v77, v52, v31
	v_mul_u32_u24_e32 v50, 0x10001, v50
	s_cmp_lt_i32 s26, s36
	s_delay_alu instid0(VALU_DEP_3) | instskip(NEXT) | instid1(VALU_DEP_3)
	v_pk_fma_f16 v32, v58, v51, v32
	v_pk_fma_f16 v31, v59, v51, v31
	s_delay_alu instid0(VALU_DEP_2) | instskip(NEXT) | instid1(VALU_DEP_2)
	v_pk_fma_f16 v32, v60, v50, v32
	v_pk_fma_f16 v31, v61, v50, v31
	s_cbranch_scc0 .LBB68_20
; %bb.18:                               ;   in Loop: Header=BB68_10 Depth=1
	v_dual_mov_b32 v50, v35 :: v_dual_mov_b32 v49, v28
	s_branch .LBB68_10
.LBB68_19:
	v_dual_mov_b32 v31, 0 :: v_dual_mov_b32 v28, 0
	v_dual_mov_b32 v35, 0xfeffffff :: v_dual_mov_b32 v32, 0
.LBB68_20:
	s_cmp_gt_i32 s34, s26
	s_cbranch_scc1 .LBB68_23
; %bb.21:
	v_mbcnt_lo_u32_b32 v2, -1, 0
	v_mov_b32_e32 v8, 32
	s_delay_alu instid0(VALU_DEP_2)
	v_xor_b32_e32 v1, 16, v2
	v_xor_b32_e32 v4, 8, v2
	;; [unrolled: 1-line block ×5, first 2 shown]
	s_cbranch_execz .LBB68_24
; %bb.22:
	v_dual_mov_b32 v0, v35 :: v_dual_mov_b32 v25, v2
	s_branch .LBB68_33
.LBB68_23:
                                        ; implicit-def: $vgpr2
                                        ; implicit-def: $vgpr8
                                        ; implicit-def: $vgpr1
                                        ; implicit-def: $vgpr4
                                        ; implicit-def: $vgpr5
                                        ; implicit-def: $vgpr6
                                        ; implicit-def: $vgpr7
.LBB68_24:
	s_ashr_i32 s27, s26, 31
	s_ashr_i32 s5, s4, 31
	v_cmp_gt_u32_e64 s7, 32, v29
	s_mul_u64 s[8:9], s[26:27], s[4:5]
	s_sub_co_i32 s11, s34, s26
	s_lshl_b64 s[8:9], s[8:9], 2
	v_cmp_gt_i32_e32 vcc_lo, s11, v29
	s_add_nc_u64 s[8:9], s[24:25], s[8:9]
	s_and_saveexec_b32 s3, s7
	s_cbranch_execz .LBB68_26
; %bb.25:
	v_mul_lo_u32 v0, s4, v29
	v_mbcnt_lo_u32_b32 v3, -1, 0
	s_delay_alu instid0(VALU_DEP_1) | instskip(NEXT) | instid1(VALU_DEP_3)
	v_dual_mov_b32 v2, 0 :: v_dual_lshlrev_b32 v3, 20, v3
	v_ashrrev_i32_e32 v1, 31, v0
	s_delay_alu instid0(VALU_DEP_1) | instskip(NEXT) | instid1(VALU_DEP_1)
	v_lshl_add_u64 v[0:1], v[0:1], 2, s[8:9]
	v_add_nc_u64_e32 v[6:7], 0x80, v[0:1]
	v_mov_b32_e32 v0, 0
	v_add_nc_u64_e32 v[4:5], src_flat_scratch_base_lo, v[2:3]
	s_delay_alu instid0(VALU_DEP_2)
	v_dual_mov_b32 v1, v0 :: v_dual_mov_b32 v2, v0
	s_clause 0x1
	scratch_store_b32 off, v0, off
	scratch_store_b96 off, v[0:2], off offset:4
	v_dual_cndmask_b32 v5, v5, v7 :: v_dual_cndmask_b32 v4, v4, v6
	flat_load_b128 v[0:3], v[4:5]
	s_wait_xcnt 0x0
	v_mul_u32_u24_e32 v4, 0xa0, v29
	s_wait_loadcnt_dscnt 0x0
	ds_store_b128 v4, v[0:3] offset:128
.LBB68_26:
	s_or_b32 exec_lo, exec_lo, s3
	v_lshl_add_u32 v9, v34, 2, v36
	v_dual_lshlrev_b32 v1, 2, v22 :: v_dual_lshlrev_b32 v5, 20, v25
	s_mov_b32 s36, 0
	v_dual_mov_b32 v4, 0 :: v_dual_mov_b32 v3, 0
	s_delay_alu instid0(VALU_DEP_3) | instskip(NEXT) | instid1(VALU_DEP_3)
	v_mul_lo_u32 v0, s4, v9
	v_and_b32_e32 v2, 28, v1
	s_mov_b32 s37, s36
	s_mov_b32 s38, s36
	v_add_nc_u64_e32 v[16:17], src_flat_scratch_base_lo, v[4:5]
	v_cmp_gt_i32_e64 s3, s11, v9
	s_lshl_b32 s6, s4, 3
	v_dual_mov_b32 v12, s36 :: v_dual_mov_b32 v13, s37
	v_mov_b32_e32 v14, s38
	s_clause 0x1
	scratch_store_b32 off, v3, off
	scratch_store_b96 off, v[12:14], off offset:4
	v_dual_ashrrev_i32 v1, 31, v0 :: v_dual_lshlrev_b32 v2, 2, v2
	s_delay_alu instid0(VALU_DEP_1) | instskip(SKIP_1) | instid1(VALU_DEP_3)
	v_lshl_add_u64 v[6:7], v[0:1], 2, s[8:9]
	v_add_nc_u32_e32 v0, s6, v0
	v_mad_u32_u24 v8, 0xa0, v9, v2
	s_delay_alu instid0(VALU_DEP_3) | instskip(NEXT) | instid1(VALU_DEP_3)
	v_add_nc_u64_e32 v[4:5], v[6:7], v[2:3]
	v_ashrrev_i32_e32 v1, 31, v0
	s_delay_alu instid0(VALU_DEP_1) | instskip(NEXT) | instid1(VALU_DEP_3)
	v_lshl_add_u64 v[10:11], v[0:1], 2, s[8:9]
	v_dual_cndmask_b32 v5, v17, v5, s3 :: v_dual_cndmask_b32 v4, v16, v4, s3
	v_dual_add_nc_u32 v1, 8, v9 :: v_dual_add_nc_u32 v0, s6, v0
	s_delay_alu instid0(VALU_DEP_3)
	v_add_nc_u64_e32 v[10:11], v[10:11], v[2:3]
	flat_load_b128 v[4:7], v[4:5]
	v_cmp_gt_i32_e64 s4, s11, v1
	s_clause 0x1
	scratch_store_b32 off, v3, off
	scratch_store_b96 off, v[12:14], off offset:4
	v_dual_ashrrev_i32 v1, 31, v0 :: v_dual_cndmask_b32 v11, v17, v11, s4
	v_cndmask_b32_e64 v10, v16, v10, s4
	s_wait_loadcnt_dscnt 0x0
	ds_store_b128 v8, v[4:7]
	flat_load_b128 v[4:7], v[10:11]
	s_wait_xcnt 0x0
	v_lshl_add_u64 v[10:11], v[0:1], 2, s[8:9]
	s_clause 0x1
	scratch_store_b32 off, v3, off
	scratch_store_b96 off, v[12:14], off offset:4
	v_add_nc_u32_e32 v0, s6, v0
	v_add_nc_u64_e32 v[10:11], v[10:11], v[2:3]
	v_add_nc_u32_e32 v1, 16, v9
	s_delay_alu instid0(VALU_DEP_1) | instskip(NEXT) | instid1(VALU_DEP_1)
	v_cmp_gt_i32_e64 s5, s11, v1
	v_dual_cndmask_b32 v11, v17, v11, s5 :: v_dual_cndmask_b32 v10, v16, v10, s5
	s_wait_loadcnt_dscnt 0x0
	ds_store_b128 v8, v[4:7] offset:1280
	flat_load_b128 v[4:7], v[10:11]
	s_wait_xcnt 0x0
	v_add_nc_u32_e32 v11, 24, v9
	s_clause 0x1
	scratch_store_b32 off, v3, off
	scratch_store_b96 off, v[12:14], off offset:4
	v_cmp_gt_i32_e64 s6, s11, v11
	v_ashrrev_i32_e32 v1, 31, v0
	s_delay_alu instid0(VALU_DEP_1) | instskip(SKIP_1) | instid1(VALU_DEP_1)
	v_lshl_add_u64 v[0:1], v[0:1], 2, s[8:9]
	s_mov_b32 s9, exec_lo
	v_add_nc_u64_e32 v[0:1], v[0:1], v[2:3]
	s_delay_alu instid0(VALU_DEP_1)
	v_dual_cndmask_b32 v1, v17, v1, s6 :: v_dual_cndmask_b32 v0, v16, v0, s6
	s_wait_loadcnt_dscnt 0x0
	ds_store_b128 v8, v[4:7] offset:2560
	flat_load_b128 v[4:7], v[0:1]
	s_wait_xcnt 0x0
	v_mov_b32_e32 v0, v35
	s_wait_loadcnt_dscnt 0x0
	ds_store_b128 v8, v[4:7] offset:3840
	s_wait_storecnt_dscnt 0x0
	s_barrier_signal -1
	s_barrier_wait -1
	ds_load_b128 v[4:7], v33
	ds_load_b128 v[12:15], v30
	v_mov_b32_e32 v8, v3
	s_wait_dscnt 0x0
	;;#ASMSTART
	v_dot2_f32_f16 v8, v4, v12, v8
	;;#ASMEND
	;;#ASMSTART
	v_dot2_f32_f16 v8, v5, v13, v8
	;;#ASMEND
	;;#ASMSTART
	v_dot2_f32_f16 v8, v6, v14, v8
	;;#ASMEND
	;;#ASMSTART
	v_dot2_f32_f16 v8, v7, v15, v8
	;;#ASMEND
	ds_load_b128 v[4:7], v33 offset:16
	ds_load_b128 v[12:15], v30 offset:16
	s_wait_dscnt 0x0
	;;#ASMSTART
	v_dot2_f32_f16 v8, v4, v12, v8
	;;#ASMEND
	;;#ASMSTART
	v_dot2_f32_f16 v8, v5, v13, v8
	;;#ASMEND
	;;#ASMSTART
	v_dot2_f32_f16 v8, v6, v14, v8
	;;#ASMEND
	;;#ASMSTART
	v_dot2_f32_f16 v8, v7, v15, v8
	;;#ASMEND
	ds_load_b128 v[4:7], v33 offset:32
	ds_load_b128 v[12:15], v30 offset:32
	s_wait_dscnt 0x0
	;;#ASMSTART
	v_dot2_f32_f16 v8, v4, v12, v8
	;;#ASMEND
	;;#ASMSTART
	v_dot2_f32_f16 v8, v5, v13, v8
	;;#ASMEND
	;;#ASMSTART
	v_dot2_f32_f16 v8, v6, v14, v8
	;;#ASMEND
	;;#ASMSTART
	v_dot2_f32_f16 v8, v7, v15, v8
	;;#ASMEND
	ds_load_b128 v[4:7], v33 offset:48
	ds_load_b128 v[12:15], v30 offset:48
	s_wait_dscnt 0x0
	;;#ASMSTART
	v_dot2_f32_f16 v8, v4, v12, v8
	;;#ASMEND
	;;#ASMSTART
	v_dot2_f32_f16 v8, v5, v13, v8
	;;#ASMEND
	;;#ASMSTART
	v_dot2_f32_f16 v8, v6, v14, v8
	;;#ASMEND
	;;#ASMSTART
	v_dot2_f32_f16 v8, v7, v15, v8
	;;#ASMEND
	ds_load_b128 v[4:7], v33 offset:64
	ds_load_b128 v[12:15], v30 offset:64
	s_wait_dscnt 0x0
	;;#ASMSTART
	v_dot2_f32_f16 v8, v4, v12, v8
	;;#ASMEND
	;;#ASMSTART
	v_dot2_f32_f16 v8, v5, v13, v8
	;;#ASMEND
	;;#ASMSTART
	v_dot2_f32_f16 v8, v6, v14, v8
	;;#ASMEND
	;;#ASMSTART
	v_dot2_f32_f16 v8, v7, v15, v8
	;;#ASMEND
	ds_load_b128 v[4:7], v33 offset:80
	ds_load_b128 v[12:15], v30 offset:80
	s_wait_dscnt 0x0
	;;#ASMSTART
	v_dot2_f32_f16 v8, v4, v12, v8
	;;#ASMEND
	;;#ASMSTART
	v_dot2_f32_f16 v8, v5, v13, v8
	;;#ASMEND
	;;#ASMSTART
	v_dot2_f32_f16 v8, v6, v14, v8
	;;#ASMEND
	;;#ASMSTART
	v_dot2_f32_f16 v8, v7, v15, v8
	;;#ASMEND
	ds_load_b128 v[4:7], v33 offset:96
	ds_load_b128 v[12:15], v30 offset:96
	s_wait_dscnt 0x0
	;;#ASMSTART
	v_dot2_f32_f16 v8, v4, v12, v8
	;;#ASMEND
	;;#ASMSTART
	v_dot2_f32_f16 v8, v5, v13, v8
	;;#ASMEND
	;;#ASMSTART
	v_dot2_f32_f16 v8, v6, v14, v8
	;;#ASMEND
	;;#ASMSTART
	v_dot2_f32_f16 v8, v7, v15, v8
	;;#ASMEND
	ds_load_b128 v[4:7], v33 offset:112
	ds_load_b128 v[12:15], v30 offset:112
	s_wait_dscnt 0x0
	;;#ASMSTART
	v_dot2_f32_f16 v8, v4, v12, v8
	;;#ASMEND
	;;#ASMSTART
	v_dot2_f32_f16 v8, v5, v13, v8
	;;#ASMEND
	;;#ASMSTART
	v_dot2_f32_f16 v8, v6, v14, v8
	;;#ASMEND
	;;#ASMSTART
	v_dot2_f32_f16 v8, v7, v15, v8
	;;#ASMEND
	ds_load_b128 v[4:7], v33 offset:128
	ds_load_b128 v[12:15], v30 offset:128
	s_wait_dscnt 0x0
	;;#ASMSTART
	v_dot2_f32_f16 v8, v4, v12, v8
	;;#ASMEND
	;;#ASMSTART
	v_dot2_f32_f16 v8, v5, v13, v8
	;;#ASMEND
	;; [unrolled: 3-line block ×4, first 2 shown]
	v_cmpx_gt_i32_e64 s11, v22
	s_cbranch_execz .LBB68_30
; %bb.27:
	s_cmp_eq_u64 s[30:31], 0
	s_cbranch_scc1 .LBB68_29
; %bb.28:
	v_mul_hi_u32 v0, s20, v23
	s_delay_alu instid0(VALU_DEP_1) | instskip(NEXT) | instid1(VALU_DEP_1)
	v_add_nc_u32_e32 v0, v23, v0
	v_lshrrev_b32_e32 v0, s21, v0
	s_delay_alu instid0(VALU_DEP_1) | instskip(NEXT) | instid1(VALU_DEP_1)
	v_mul_lo_u32 v0, v0, s22
	v_sub_nc_u32_e32 v0, v23, v0
	s_delay_alu instid0(VALU_DEP_1) | instskip(NEXT) | instid1(VALU_DEP_1)
	v_mul_lo_u32 v0, v0, s35
	v_add3_u32 v0, v0, v22, s26
	global_load_u16 v0, v0, s[30:31] scale_offset
	s_wait_loadcnt 0x0
	v_cvt_f32_f16_e32 v0, v0
	s_delay_alu instid0(VALU_DEP_1)
	v_mul_f32_e32 v3, v27, v0
.LBB68_29:
	v_max_num_f32_e32 v1, v35, v35
	s_delay_alu instid0(VALU_DEP_2) | instskip(NEXT) | instid1(VALU_DEP_1)
	v_add_f32_e32 v8, v8, v3
	v_add_f32_e32 v0, 0x40051340, v8
	s_delay_alu instid0(VALU_DEP_1)
	v_max_num_f32_e32 v0, v1, v0
.LBB68_30:
	s_or_b32 exec_lo, exec_lo, s9
	v_xor_b32_e32 v1, 16, v25
	s_mov_b32 s24, 0
	s_barrier_signal -1
	s_barrier_wait -1
	s_delay_alu instid0(VALU_DEP_1) | instskip(NEXT) | instid1(VALU_DEP_1)
	v_cmp_gt_i32_e64 s8, 32, v1
	v_cndmask_b32_e64 v3, v25, v1, s8
	s_delay_alu instid0(VALU_DEP_1) | instskip(SKIP_4) | instid1(VALU_DEP_2)
	v_lshlrev_b32_e32 v3, 2, v3
	ds_bpermute_b32 v3, v3, v0
	v_dual_max_num_f32 v0, v0, v0 :: v_dual_bitop2_b32 v4, 8, v25 bitop3:0x14
	s_wait_dscnt 0x0
	v_max_num_f32_e32 v3, v3, v3
	v_cmp_gt_i32_e64 s8, 32, v4
	s_delay_alu instid0(VALU_DEP_1) | instskip(NEXT) | instid1(VALU_DEP_1)
	v_dual_max_num_f32 v0, v0, v3 :: v_dual_cndmask_b32 v5, v25, v4, s8
	v_lshlrev_b32_e32 v5, 2, v5
	ds_bpermute_b32 v3, v5, v0
	v_xor_b32_e32 v5, 4, v25
	s_delay_alu instid0(VALU_DEP_1) | instskip(SKIP_1) | instid1(VALU_DEP_1)
	v_cmp_gt_i32_e64 s8, 32, v5
	s_wait_dscnt 0x0
	v_dual_max_num_f32 v3, v3, v3 :: v_dual_cndmask_b32 v6, v25, v5, s8
	s_delay_alu instid0(VALU_DEP_1) | instskip(SKIP_3) | instid1(VALU_DEP_1)
	v_dual_max_num_f32 v0, v0, v3 :: v_dual_lshlrev_b32 v6, 2, v6
	ds_bpermute_b32 v3, v6, v0
	s_wait_dscnt 0x0
	v_dual_max_num_f32 v3, v3, v3 :: v_dual_bitop2_b32 v6, 2, v25 bitop3:0x14
	v_cmp_gt_i32_e64 s8, 32, v6
	s_delay_alu instid0(VALU_DEP_1) | instskip(NEXT) | instid1(VALU_DEP_1)
	v_dual_max_num_f32 v0, v0, v3 :: v_dual_cndmask_b32 v7, v25, v6, s8
	v_lshlrev_b32_e32 v7, 2, v7
	ds_bpermute_b32 v3, v7, v0
	s_wait_dscnt 0x0
	v_dual_max_num_f32 v3, v3, v3 :: v_dual_bitop2_b32 v7, 1, v25 bitop3:0x14
	s_delay_alu instid0(VALU_DEP_1) | instskip(NEXT) | instid1(VALU_DEP_2)
	v_cmp_gt_i32_e64 s8, 32, v7
	v_max_num_f32_e32 v0, v0, v3
	s_delay_alu instid0(VALU_DEP_2) | instskip(NEXT) | instid1(VALU_DEP_1)
	v_cndmask_b32_e64 v10, v25, v7, s8
	v_lshlrev_b32_e32 v10, 2, v10
	ds_bpermute_b32 v3, v10, v0
	s_wait_dscnt 0x0
	v_max_num_f32_e32 v3, v3, v3
	s_delay_alu instid0(VALU_DEP_1) | instskip(NEXT) | instid1(VALU_DEP_1)
	v_max_num_f32_e32 v0, v0, v3
	v_sub_f32_e32 v3, v8, v0
	s_delay_alu instid0(VALU_DEP_1) | instskip(SKIP_1) | instid1(VALU_DEP_2)
	v_mul_f32_e32 v8, 0x3fb8aa3b, v3
	v_cmp_ngt_f32_e64 s8, 0xc2ce8ed0, v3
	v_fma_f32 v10, 0x3fb8aa3b, v3, -v8
	v_rndne_f32_e32 v12, v8
	s_delay_alu instid0(VALU_DEP_2) | instskip(NEXT) | instid1(VALU_DEP_2)
	v_fmac_f32_e32 v10, 0x32a5705f, v3
	v_sub_f32_e32 v8, v8, v12
	s_delay_alu instid0(VALU_DEP_1) | instskip(SKIP_1) | instid1(VALU_DEP_2)
	v_add_f32_e32 v8, v8, v10
	v_cvt_i32_f32_e32 v10, v12
	v_exp_f32_e32 v8, v8
	v_nop
	s_delay_alu instid0(TRANS32_DEP_1) | instskip(NEXT) | instid1(VALU_DEP_1)
	v_ldexp_f32 v8, v8, v10
	v_cndmask_b32_e64 v8, 0, v8, s8
	v_cmp_nlt_f32_e64 s8, 0x42b17218, v3
	s_delay_alu instid0(VALU_DEP_1)
	v_cndmask_b32_e64 v3, 0x7f800000, v8, s8
	v_cmp_gt_u32_e64 s8, s11, v22
	s_ashr_i32 s11, s10, 31
	v_dual_mov_b32 v8, 32 :: v_dual_cndmask_b32 v10, 0, v3, s8
	s_mul_u64 s[8:9], s[26:27], s[10:11]
	v_lshl_add_u32 v3, v22, 1, v26
	s_lshl_b64 s[8:9], s[8:9], 2
	s_delay_alu instid0(VALU_DEP_2)
	v_cvt_f16_f32_e32 v12, v10
	s_add_nc_u64 s[8:9], s[14:15], s[8:9]
	ds_store_b16 v3, v12
	s_and_saveexec_b32 s11, s7
	s_cbranch_execz .LBB68_32
; %bb.31:
	v_mul_lo_u32 v12, s10, v29
	v_mbcnt_lo_u32_b32 v3, -1, 0
	s_delay_alu instid0(VALU_DEP_1) | instskip(SKIP_1) | instid1(VALU_DEP_4)
	v_dual_mov_b32 v14, 0 :: v_dual_lshlrev_b32 v15, 20, v3
	v_mul_u32_u24_e32 v3, 0x90, v29
	v_ashrrev_i32_e32 v13, 31, v12
	s_delay_alu instid0(VALU_DEP_1) | instskip(NEXT) | instid1(VALU_DEP_1)
	v_lshl_add_u64 v[12:13], v[12:13], 2, s[8:9]
	v_add_nc_u64_e32 v[18:19], 0x80, v[12:13]
	v_mov_b32_e32 v12, 0
	v_add_nc_u64_e32 v[16:17], src_flat_scratch_base_lo, v[14:15]
	s_delay_alu instid0(VALU_DEP_2)
	v_dual_mov_b32 v13, v12 :: v_dual_mov_b32 v14, v12
	s_clause 0x1
	scratch_store_b32 off, v12, off
	scratch_store_b96 off, v[12:14], off offset:4
	v_dual_cndmask_b32 v17, v17, v19 :: v_dual_cndmask_b32 v16, v16, v18
	flat_load_b128 v[12:15], v[16:17]
	s_wait_loadcnt_dscnt 0x0
	ds_store_b128 v3, v[12:15] offset:128
.LBB68_32:
	s_wait_xcnt 0x0
	s_or_b32 exec_lo, exec_lo, s11
	v_mul_lo_u32 v12, s10, v9
	v_mbcnt_lo_u32_b32 v15, -1, 0
	v_mov_b32_e32 v14, 0
	v_mul_lo_u32 v36, s10, v11
	s_mov_b32 s26, s24
	s_mov_b32 s25, s24
	v_dual_mov_b32 v16, s24 :: v_dual_lshlrev_b32 v15, 20, v15
	v_mov_b32_e32 v17, s25
	v_mad_u32_u24 v9, 0x90, v9, v2
	v_dual_mov_b32 v3, 0 :: v_dual_ashrrev_i32 v13, 31, v12
	s_delay_alu instid0(VALU_DEP_4) | instskip(SKIP_1) | instid1(VALU_DEP_3)
	v_add_nc_u64_e32 v[20:21], src_flat_scratch_base_lo, v[14:15]
	v_ashrrev_i32_e32 v37, 31, v36
	v_lshl_add_u64 v[12:13], v[12:13], 2, s[8:9]
	s_delay_alu instid0(VALU_DEP_1) | instskip(NEXT) | instid1(VALU_DEP_1)
	v_add_nc_u64_e32 v[12:13], v[12:13], v[2:3]
	v_dual_mov_b32 v18, s26 :: v_dual_cndmask_b32 v13, v21, v13, s3
	s_delay_alu instid0(VALU_DEP_2)
	v_cndmask_b32_e64 v12, v20, v12, s3
	s_lshl_b32 s3, s10, 3
	s_clause 0x1
	scratch_store_b32 off, v3, off
	scratch_store_b96 off, v[16:18], off offset:4
	v_subrev_nc_u32_e32 v38, s3, v36
	v_lshl_add_u64 v[36:37], v[36:37], 2, s[8:9]
	s_delay_alu instid0(VALU_DEP_2) | instskip(SKIP_1) | instid1(VALU_DEP_3)
	v_subrev_nc_u32_e32 v40, s3, v38
	v_ashrrev_i32_e32 v39, 31, v38
	v_add_nc_u64_e32 v[36:37], v[36:37], v[2:3]
	s_delay_alu instid0(VALU_DEP_3) | instskip(NEXT) | instid1(VALU_DEP_3)
	v_ashrrev_i32_e32 v41, 31, v40
	v_lshl_add_u64 v[38:39], v[38:39], 2, s[8:9]
	s_delay_alu instid0(VALU_DEP_2) | instskip(NEXT) | instid1(VALU_DEP_2)
	v_lshl_add_u64 v[40:41], v[40:41], 2, s[8:9]
	v_add_nc_u64_e32 v[38:39], v[38:39], v[2:3]
	s_delay_alu instid0(VALU_DEP_2) | instskip(NEXT) | instid1(VALU_DEP_2)
	v_add_nc_u64_e32 v[40:41], v[40:41], v[2:3]
	v_dual_cndmask_b32 v39, v21, v39, s5 :: v_dual_cndmask_b32 v38, v20, v38, s5
	s_delay_alu instid0(VALU_DEP_2)
	v_cndmask_b32_e64 v41, v21, v41, s4
	flat_load_b128 v[12:15], v[12:13]
	v_cndmask_b32_e64 v40, v20, v40, s4
	s_clause 0x1
	scratch_store_b32 off, v3, off
	scratch_store_b96 off, v[16:18], off offset:4
	v_dual_cndmask_b32 v21, v21, v37, s6 :: v_dual_cndmask_b32 v20, v20, v36, s6
	s_wait_loadcnt_dscnt 0x0
	ds_store_b128 v9, v[12:15]
	flat_load_b128 v[12:15], v[40:41]
	v_mad_u32_u24 v9, 0x90, v11, v2
	s_clause 0x1
	scratch_store_b32 off, v3, off
	scratch_store_b96 off, v[16:18], off offset:4
	v_add_nc_u32_e32 v11, 0xfffff700, v9
	v_add_nc_u32_e32 v2, 0xfffffb80, v9
	s_wait_loadcnt_dscnt 0x0
	ds_store_b128 v11, v[12:15]
	flat_load_b128 v[12:15], v[38:39]
	s_clause 0x1
	scratch_store_b32 off, v3, off
	scratch_store_b96 off, v[16:18], off offset:4
	s_wait_loadcnt_dscnt 0x0
	ds_store_b128 v2, v[12:15]
	flat_load_b128 v[12:15], v[20:21]
	v_sub_f32_e32 v2, v35, v0
	s_wait_xcnt 0x2
	s_delay_alu instid0(VALU_DEP_1) | instskip(SKIP_1) | instid1(VALU_DEP_2)
	v_mul_f32_e32 v3, 0x3fb8aa3b, v2
	v_cmp_ngt_f32_e32 vcc_lo, 0xc2ce8ed0, v2
	v_fma_f32 v11, 0x3fb8aa3b, v2, -v3
	s_wait_xcnt 0x1
	v_rndne_f32_e32 v16, v3
	s_delay_alu instid0(VALU_DEP_2) | instskip(NEXT) | instid1(VALU_DEP_2)
	v_fmac_f32_e32 v11, 0x32a5705f, v2
	v_sub_f32_e32 v3, v3, v16
	s_wait_loadcnt_dscnt 0x0
	ds_store_b128 v9, v[12:15]
	s_wait_storecnt_dscnt 0x0
	s_barrier_signal -1
	s_barrier_wait -1
	ds_load_b128 v[12:15], v26
	ds_load_b128 v[34:37], v26 offset:16
	v_add_f32_e32 v3, v3, v11
	v_cvt_i32_f32_e32 v11, v16
	ds_load_2addr_b64 v[16:19], v24 offset1:18
	ds_load_2addr_b64 v[38:41], v24 offset0:36 offset1:54
	ds_load_2addr_b64 v[42:45], v24 offset0:72 offset1:90
	v_exp_f32_e32 v3, v3
	v_nop
	s_delay_alu instid0(TRANS32_DEP_1) | instskip(NEXT) | instid1(VALU_DEP_1)
	v_ldexp_f32 v3, v3, v11
	v_cndmask_b32_e32 v3, 0, v3, vcc_lo
	v_cmp_nlt_f32_e32 vcc_lo, 0x42b17218, v2
	s_wait_dscnt 0x4
	v_and_b32_e32 v9, 0xffff, v12
	v_lshrrev_b32_e32 v11, 16, v12
	s_wait_dscnt 0x3
	s_wait_xcnt 0x0
	v_and_b32_e32 v21, 0xffff, v34
	v_cndmask_b32_e32 v2, 0x7f800000, v3, vcc_lo
	v_mul_u32_u24_e32 v9, 0x10001, v9
	v_mul_u32_u24_e32 v11, 0x10001, v11
	s_delay_alu instid0(VALU_DEP_4) | instskip(NEXT) | instid1(VALU_DEP_4)
	v_mul_u32_u24_e32 v21, 0x10001, v21
	v_cvt_f16_f32_e32 v3, v2
	s_wait_dscnt 0x2
	v_pk_mul_f16 v12, v16, v9
	v_pk_mul_f16 v9, v17, v9
	v_and_b32_e32 v16, 0xffff, v13
	v_and_b32_e32 v3, 0xffff, v3
	s_delay_alu instid0(VALU_DEP_1) | instskip(NEXT) | instid1(VALU_DEP_1)
	v_mul_u32_u24_e32 v3, 0x10001, v3
	v_pk_fma_f16 v12, v32, v3, v12
	v_pk_fma_f16 v3, v31, v3, v9
	v_lshrrev_b32_e32 v9, 16, v13
	v_mul_u32_u24_e32 v13, 0x10001, v16
	ds_load_2addr_b64 v[30:33], v24 offset0:144 offset1:162
	v_pk_fma_f16 v12, v18, v11, v12
	v_pk_fma_f16 v3, v19, v11, v3
	ds_load_2addr_b64 v[16:19], v24 offset0:108 offset1:126
	v_and_b32_e32 v11, 0xffff, v14
	v_mul_u32_u24_e32 v9, 0x10001, v9
	s_wait_dscnt 0x3
	v_pk_fma_f16 v12, v38, v13, v12
	v_pk_fma_f16 v3, v39, v13, v3
	v_lshrrev_b32_e32 v13, 16, v14
	v_mul_u32_u24_e32 v11, 0x10001, v11
	v_fmac_f32_e32 v10, v28, v2
	v_pk_fma_f16 v12, v40, v9, v12
	v_pk_fma_f16 v3, v41, v9, v3
	v_and_b32_e32 v9, 0xffff, v15
	v_mul_u32_u24_e32 v13, 0x10001, v13
	ds_load_b128 v[38:41], v26 offset:32
	s_wait_dscnt 0x3
	v_pk_fma_f16 v12, v42, v11, v12
	v_pk_fma_f16 v3, v43, v11, v3
	v_lshrrev_b32_e32 v11, 16, v15
	v_mul_u32_u24_e32 v9, 0x10001, v9
	v_mov_b32_e32 v28, v10
	v_pk_fma_f16 v20, v44, v13, v12
	v_pk_fma_f16 v3, v45, v13, v3
	ds_load_2addr_b64 v[12:15], v24 offset0:180 offset1:198
	ds_load_b128 v[42:45], v26 offset:48
	s_wait_dscnt 0x3
	v_pk_fma_f16 v16, v16, v9, v20
	v_pk_fma_f16 v3, v17, v9, v3
	v_lshrrev_b32_e32 v20, 16, v34
	v_mul_u32_u24_e32 v11, 0x10001, v11
	v_add_nc_u32_e32 v9, 0x400, v24
	s_delay_alu instid0(VALU_DEP_3) | instskip(NEXT) | instid1(VALU_DEP_3)
	v_mul_u32_u24_e32 v20, 0x10001, v20
	v_pk_fma_f16 v27, v18, v11, v16
	v_pk_fma_f16 v3, v19, v11, v3
	ds_load_2addr_b64 v[16:19], v24 offset0:216 offset1:234
	v_and_b32_e32 v11, 0xffff, v35
	v_pk_fma_f16 v27, v30, v21, v27
	v_pk_fma_f16 v3, v31, v21, v3
	v_lshrrev_b32_e32 v21, 16, v35
	s_delay_alu instid0(VALU_DEP_4) | instskip(NEXT) | instid1(VALU_DEP_4)
	v_mul_u32_u24_e32 v11, 0x10001, v11
	v_pk_fma_f16 v27, v32, v20, v27
	s_delay_alu instid0(VALU_DEP_4)
	v_pk_fma_f16 v3, v33, v20, v3
	ds_load_2addr_b64 v[30:33], v9 offset0:124 offset1:142
	v_and_b32_e32 v9, 0xffff, v36
	v_mul_u32_u24_e32 v20, 0x10001, v21
	s_wait_dscnt 0x3
	v_pk_fma_f16 v12, v12, v11, v27
	v_pk_fma_f16 v3, v13, v11, v3
	v_add_nc_u32_e32 v11, 0x800, v24
	v_lshrrev_b32_e32 v21, 16, v36
	v_mul_u32_u24_e32 v9, 0x10001, v9
	v_pk_fma_f16 v27, v14, v20, v12
	v_pk_fma_f16 v3, v15, v20, v3
	ds_load_2addr_b64 v[12:15], v11 offset0:32 offset1:50
	v_and_b32_e32 v20, 0xffff, v37
	v_mul_u32_u24_e32 v21, 0x10001, v21
	s_wait_dscnt 0x2
	v_pk_fma_f16 v16, v16, v9, v27
	v_pk_fma_f16 v3, v17, v9, v3
	v_lshrrev_b32_e32 v9, 16, v37
	v_mul_u32_u24_e32 v20, 0x10001, v20
	s_delay_alu instid0(VALU_DEP_4) | instskip(NEXT) | instid1(VALU_DEP_4)
	v_pk_fma_f16 v26, v18, v21, v16
	v_pk_fma_f16 v3, v19, v21, v3
	ds_load_2addr_b64 v[16:19], v11 offset0:68 offset1:86
	v_and_b32_e32 v21, 0xffff, v38
	v_mul_u32_u24_e32 v9, 0x10001, v9
	s_wait_dscnt 0x2
	v_pk_fma_f16 v26, v30, v20, v26
	v_pk_fma_f16 v3, v31, v20, v3
	v_lshrrev_b32_e32 v20, 16, v38
	v_mul_u32_u24_e32 v21, 0x10001, v21
	s_delay_alu instid0(VALU_DEP_4) | instskip(NEXT) | instid1(VALU_DEP_4)
	;; [unrolled: 11-line block ×3, first 2 shown]
	v_pk_fma_f16 v26, v14, v20, v12
	v_pk_fma_f16 v3, v15, v20, v3
	ds_load_2addr_b64 v[12:15], v11 offset0:140 offset1:158
	v_and_b32_e32 v20, 0xffff, v40
	s_wait_dscnt 0x2
	v_pk_fma_f16 v16, v16, v9, v26
	v_pk_fma_f16 v3, v17, v9, v3
	v_lshrrev_b32_e32 v9, 16, v40
	v_mul_u32_u24_e32 v21, 0x10001, v21
	v_mul_u32_u24_e32 v20, 0x10001, v20
	s_delay_alu instid0(VALU_DEP_3) | instskip(NEXT) | instid1(VALU_DEP_3)
	v_mul_u32_u24_e32 v9, 0x10001, v9
	v_pk_fma_f16 v26, v18, v21, v16
	v_pk_fma_f16 v3, v19, v21, v3
	ds_load_2addr_b64 v[16:19], v11 offset0:176 offset1:194
	v_and_b32_e32 v21, 0xffff, v41
	s_wait_dscnt 0x2
	v_pk_fma_f16 v26, v30, v20, v26
	v_pk_fma_f16 v3, v31, v20, v3
	v_lshrrev_b32_e32 v20, 16, v41
	v_mul_u32_u24_e32 v21, 0x10001, v21
	s_delay_alu instid0(VALU_DEP_4) | instskip(NEXT) | instid1(VALU_DEP_4)
	v_pk_fma_f16 v26, v32, v9, v26
	v_pk_fma_f16 v3, v33, v9, v3
	ds_load_2addr_b64 v[30:33], v11 offset0:212 offset1:230
	v_and_b32_e32 v9, 0xffff, v42
	v_mul_u32_u24_e32 v11, 0x10001, v20
	s_wait_dscnt 0x2
	v_pk_fma_f16 v12, v12, v21, v26
	v_pk_fma_f16 v3, v13, v21, v3
	v_add_nc_u32_e32 v13, 0xc00, v24
	v_lshrrev_b32_e32 v20, 16, v42
	v_mul_u32_u24_e32 v9, 0x10001, v9
	v_pk_fma_f16 v21, v14, v11, v12
	v_pk_fma_f16 v3, v15, v11, v3
	ds_load_2addr_b64 v[12:15], v13 offset0:120 offset1:138
	v_and_b32_e32 v11, 0xffff, v43
	s_wait_dscnt 0x2
	v_pk_fma_f16 v16, v16, v9, v21
	v_pk_fma_f16 v3, v17, v9, v3
	v_lshrrev_b32_e32 v21, 16, v43
	v_mul_u32_u24_e32 v20, 0x10001, v20
	v_add_nc_u32_e32 v9, 0x1000, v24
	v_mul_u32_u24_e32 v11, 0x10001, v11
	s_delay_alu instid0(VALU_DEP_3)
	v_pk_fma_f16 v24, v18, v20, v16
	v_pk_fma_f16 v3, v19, v20, v3
	ds_load_2addr_b64 v[16:19], v9 offset0:28 offset1:46
	v_and_b32_e32 v9, 0xffff, v44
	v_mul_u32_u24_e32 v20, 0x10001, v21
	s_wait_dscnt 0x2
	v_pk_fma_f16 v21, v30, v11, v24
	v_pk_fma_f16 v3, v31, v11, v3
	v_lshrrev_b32_e32 v11, 16, v44
	v_mul_u32_u24_e32 v9, 0x10001, v9
	s_wait_dscnt 0x0
	v_pk_fma_f16 v21, v32, v20, v21
	v_pk_fma_f16 v3, v33, v20, v3
	v_and_b32_e32 v20, 0xffff, v45
	s_barrier_signal -1
	s_barrier_wait -1
	v_pk_fma_f16 v12, v12, v9, v21
	v_pk_fma_f16 v3, v13, v9, v3
	v_lshrrev_b32_e32 v9, 16, v45
	v_mul_u32_u24_e32 v11, 0x10001, v11
	v_mul_u32_u24_e32 v13, 0x10001, v20
	s_delay_alu instid0(VALU_DEP_3) | instskip(NEXT) | instid1(VALU_DEP_3)
	v_mul_u32_u24_e32 v9, 0x10001, v9
	v_pk_fma_f16 v12, v14, v11, v12
	v_pk_fma_f16 v3, v15, v11, v3
	s_delay_alu instid0(VALU_DEP_2) | instskip(NEXT) | instid1(VALU_DEP_2)
	v_pk_fma_f16 v11, v16, v13, v12
	v_pk_fma_f16 v3, v17, v13, v3
	s_delay_alu instid0(VALU_DEP_2) | instskip(NEXT) | instid1(VALU_DEP_2)
	v_pk_fma_f16 v32, v18, v9, v11
	v_pk_fma_f16 v31, v19, v9, v3
.LBB68_33:
	v_cmp_lt_i32_e32 vcc_lo, v1, v8
	s_cmp_eq_u64 s[12:13], 0
	s_cselect_b32 s3, -1, 0
	s_cmp_lg_u32 s29, 0
	v_cndmask_b32_e32 v1, v25, v1, vcc_lo
	v_cmp_lt_i32_e32 vcc_lo, v4, v8
	s_cselect_b32 s4, -1, 0
	s_delay_alu instid0(SALU_CYCLE_1) | instskip(NEXT) | instid1(VALU_DEP_2)
	s_or_b32 s3, s4, s3
	v_dual_cndmask_b32 v2, v25, v4 :: v_dual_lshlrev_b32 v1, 2, v1
	v_cmp_lt_i32_e32 vcc_lo, v5, v8
	s_delay_alu instid0(VALU_DEP_2) | instskip(SKIP_4) | instid1(VALU_DEP_2)
	v_lshlrev_b32_e32 v2, 2, v2
	ds_bpermute_b32 v1, v1, v28
	v_cndmask_b32_e32 v3, v25, v5, vcc_lo
	v_cmp_lt_i32_e32 vcc_lo, v6, v8
	s_wait_dscnt 0x0
	v_dual_lshlrev_b32 v3, 2, v3 :: v_dual_add_f32 v1, v28, v1
	ds_bpermute_b32 v2, v2, v1
	s_wait_dscnt 0x0
	v_add_f32_e32 v1, v1, v2
	ds_bpermute_b32 v2, v3, v1
	v_cndmask_b32_e32 v3, v25, v6, vcc_lo
	v_cmp_lt_i32_e32 vcc_lo, v7, v8
	s_wait_dscnt 0x0
	s_delay_alu instid0(VALU_DEP_2) | instskip(SKIP_4) | instid1(VALU_DEP_1)
	v_dual_lshlrev_b32 v3, 2, v3 :: v_dual_add_f32 v1, v1, v2
	ds_bpermute_b32 v2, v3, v1
	v_cndmask_b32_e32 v3, v25, v7, vcc_lo
	s_and_b32 vcc_lo, exec_lo, s3
	s_wait_dscnt 0x0
	v_dual_lshlrev_b32 v3, 2, v3 :: v_dual_add_f32 v1, v1, v2
	ds_bpermute_b32 v2, v3, v1
	s_wait_dscnt 0x0
	v_add_f32_e32 v1, v1, v2
	s_cbranch_vccnz .LBB68_36
; %bb.34:
	v_mov_b32_e32 v2, s33
	global_load_b32 v3, v2, s[12:13] scale_offset
	s_wait_loadcnt 0x0
	v_dual_max_num_f32 v2, v0, v0 :: v_dual_max_num_f32 v4, v3, v3
	s_delay_alu instid0(VALU_DEP_1) | instskip(NEXT) | instid1(VALU_DEP_1)
	v_max_num_f32_e32 v2, v2, v4
	v_sub_f32_e32 v0, v0, v2
	s_delay_alu instid0(VALU_DEP_1) | instskip(NEXT) | instid1(VALU_DEP_1)
	v_mul_f32_e32 v4, 0x3fb8aa3b, v0
	v_rndne_f32_e32 v6, v4
	v_fma_f32 v5, 0x3fb8aa3b, v0, -v4
	s_delay_alu instid0(VALU_DEP_2) | instskip(SKIP_3) | instid1(VALU_DEP_3)
	v_sub_f32_e32 v4, v4, v6
	v_sub_f32_e32 v3, v3, v2
	v_cvt_i32_f32_e32 v6, v6
	v_cmp_ngt_f32_e32 vcc_lo, 0xc2ce8ed0, v0
	v_mul_f32_e32 v7, 0x3fb8aa3b, v3
	s_delay_alu instid0(VALU_DEP_1) | instskip(SKIP_2) | instid1(VALU_DEP_3)
	v_fma_f32 v8, 0x3fb8aa3b, v3, -v7
	v_fmac_f32_e32 v5, 0x32a5705f, v0
	v_rndne_f32_e32 v9, v7
	v_fmac_f32_e32 v8, 0x32a5705f, v3
	s_delay_alu instid0(VALU_DEP_3) | instskip(NEXT) | instid1(VALU_DEP_3)
	v_add_f32_e32 v4, v4, v5
	v_sub_f32_e32 v5, v7, v9
	s_delay_alu instid0(VALU_DEP_1) | instskip(NEXT) | instid1(VALU_DEP_3)
	v_add_f32_e32 v5, v5, v8
	v_exp_f32_e32 v4, v4
	s_delay_alu instid0(VALU_DEP_1) | instskip(NEXT) | instid1(TRANS32_DEP_2)
	v_exp_f32_e32 v5, v5
	v_ldexp_f32 v4, v4, v6
	v_cvt_i32_f32_e32 v6, v9
	s_delay_alu instid0(VALU_DEP_2) | instskip(SKIP_1) | instid1(VALU_DEP_2)
	v_cndmask_b32_e32 v4, 0, v4, vcc_lo
	v_cmp_nlt_f32_e32 vcc_lo, 0x42b17218, v0
	v_cndmask_b32_e32 v0, 0x7f800000, v4, vcc_lo
	s_delay_alu instid0(TRANS32_DEP_1) | instid1(VALU_DEP_4)
	v_ldexp_f32 v4, v5, v6
	v_cmp_ngt_f32_e32 vcc_lo, 0xc2ce8ed0, v3
	s_delay_alu instid0(VALU_DEP_3) | instskip(NEXT) | instid1(VALU_DEP_3)
	v_cvt_f16_f32_e32 v5, v0
	v_cndmask_b32_e32 v4, 0, v4, vcc_lo
	v_cmp_nlt_f32_e32 vcc_lo, 0x42b17218, v3
	s_delay_alu instid0(VALU_DEP_3) | instskip(NEXT) | instid1(VALU_DEP_3)
	v_and_b32_e32 v5, 0xffff, v5
	v_cndmask_b32_e32 v3, 0x7f800000, v4, vcc_lo
	s_delay_alu instid0(VALU_DEP_2) | instskip(NEXT) | instid1(VALU_DEP_2)
	v_mul_u32_u24_e32 v4, 0x10001, v5
	v_fmac_f32_e32 v3, v1, v0
	s_delay_alu instid0(VALU_DEP_2) | instskip(SKIP_1) | instid1(VALU_DEP_3)
	v_pk_mul_f16 v32, v32, v4
	v_pk_mul_f16 v31, v31, v4
	v_mov_b64_e32 v[0:1], v[2:3]
	s_mov_b32 s3, exec_lo
	v_cmpx_gt_i32_e64 s22, v23
	s_cbranch_execnz .LBB68_37
.LBB68_35:
	s_sendmsg sendmsg(MSG_DEALLOC_VGPRS)
	s_endpgm
.LBB68_36:
	s_delay_alu instid0(VALU_DEP_1)
	v_mov_b32_e32 v3, v1
	s_mov_b32 s3, exec_lo
	v_cmpx_gt_i32_e64 s22, v23
	s_cbranch_execz .LBB68_35
.LBB68_37:
	v_mad_u32 v2, s28, s22, v23
	s_load_b32 s0, s[0:1], 0xd4
	s_delay_alu instid0(VALU_DEP_1) | instskip(SKIP_2) | instid1(VALU_DEP_1)
	v_mad_u32 v2, v2, s23, s33
	s_wait_kmcnt 0x0
	s_cmp_lg_u32 s0, 1
	v_mad_u32 v2, s0, v2, s29
	s_cselect_b32 s0, -1, 0
	s_and_saveexec_b32 s1, s2
	s_cbranch_execz .LBB68_39
; %bb.38:
	v_div_scale_f32 v4, null, v3, v3, 1.0
	v_div_scale_f32 v7, vcc_lo, 1.0, v3, 1.0
	v_lshrrev_b32_e32 v9, 16, v31
	s_delay_alu instid0(VALU_DEP_3) | instskip(NEXT) | instid1(VALU_DEP_1)
	v_rcp_f32_e32 v5, v4
	v_cvt_f32_f16_e32 v9, v9
	s_delay_alu instid0(TRANS32_DEP_1) | instskip(NEXT) | instid1(VALU_DEP_1)
	v_fma_f32 v6, -v4, v5, 1.0
	v_fmac_f32_e32 v5, v6, v5
	s_delay_alu instid0(VALU_DEP_1) | instskip(NEXT) | instid1(VALU_DEP_1)
	v_mul_f32_e32 v6, v7, v5
	v_fma_f32 v8, -v4, v6, v7
	s_delay_alu instid0(VALU_DEP_1) | instskip(SKIP_1) | instid1(VALU_DEP_2)
	v_fmac_f32_e32 v6, v8, v5
	v_cvt_f32_f16_e32 v8, v31
	v_fma_f32 v4, -v4, v6, v7
	v_lshlrev_b32_e32 v7, 2, v22
	s_delay_alu instid0(VALU_DEP_2) | instskip(NEXT) | instid1(VALU_DEP_2)
	v_div_fmas_f32 v6, v4, v5, v6
	v_mad_u32 v4, 0x48, v2, v7
	v_dual_lshrrev_b32 v7, 16, v32 :: v_dual_mov_b32 v5, 0
	s_delay_alu instid0(VALU_DEP_3) | instskip(SKIP_1) | instid1(VALU_DEP_3)
	v_div_fixup_f32 v3, v6, v3, 1.0
	v_cvt_f32_f16_e32 v6, v32
	v_cvt_f32_f16_e32 v7, v7
	s_delay_alu instid0(VALU_DEP_3) | instskip(SKIP_1) | instid1(VALU_DEP_2)
	v_cndmask_b32_e64 v10, v3, 1.0, s0
	v_lshl_add_u64 v[12:13], v[4:5], 2, s[16:17]
	v_pk_mul_f32 v[4:5], v[10:11], v[6:7] op_sel_hi:[0,1]
	v_pk_mul_f32 v[6:7], v[10:11], v[8:9] op_sel_hi:[0,1]
	global_store_b128 v[12:13], v[4:7], off
.LBB68_39:
	s_wait_xcnt 0x0
	s_or_b32 exec_lo, exec_lo, s1
	v_cmp_eq_u32_e32 vcc_lo, 0, v22
	s_and_b32 s0, vcc_lo, s0
	s_delay_alu instid0(SALU_CYCLE_1)
	s_and_b32 exec_lo, exec_lo, s0
	s_cbranch_execz .LBB68_35
; %bb.40:
	global_store_b64 v2, v[0:1], s[18:19] scale_offset
	s_sendmsg sendmsg(MSG_DEALLOC_VGPRS)
	s_endpgm
	.section	.rodata,"a",@progbits
	.p2align	6, 0x0
	.amdhsa_kernel _ZL15flash_attn_tileILi72ELi72ELi2ELi1ELb0EEvPKcS1_S1_S1_S1_PKiPfP15HIP_vector_typeIfLj2EEffffjfiS5_IjLj3EEiiiiiiiiiiiliiliiiiil
		.amdhsa_group_segment_fixed_size 5760
		.amdhsa_private_segment_fixed_size 32
		.amdhsa_kernarg_size 464
		.amdhsa_user_sgpr_count 2
		.amdhsa_user_sgpr_dispatch_ptr 0
		.amdhsa_user_sgpr_queue_ptr 0
		.amdhsa_user_sgpr_kernarg_segment_ptr 1
		.amdhsa_user_sgpr_dispatch_id 0
		.amdhsa_user_sgpr_kernarg_preload_length 0
		.amdhsa_user_sgpr_kernarg_preload_offset 0
		.amdhsa_user_sgpr_private_segment_size 0
		.amdhsa_wavefront_size32 1
		.amdhsa_uses_dynamic_stack 0
		.amdhsa_enable_private_segment 1
		.amdhsa_system_sgpr_workgroup_id_x 1
		.amdhsa_system_sgpr_workgroup_id_y 1
		.amdhsa_system_sgpr_workgroup_id_z 1
		.amdhsa_system_sgpr_workgroup_info 0
		.amdhsa_system_vgpr_workitem_id 1
		.amdhsa_next_free_vgpr 80
		.amdhsa_next_free_sgpr 46
		.amdhsa_named_barrier_count 0
		.amdhsa_reserve_vcc 1
		.amdhsa_float_round_mode_32 0
		.amdhsa_float_round_mode_16_64 0
		.amdhsa_float_denorm_mode_32 3
		.amdhsa_float_denorm_mode_16_64 3
		.amdhsa_fp16_overflow 0
		.amdhsa_memory_ordered 1
		.amdhsa_forward_progress 1
		.amdhsa_inst_pref_size 80
		.amdhsa_round_robin_scheduling 0
		.amdhsa_exception_fp_ieee_invalid_op 0
		.amdhsa_exception_fp_denorm_src 0
		.amdhsa_exception_fp_ieee_div_zero 0
		.amdhsa_exception_fp_ieee_overflow 0
		.amdhsa_exception_fp_ieee_underflow 0
		.amdhsa_exception_fp_ieee_inexact 0
		.amdhsa_exception_int_div_zero 0
	.end_amdhsa_kernel
	.section	.text._ZL15flash_attn_tileILi72ELi72ELi2ELi1ELb0EEvPKcS1_S1_S1_S1_PKiPfP15HIP_vector_typeIfLj2EEffffjfiS5_IjLj3EEiiiiiiiiiiiliiliiiiil,"axG",@progbits,_ZL15flash_attn_tileILi72ELi72ELi2ELi1ELb0EEvPKcS1_S1_S1_S1_PKiPfP15HIP_vector_typeIfLj2EEffffjfiS5_IjLj3EEiiiiiiiiiiiliiliiiiil,comdat
.Lfunc_end68:
	.size	_ZL15flash_attn_tileILi72ELi72ELi2ELi1ELb0EEvPKcS1_S1_S1_S1_PKiPfP15HIP_vector_typeIfLj2EEffffjfiS5_IjLj3EEiiiiiiiiiiiliiliiiiil, .Lfunc_end68-_ZL15flash_attn_tileILi72ELi72ELi2ELi1ELb0EEvPKcS1_S1_S1_S1_PKiPfP15HIP_vector_typeIfLj2EEffffjfiS5_IjLj3EEiiiiiiiiiiiliiliiiiil
                                        ; -- End function
	.set _ZL15flash_attn_tileILi72ELi72ELi2ELi1ELb0EEvPKcS1_S1_S1_S1_PKiPfP15HIP_vector_typeIfLj2EEffffjfiS5_IjLj3EEiiiiiiiiiiiliiliiiiil.num_vgpr, 80
	.set _ZL15flash_attn_tileILi72ELi72ELi2ELi1ELb0EEvPKcS1_S1_S1_S1_PKiPfP15HIP_vector_typeIfLj2EEffffjfiS5_IjLj3EEiiiiiiiiiiiliiliiiiil.num_agpr, 0
	.set _ZL15flash_attn_tileILi72ELi72ELi2ELi1ELb0EEvPKcS1_S1_S1_S1_PKiPfP15HIP_vector_typeIfLj2EEffffjfiS5_IjLj3EEiiiiiiiiiiiliiliiiiil.numbered_sgpr, 46
	.set _ZL15flash_attn_tileILi72ELi72ELi2ELi1ELb0EEvPKcS1_S1_S1_S1_PKiPfP15HIP_vector_typeIfLj2EEffffjfiS5_IjLj3EEiiiiiiiiiiiliiliiiiil.num_named_barrier, 0
	.set _ZL15flash_attn_tileILi72ELi72ELi2ELi1ELb0EEvPKcS1_S1_S1_S1_PKiPfP15HIP_vector_typeIfLj2EEffffjfiS5_IjLj3EEiiiiiiiiiiiliiliiiiil.private_seg_size, 32
	.set _ZL15flash_attn_tileILi72ELi72ELi2ELi1ELb0EEvPKcS1_S1_S1_S1_PKiPfP15HIP_vector_typeIfLj2EEffffjfiS5_IjLj3EEiiiiiiiiiiiliiliiiiil.uses_vcc, 1
	.set _ZL15flash_attn_tileILi72ELi72ELi2ELi1ELb0EEvPKcS1_S1_S1_S1_PKiPfP15HIP_vector_typeIfLj2EEffffjfiS5_IjLj3EEiiiiiiiiiiiliiliiiiil.uses_flat_scratch, 1
	.set _ZL15flash_attn_tileILi72ELi72ELi2ELi1ELb0EEvPKcS1_S1_S1_S1_PKiPfP15HIP_vector_typeIfLj2EEffffjfiS5_IjLj3EEiiiiiiiiiiiliiliiiiil.has_dyn_sized_stack, 0
	.set _ZL15flash_attn_tileILi72ELi72ELi2ELi1ELb0EEvPKcS1_S1_S1_S1_PKiPfP15HIP_vector_typeIfLj2EEffffjfiS5_IjLj3EEiiiiiiiiiiiliiliiiiil.has_recursion, 0
	.set _ZL15flash_attn_tileILi72ELi72ELi2ELi1ELb0EEvPKcS1_S1_S1_S1_PKiPfP15HIP_vector_typeIfLj2EEffffjfiS5_IjLj3EEiiiiiiiiiiiliiliiiiil.has_indirect_call, 0
	.section	.AMDGPU.csdata,"",@progbits
; Kernel info:
; codeLenInByte = 10208
; TotalNumSgprs: 48
; NumVgprs: 80
; ScratchSize: 32
; MemoryBound: 0
; FloatMode: 240
; IeeeMode: 1
; LDSByteSize: 5760 bytes/workgroup (compile time only)
; SGPRBlocks: 0
; VGPRBlocks: 4
; NumSGPRsForWavesPerEU: 48
; NumVGPRsForWavesPerEU: 80
; NamedBarCnt: 0
; Occupancy: 12
; WaveLimiterHint : 1
; COMPUTE_PGM_RSRC2:SCRATCH_EN: 1
; COMPUTE_PGM_RSRC2:USER_SGPR: 2
; COMPUTE_PGM_RSRC2:TRAP_HANDLER: 0
; COMPUTE_PGM_RSRC2:TGID_X_EN: 1
; COMPUTE_PGM_RSRC2:TGID_Y_EN: 1
; COMPUTE_PGM_RSRC2:TGID_Z_EN: 1
; COMPUTE_PGM_RSRC2:TIDIG_COMP_CNT: 1
	.section	.text._ZL33flash_attn_stream_k_fixup_uniformILi72ELi2ELi1EEvPfPK15HIP_vector_typeIfLj2EEiiiiiiS1_IjLj3EES5_S5_,"axG",@progbits,_ZL33flash_attn_stream_k_fixup_uniformILi72ELi2ELi1EEvPfPK15HIP_vector_typeIfLj2EEiiiiiiS1_IjLj3EES5_S5_,comdat
	.globl	_ZL33flash_attn_stream_k_fixup_uniformILi72ELi2ELi1EEvPfPK15HIP_vector_typeIfLj2EEiiiiiiS1_IjLj3EES5_S5_ ; -- Begin function _ZL33flash_attn_stream_k_fixup_uniformILi72ELi2ELi1EEvPfPK15HIP_vector_typeIfLj2EEiiiiiiS1_IjLj3EES5_S5_
	.p2align	8
	.type	_ZL33flash_attn_stream_k_fixup_uniformILi72ELi2ELi1EEvPfPK15HIP_vector_typeIfLj2EEiiiiiiS1_IjLj3EES5_S5_,@function
_ZL33flash_attn_stream_k_fixup_uniformILi72ELi2ELi1EEvPfPK15HIP_vector_typeIfLj2EEiiiiiiS1_IjLj3EES5_S5_: ; @_ZL33flash_attn_stream_k_fixup_uniformILi72ELi2ELi1EEvPfPK15HIP_vector_typeIfLj2EEiiiiiiS1_IjLj3EES5_S5_
; %bb.0:
	s_load_b256 s[4:11], s[0:1], 0x1c
	s_bfe_u32 s2, ttmp6, 0x40014
	s_lshr_b32 s3, ttmp7, 16
	s_add_co_i32 s2, s2, 1
	s_bfe_u32 s13, ttmp6, 0x40010
	s_mul_i32 s2, s3, s2
	s_bfe_u32 s12, ttmp6, 0x40008
	s_and_b32 s14, ttmp7, 0xffff
	s_add_co_i32 s13, s13, 1
	s_bfe_u32 s15, ttmp6, 0x4000c
	s_add_co_i32 s2, s12, s2
	s_mul_i32 s12, s14, s13
	s_bfe_u32 s13, ttmp6, 0x40004
	s_add_co_i32 s15, s15, 1
	s_add_co_i32 s13, s13, s12
	s_and_b32 s12, ttmp6, 15
	s_mul_i32 s15, ttmp9, s15
	s_getreg_b32 s20, hwreg(HW_REG_IB_STS2, 6, 4)
	s_add_co_i32 s12, s12, s15
	s_load_b128 s[16:19], s[0:1], 0x3c
	s_cmp_eq_u32 s20, 0
	s_cselect_b32 s12, ttmp9, s12
	s_cselect_b32 s13, s14, s13
	s_wait_kmcnt 0x0
	s_mul_hi_u32 s7, s7, s12
	s_cselect_b32 s14, s3, s2
	s_add_co_i32 s2, s12, s7
	s_delay_alu instid0(SALU_CYCLE_1) | instskip(NEXT) | instid1(SALU_CYCLE_1)
	s_lshr_b32 s7, s2, s8
	s_mul_i32 s2, s7, s9
	s_delay_alu instid0(SALU_CYCLE_1) | instskip(NEXT) | instid1(SALU_CYCLE_1)
	s_sub_co_i32 s8, s12, s2
	s_mul_hi_u32 s2, s8, s10
	s_delay_alu instid0(SALU_CYCLE_1) | instskip(SKIP_2) | instid1(SALU_CYCLE_1)
	s_add_co_i32 s9, s8, s2
	s_load_b64 s[2:3], s[0:1], 0x10
	s_lshr_b32 s15, s9, s11
	s_mul_i32 s9, s15, s16
	s_delay_alu instid0(SALU_CYCLE_1) | instskip(NEXT) | instid1(SALU_CYCLE_1)
	s_sub_co_i32 s8, s8, s9
	s_mul_hi_u32 s9, s8, s17
	s_delay_alu instid0(SALU_CYCLE_1) | instskip(NEXT) | instid1(SALU_CYCLE_1)
	s_add_co_i32 s9, s8, s9
	s_lshr_b32 s17, s9, s18
	s_delay_alu instid0(SALU_CYCLE_1) | instskip(NEXT) | instid1(SALU_CYCLE_1)
	s_mul_i32 s9, s17, s19
	s_sub_co_i32 s16, s8, s9
	s_delay_alu instid0(SALU_CYCLE_1) | instskip(NEXT) | instid1(SALU_CYCLE_1)
	s_lshl_b32 s8, s16, 1
	s_add_co_i32 s8, s8, s13
	s_wait_kmcnt 0x0
	s_cmp_lt_i32 s8, s2
	s_cselect_b32 s8, -1, 0
	s_add_co_i32 s17, s17, s14
	s_delay_alu instid0(SALU_CYCLE_1) | instskip(SKIP_1) | instid1(SALU_CYCLE_1)
	s_cmp_lt_i32 s17, s5
	s_cselect_b32 s9, -1, 0
	s_and_b32 s8, s8, s9
	s_delay_alu instid0(SALU_CYCLE_1)
	s_and_not1_b32 vcc_lo, exec_lo, s8
	s_cbranch_vccnz .LBB69_6
; %bb.1:
	s_load_b128 s[8:11], s[0:1], 0x0
	s_wait_xcnt 0x0
	s_mul_i32 s0, s7, s2
	s_mul_i32 s15, s15, s5
	s_add_co_i32 s0, s0, s13
	s_add_co_i32 s1, s17, s15
	s_mul_i32 s0, s0, s3
	s_mul_i32 s2, s3, s16
	s_add_co_i32 s0, s1, s0
	s_mulk_i32 s2, 0x90
	s_mulk_i32 s0, 0x48
	s_mul_i32 s7, s6, s12
	v_add3_u32 v4, s0, s2, v0
	s_add_co_i32 s5, s7, s6
	s_add_co_i32 s13, s13, s14
	s_lshl_b32 s0, s5, 1
	s_add_co_i32 s2, s5, -2
	s_add_co_i32 s0, s13, s0
	v_ashrrev_i32_e32 v5, 31, v4
	s_add_co_i32 s0, s0, -2
	s_delay_alu instid0(SALU_CYCLE_1)
	s_ashr_i32 s1, s0, 31
	s_wait_kmcnt 0x0
	global_load_b32 v3, v4, s[8:9] scale_offset
	s_lshl_b64 s[0:1], s[0:1], 3
	s_cmp_lt_i32 s2, s7
	s_add_nc_u64 s[0:1], s[10:11], s[0:1]
	s_load_b32 s14, s[0:1], 0x4
	s_cbranch_scc1 .LBB69_4
; %bb.2:
	s_wait_xcnt 0x0
	s_load_b32 s0, s[0:1], 0x0
	s_add_co_i32 s12, s12, 1
	s_lshl_b32 s2, s4, 3
	s_wait_xcnt 0x0
	s_mul_i32 s1, s6, s12
	s_mul_i32 s6, s13, 0x48
	s_lshl_b32 s12, s1, 1
	s_mulk_i32 s1, 0x90
	s_ashr_i32 s3, s2, 31
	s_add_co_i32 s6, s6, s1
	s_add_co_i32 s12, s13, s12
	s_lshl_b32 s1, s4, 1
	v_add3_u32 v0, s6, v0, 0xfffffee0
	s_wait_kmcnt 0x0
	v_mov_b32_e32 v2, s14
	s_lshl_b64 s[2:3], s[2:3], 2
	s_add_co_i32 s4, s12, s1
	s_add_nc_u64 s[2:3], s[10:11], s[2:3]
	s_add_co_i32 s1, s5, -1
	s_add_co_i32 s4, s4, -4
.LBB69_3:                               ; =>This Inner Loop Header: Depth=1
	global_load_b32 v7, v0, s[2:3] scale_offset
	s_ashr_i32 s5, s4, 31
	v_max_num_f32_e64 v1, s0, s0
	s_lshl_b64 s[12:13], s[4:5], 3
	s_delay_alu instid0(SALU_CYCLE_1) | instskip(SKIP_1) | instid1(VALU_DEP_1)
	s_add_nc_u64 s[12:13], s[10:11], s[12:13]
	s_load_b64 s[12:13], s[12:13], 0x0
	v_readfirstlane_b32 s5, v1
	v_add_nc_u32_e32 v0, 0xffffff70, v0
	s_wait_kmcnt 0x0
	v_max_num_f32_e64 v1, s12, s12
	s_delay_alu instid0(VALU_DEP_1) | instskip(SKIP_1) | instid1(SALU_CYCLE_3)
	v_readfirstlane_b32 s6, v1
	s_max_num_f32 s5, s5, s6
	s_sub_f32 s0, s0, s5
	s_sub_f32 s6, s12, s5
	s_delay_alu instid0(SALU_CYCLE_2) | instskip(NEXT) | instid1(SALU_CYCLE_2)
	s_mul_f32 s12, s0, 0x3fb8aa3b
	s_mul_f32 s14, s6, 0x3fb8aa3b
	s_delay_alu instid0(SALU_CYCLE_2)
	s_xor_b32 s15, s12, 0x80000000
	s_rndne_f32 s16, s12
	s_fmamk_f32 s15, s0, 0x3fb8aa3b, s15
	s_cmp_nlt_f32 s0, 0xc2ce8ed0
	s_rndne_f32 s17, s14
	s_sub_f32 s12, s12, s16
	s_fmamk_f32 s15, s0, 0x32a5705f, s15
	s_cselect_b32 vcc_lo, -1, 0
	s_cmp_ngt_f32 s0, 0x42b17218
	s_delay_alu instid0(SALU_CYCLE_1) | instskip(SKIP_2) | instid1(SALU_CYCLE_1)
	s_add_f32 s12, s12, s15
	s_cvt_i32_f32 s15, s16
	s_sub_f32 s16, s14, s17
	v_s_exp_f32 s12, s12
	v_nop
	s_delay_alu instid0(TRANS32_DEP_1) | instskip(SKIP_1) | instid1(VALU_DEP_1)
	v_ldexp_f32 v1, s12, s15
	s_cvt_i32_f32 s12, s17
	v_cndmask_b32_e32 v1, 0, v1, vcc_lo
	s_cselect_b32 vcc_lo, -1, 0
	s_cmp_ge_f32 s0, 0xc1a00000
	s_delay_alu instid0(VALU_DEP_1)
	v_cndmask_b32_e32 v1, 0x7f800000, v1, vcc_lo
	s_cselect_b32 vcc_lo, -1, 0
	s_xor_b32 s0, s14, 0x80000000
	s_cmp_nlt_f32 s6, 0xc2ce8ed0
	s_fmamk_f32 s0, s6, 0x3fb8aa3b, s0
	v_cndmask_b32_e32 v10, 0, v1, vcc_lo
	s_delay_alu instid0(SALU_CYCLE_2) | instskip(NEXT) | instid1(SALU_CYCLE_3)
	s_fmamk_f32 s0, s6, 0x32a5705f, s0
	s_add_f32 s0, s16, s0
	s_delay_alu instid0(SALU_CYCLE_3) | instskip(SKIP_1) | instid1(TRANS32_DEP_1)
	v_s_exp_f32 s0, s0
	v_nop
	v_ldexp_f32 v6, s0, s12
	s_cselect_b32 s0, -1, 0
	s_cmp_ngt_f32 s6, 0x42b17218
	s_delay_alu instid0(VALU_DEP_1) | instskip(SKIP_2) | instid1(VALU_DEP_1)
	v_cndmask_b32_e64 v6, 0, v6, s0
	s_cselect_b32 s0, -1, 0
	s_cmp_ge_f32 s6, 0xc1a00000
	v_cndmask_b32_e64 v8, 0x7f800000, v6, s0
	s_cselect_b32 s0, -1, 0
	v_mov_b32_e32 v6, s13
	s_add_co_i32 s1, s1, -1
	s_add_co_i32 s4, s4, -2
	v_cndmask_b32_e64 v8, 0, v8, s0
	s_cmp_le_i32 s1, s7
	s_mov_b32 s0, s5
	s_wait_loadcnt 0x0
	s_delay_alu instid0(VALU_DEP_1) | instskip(NEXT) | instid1(VALU_DEP_1)
	v_pk_mul_f32 v[6:7], v[6:7], v[8:9] op_sel_hi:[1,0]
	v_pk_fma_f32 v[2:3], v[2:3], v[10:11], v[6:7] op_sel_hi:[1,0,1]
	s_cbranch_scc0 .LBB69_3
	s_branch .LBB69_5
.LBB69_4:
	s_wait_kmcnt 0x0
	v_mov_b32_e32 v2, s14
.LBB69_5:
	v_lshl_add_u64 v[0:1], v[4:5], 2, s[8:9]
	s_wait_loadcnt 0x0
	s_delay_alu instid0(VALU_DEP_2) | instskip(NEXT) | instid1(VALU_DEP_1)
	v_div_scale_f32 v4, null, v2, v2, v3
	v_rcp_f32_e32 v5, v4
	v_nop
	s_delay_alu instid0(TRANS32_DEP_1) | instskip(NEXT) | instid1(VALU_DEP_1)
	v_fma_f32 v6, -v4, v5, 1.0
	v_fmac_f32_e32 v5, v6, v5
	v_div_scale_f32 v6, vcc_lo, v3, v2, v3
	s_delay_alu instid0(VALU_DEP_1) | instskip(NEXT) | instid1(VALU_DEP_1)
	v_mul_f32_e32 v7, v6, v5
	v_fma_f32 v8, -v4, v7, v6
	s_delay_alu instid0(VALU_DEP_1) | instskip(NEXT) | instid1(VALU_DEP_1)
	v_fmac_f32_e32 v7, v8, v5
	v_fma_f32 v4, -v4, v7, v6
	s_delay_alu instid0(VALU_DEP_1) | instskip(NEXT) | instid1(VALU_DEP_1)
	v_div_fmas_f32 v4, v4, v5, v7
	v_div_fixup_f32 v2, v4, v2, v3
	global_store_b32 v[0:1], v2, off
.LBB69_6:
	s_endpgm
	.section	.rodata,"a",@progbits
	.p2align	6, 0x0
	.amdhsa_kernel _ZL33flash_attn_stream_k_fixup_uniformILi72ELi2ELi1EEvPfPK15HIP_vector_typeIfLj2EEiiiiiiS1_IjLj3EES5_S5_
		.amdhsa_group_segment_fixed_size 0
		.amdhsa_private_segment_fixed_size 0
		.amdhsa_kernarg_size 76
		.amdhsa_user_sgpr_count 2
		.amdhsa_user_sgpr_dispatch_ptr 0
		.amdhsa_user_sgpr_queue_ptr 0
		.amdhsa_user_sgpr_kernarg_segment_ptr 1
		.amdhsa_user_sgpr_dispatch_id 0
		.amdhsa_user_sgpr_kernarg_preload_length 0
		.amdhsa_user_sgpr_kernarg_preload_offset 0
		.amdhsa_user_sgpr_private_segment_size 0
		.amdhsa_wavefront_size32 1
		.amdhsa_uses_dynamic_stack 0
		.amdhsa_enable_private_segment 0
		.amdhsa_system_sgpr_workgroup_id_x 1
		.amdhsa_system_sgpr_workgroup_id_y 1
		.amdhsa_system_sgpr_workgroup_id_z 1
		.amdhsa_system_sgpr_workgroup_info 0
		.amdhsa_system_vgpr_workitem_id 0
		.amdhsa_next_free_vgpr 12
		.amdhsa_next_free_sgpr 21
		.amdhsa_named_barrier_count 0
		.amdhsa_reserve_vcc 1
		.amdhsa_float_round_mode_32 0
		.amdhsa_float_round_mode_16_64 0
		.amdhsa_float_denorm_mode_32 3
		.amdhsa_float_denorm_mode_16_64 3
		.amdhsa_fp16_overflow 0
		.amdhsa_memory_ordered 1
		.amdhsa_forward_progress 1
		.amdhsa_inst_pref_size 9
		.amdhsa_round_robin_scheduling 0
		.amdhsa_exception_fp_ieee_invalid_op 0
		.amdhsa_exception_fp_denorm_src 0
		.amdhsa_exception_fp_ieee_div_zero 0
		.amdhsa_exception_fp_ieee_overflow 0
		.amdhsa_exception_fp_ieee_underflow 0
		.amdhsa_exception_fp_ieee_inexact 0
		.amdhsa_exception_int_div_zero 0
	.end_amdhsa_kernel
	.section	.text._ZL33flash_attn_stream_k_fixup_uniformILi72ELi2ELi1EEvPfPK15HIP_vector_typeIfLj2EEiiiiiiS1_IjLj3EES5_S5_,"axG",@progbits,_ZL33flash_attn_stream_k_fixup_uniformILi72ELi2ELi1EEvPfPK15HIP_vector_typeIfLj2EEiiiiiiS1_IjLj3EES5_S5_,comdat
.Lfunc_end69:
	.size	_ZL33flash_attn_stream_k_fixup_uniformILi72ELi2ELi1EEvPfPK15HIP_vector_typeIfLj2EEiiiiiiS1_IjLj3EES5_S5_, .Lfunc_end69-_ZL33flash_attn_stream_k_fixup_uniformILi72ELi2ELi1EEvPfPK15HIP_vector_typeIfLj2EEiiiiiiS1_IjLj3EES5_S5_
                                        ; -- End function
	.set _ZL33flash_attn_stream_k_fixup_uniformILi72ELi2ELi1EEvPfPK15HIP_vector_typeIfLj2EEiiiiiiS1_IjLj3EES5_S5_.num_vgpr, 12
	.set _ZL33flash_attn_stream_k_fixup_uniformILi72ELi2ELi1EEvPfPK15HIP_vector_typeIfLj2EEiiiiiiS1_IjLj3EES5_S5_.num_agpr, 0
	.set _ZL33flash_attn_stream_k_fixup_uniformILi72ELi2ELi1EEvPfPK15HIP_vector_typeIfLj2EEiiiiiiS1_IjLj3EES5_S5_.numbered_sgpr, 21
	.set _ZL33flash_attn_stream_k_fixup_uniformILi72ELi2ELi1EEvPfPK15HIP_vector_typeIfLj2EEiiiiiiS1_IjLj3EES5_S5_.num_named_barrier, 0
	.set _ZL33flash_attn_stream_k_fixup_uniformILi72ELi2ELi1EEvPfPK15HIP_vector_typeIfLj2EEiiiiiiS1_IjLj3EES5_S5_.private_seg_size, 0
	.set _ZL33flash_attn_stream_k_fixup_uniformILi72ELi2ELi1EEvPfPK15HIP_vector_typeIfLj2EEiiiiiiS1_IjLj3EES5_S5_.uses_vcc, 1
	.set _ZL33flash_attn_stream_k_fixup_uniformILi72ELi2ELi1EEvPfPK15HIP_vector_typeIfLj2EEiiiiiiS1_IjLj3EES5_S5_.uses_flat_scratch, 0
	.set _ZL33flash_attn_stream_k_fixup_uniformILi72ELi2ELi1EEvPfPK15HIP_vector_typeIfLj2EEiiiiiiS1_IjLj3EES5_S5_.has_dyn_sized_stack, 0
	.set _ZL33flash_attn_stream_k_fixup_uniformILi72ELi2ELi1EEvPfPK15HIP_vector_typeIfLj2EEiiiiiiS1_IjLj3EES5_S5_.has_recursion, 0
	.set _ZL33flash_attn_stream_k_fixup_uniformILi72ELi2ELi1EEvPfPK15HIP_vector_typeIfLj2EEiiiiiiS1_IjLj3EES5_S5_.has_indirect_call, 0
	.section	.AMDGPU.csdata,"",@progbits
; Kernel info:
; codeLenInByte = 1072
; TotalNumSgprs: 23
; NumVgprs: 12
; ScratchSize: 0
; MemoryBound: 0
; FloatMode: 240
; IeeeMode: 1
; LDSByteSize: 0 bytes/workgroup (compile time only)
; SGPRBlocks: 0
; VGPRBlocks: 0
; NumSGPRsForWavesPerEU: 23
; NumVGPRsForWavesPerEU: 12
; NamedBarCnt: 0
; Occupancy: 16
; WaveLimiterHint : 0
; COMPUTE_PGM_RSRC2:SCRATCH_EN: 0
; COMPUTE_PGM_RSRC2:USER_SGPR: 2
; COMPUTE_PGM_RSRC2:TRAP_HANDLER: 0
; COMPUTE_PGM_RSRC2:TGID_X_EN: 1
; COMPUTE_PGM_RSRC2:TGID_Y_EN: 1
; COMPUTE_PGM_RSRC2:TGID_Z_EN: 1
; COMPUTE_PGM_RSRC2:TIDIG_COMP_CNT: 0
	.section	.text._ZL33flash_attn_stream_k_fixup_generalILi72ELi2ELi1EEvPfPK15HIP_vector_typeIfLj2EEiiiiS1_IjLj3EES5_S5_S5_,"axG",@progbits,_ZL33flash_attn_stream_k_fixup_generalILi72ELi2ELi1EEvPfPK15HIP_vector_typeIfLj2EEiiiiS1_IjLj3EES5_S5_S5_,comdat
	.globl	_ZL33flash_attn_stream_k_fixup_generalILi72ELi2ELi1EEvPfPK15HIP_vector_typeIfLj2EEiiiiS1_IjLj3EES5_S5_S5_ ; -- Begin function _ZL33flash_attn_stream_k_fixup_generalILi72ELi2ELi1EEvPfPK15HIP_vector_typeIfLj2EEiiiiS1_IjLj3EES5_S5_S5_
	.p2align	8
	.type	_ZL33flash_attn_stream_k_fixup_generalILi72ELi2ELi1EEvPfPK15HIP_vector_typeIfLj2EEiiiiS1_IjLj3EES5_S5_S5_,@function
_ZL33flash_attn_stream_k_fixup_generalILi72ELi2ELi1EEvPfPK15HIP_vector_typeIfLj2EEiiiiS1_IjLj3EES5_S5_S5_: ; @_ZL33flash_attn_stream_k_fixup_generalILi72ELi2ELi1EEvPfPK15HIP_vector_typeIfLj2EEiiiiS1_IjLj3EES5_S5_S5_
; %bb.0:
	s_clause 0x1
	s_load_b128 s[4:7], s[0:1], 0x10
	s_load_b32 s16, s[0:1], 0x50
	s_bfe_u32 s2, ttmp6, 0x4000c
	s_and_b32 s3, ttmp6, 15
	s_add_co_i32 s2, s2, 1
	s_getreg_b32 s15, hwreg(HW_REG_IB_STS2, 6, 4)
	s_mul_i32 s2, ttmp9, s2
	s_mov_b32 s17, 0
	s_add_co_i32 s3, s3, s2
	s_cmp_eq_u32 s15, 0
	s_cselect_b32 s2, ttmp9, s3
	s_delay_alu instid0(SALU_CYCLE_1) | instskip(SKIP_3) | instid1(SALU_CYCLE_1)
	s_ashr_i32 s3, s2, 31
	s_wait_kmcnt 0x0
	s_ashr_i32 s19, s7, 31
	s_mov_b32 s18, s7
	s_mul_u64 s[8:9], s[18:19], s[2:3]
	s_delay_alu instid0(SALU_CYCLE_1) | instskip(NEXT) | instid1(SALU_CYCLE_1)
	s_and_b64 s[10:11], s[8:9], 0xffffffff00000000
	s_cmp_lg_u64 s[10:11], 0
	s_cbranch_scc0 .LBB70_21
; %bb.1:
	s_add_nc_u64 s[10:11], s[16:17], 0
	s_mov_b32 s23, s17
	s_xor_b64 s[10:11], s[10:11], 0
	s_mov_b32 s27, s17
	s_cvt_f32_u32 s3, s10
	s_cvt_f32_u32 s7, s11
	s_sub_nc_u64 s[20:21], 0, s[10:11]
	s_delay_alu instid0(SALU_CYCLE_2) | instskip(NEXT) | instid1(SALU_CYCLE_3)
	s_fmamk_f32 s3, s7, 0x4f800000, s3
	v_s_rcp_f32 s3, s3
	s_delay_alu instid0(TRANS32_DEP_1) | instskip(NEXT) | instid1(SALU_CYCLE_3)
	s_mul_f32 s3, s3, 0x5f7ffffc
	s_mul_f32 s7, s3, 0x2f800000
	s_delay_alu instid0(SALU_CYCLE_3) | instskip(NEXT) | instid1(SALU_CYCLE_3)
	s_trunc_f32 s7, s7
	s_fmamk_f32 s3, s7, 0xcf800000, s3
	s_cvt_u32_f32 s13, s7
	s_delay_alu instid0(SALU_CYCLE_2) | instskip(NEXT) | instid1(SALU_CYCLE_3)
	s_cvt_u32_f32 s12, s3
	s_mul_u64 s[24:25], s[20:21], s[12:13]
	s_delay_alu instid0(SALU_CYCLE_1)
	s_mul_hi_u32 s29, s12, s25
	s_mul_i32 s28, s12, s25
	s_mul_hi_u32 s22, s12, s24
	s_mul_i32 s7, s13, s24
	s_add_nc_u64 s[22:23], s[22:23], s[28:29]
	s_mul_hi_u32 s3, s13, s24
	s_mul_hi_u32 s14, s13, s25
	s_add_co_u32 s7, s22, s7
	s_add_co_ci_u32 s26, s23, s3
	s_mul_i32 s24, s13, s25
	s_add_co_ci_u32 s25, s14, 0
	s_delay_alu instid0(SALU_CYCLE_1) | instskip(SKIP_3) | instid1(SALU_CYCLE_1)
	s_add_nc_u64 s[22:23], s[26:27], s[24:25]
	s_mov_b32 s25, s17
	s_add_co_u32 s12, s12, s22
	s_cselect_b32 s3, -1, 0
	s_cmp_lg_u32 s3, 0
	s_add_co_ci_u32 s13, s13, s23
	s_mov_b32 s23, s17
	s_mul_u64 s[20:21], s[20:21], s[12:13]
	s_delay_alu instid0(SALU_CYCLE_1)
	s_mul_hi_u32 s27, s12, s21
	s_mul_i32 s26, s12, s21
	s_mul_hi_u32 s22, s12, s20
	s_mul_i32 s7, s13, s20
	s_add_nc_u64 s[22:23], s[22:23], s[26:27]
	s_mul_hi_u32 s3, s13, s20
	s_mul_hi_u32 s14, s13, s21
	s_add_co_u32 s7, s22, s7
	s_add_co_ci_u32 s24, s23, s3
	s_mul_i32 s20, s13, s21
	s_add_co_ci_u32 s21, s14, 0
	s_mov_b32 s23, s17
	s_add_nc_u64 s[20:21], s[24:25], s[20:21]
	s_delay_alu instid0(SALU_CYCLE_1) | instskip(SKIP_1) | instid1(SALU_CYCLE_1)
	s_add_co_u32 s3, s12, s20
	s_cselect_b32 s7, -1, 0
	s_cmp_lg_u32 s7, 0
	s_add_co_ci_u32 s7, s13, s21
	s_ashr_i32 s12, s9, 31
	s_delay_alu instid0(SALU_CYCLE_1) | instskip(NEXT) | instid1(SALU_CYCLE_1)
	s_mov_b32 s13, s12
	s_add_nc_u64 s[20:21], s[8:9], s[12:13]
	s_delay_alu instid0(SALU_CYCLE_1) | instskip(NEXT) | instid1(SALU_CYCLE_1)
	s_xor_b64 s[20:21], s[20:21], s[12:13]
	s_mul_hi_u32 s27, s20, s7
	s_mul_i32 s26, s20, s7
	s_mul_hi_u32 s22, s20, s3
	s_mul_hi_u32 s14, s21, s3
	s_mul_i32 s3, s21, s3
	s_add_nc_u64 s[22:23], s[22:23], s[26:27]
	s_mul_hi_u32 s9, s21, s7
	s_add_co_u32 s3, s22, s3
	s_add_co_ci_u32 s24, s23, s14
	s_mul_i32 s26, s21, s7
	s_add_co_ci_u32 s27, s9, 0
	s_delay_alu instid0(SALU_CYCLE_1) | instskip(NEXT) | instid1(SALU_CYCLE_1)
	s_add_nc_u64 s[22:23], s[24:25], s[26:27]
	s_and_b64 s[24:25], s[22:23], 0xffffffff00000000
	s_delay_alu instid0(SALU_CYCLE_1) | instskip(NEXT) | instid1(SALU_CYCLE_1)
	s_or_b32 s24, s24, s22
	s_mul_u64 s[22:23], s[10:11], s[24:25]
	s_add_nc_u64 s[26:27], s[24:25], 1
	s_sub_co_u32 s3, s20, s22
	s_cselect_b32 s7, -1, 0
	s_sub_co_i32 s9, s21, s23
	s_cmp_lg_u32 s7, 0
	s_add_nc_u64 s[28:29], s[24:25], 2
	s_sub_co_ci_u32 s9, s9, s11
	s_sub_co_u32 s14, s3, s10
	s_cselect_b32 s20, -1, 0
	s_delay_alu instid0(SALU_CYCLE_1) | instskip(SKIP_1) | instid1(SALU_CYCLE_1)
	s_cmp_lg_u32 s20, 0
	s_sub_co_ci_u32 s9, s9, 0
	s_cmp_ge_u32 s9, s11
	s_cselect_b32 s20, -1, 0
	s_cmp_ge_u32 s14, s10
	s_cselect_b32 s14, -1, 0
	s_cmp_eq_u32 s9, s11
	s_cselect_b32 s9, s14, s20
	s_delay_alu instid0(SALU_CYCLE_1) | instskip(SKIP_4) | instid1(SALU_CYCLE_1)
	s_cmp_lg_u32 s9, 0
	s_cselect_b32 s9, s28, s26
	s_cselect_b32 s14, s29, s27
	s_cmp_lg_u32 s7, 0
	s_sub_co_ci_u32 s7, s21, s23
	s_cmp_ge_u32 s7, s11
	s_cselect_b32 s20, -1, 0
	s_cmp_ge_u32 s3, s10
	s_cselect_b32 s3, -1, 0
	s_cmp_eq_u32 s7, s11
	s_cselect_b32 s3, s3, s20
	s_delay_alu instid0(SALU_CYCLE_1) | instskip(SKIP_4) | instid1(SALU_CYCLE_1)
	s_cmp_lg_u32 s3, 0
	s_mov_b32 s3, s17
	s_cselect_b32 s11, s14, s25
	s_cselect_b32 s10, s9, s24
	s_xor_b64 s[12:13], s[12:13], 0
	s_xor_b64 s[10:11], s[10:11], s[12:13]
	s_delay_alu instid0(SALU_CYCLE_1)
	s_sub_nc_u64 s[20:21], s[10:11], s[12:13]
	s_and_not1_b32 vcc_lo, exec_lo, s3
	s_cbranch_vccnz .LBB70_3
.LBB70_2:
	v_cvt_f32_u32_e32 v1, s16
	s_sub_co_i32 s7, 0, s16
	s_mov_b32 s21, 0
	s_delay_alu instid0(VALU_DEP_1) | instskip(SKIP_1) | instid1(TRANS32_DEP_1)
	v_rcp_iflag_f32_e32 v1, v1
	v_nop
	v_mul_f32_e32 v1, 0x4f7ffffe, v1
	s_delay_alu instid0(VALU_DEP_1) | instskip(NEXT) | instid1(VALU_DEP_1)
	v_cvt_u32_f32_e32 v1, v1
	v_readfirstlane_b32 s3, v1
	s_mul_i32 s7, s7, s3
	s_delay_alu instid0(SALU_CYCLE_1) | instskip(NEXT) | instid1(SALU_CYCLE_1)
	s_mul_hi_u32 s7, s3, s7
	s_add_co_i32 s3, s3, s7
	s_delay_alu instid0(SALU_CYCLE_1) | instskip(NEXT) | instid1(SALU_CYCLE_1)
	s_mul_hi_u32 s3, s8, s3
	s_mul_i32 s7, s3, s16
	s_delay_alu instid0(SALU_CYCLE_1)
	s_sub_co_i32 s7, s8, s7
	s_add_co_i32 s8, s3, 1
	s_sub_co_i32 s9, s7, s16
	s_cmp_ge_u32 s7, s16
	s_cselect_b32 s3, s8, s3
	s_cselect_b32 s7, s9, s7
	s_add_co_i32 s8, s3, 1
	s_cmp_ge_u32 s7, s16
	s_cselect_b32 s20, s8, s3
.LBB70_3:
	s_add_co_i32 s8, s2, 1
	s_delay_alu instid0(SALU_CYCLE_1) | instskip(NEXT) | instid1(SALU_CYCLE_1)
	s_ashr_i32 s9, s8, 31
	s_mul_u64 s[8:9], s[18:19], s[8:9]
	s_delay_alu instid0(SALU_CYCLE_1) | instskip(NEXT) | instid1(SALU_CYCLE_1)
	s_and_b64 s[10:11], s[8:9], 0xffffffff00000000
	s_cmp_lg_u64 s[10:11], 0
	s_cbranch_scc0 .LBB70_22
; %bb.4:
	s_add_nc_u64 s[10:11], s[16:17], 0
	s_delay_alu instid0(SALU_CYCLE_1) | instskip(SKIP_4) | instid1(SALU_CYCLE_2)
	s_xor_b64 s[12:13], s[10:11], 0
	s_mov_b32 s11, 0
	s_cvt_f32_u32 s3, s12
	s_cvt_f32_u32 s7, s13
	s_sub_nc_u64 s[24:25], 0, s[12:13]
	s_fmamk_f32 s3, s7, 0x4f800000, s3
	s_delay_alu instid0(SALU_CYCLE_3) | instskip(NEXT) | instid1(TRANS32_DEP_1)
	v_s_rcp_f32 s3, s3
	s_mul_f32 s3, s3, 0x5f7ffffc
	s_delay_alu instid0(SALU_CYCLE_3) | instskip(NEXT) | instid1(SALU_CYCLE_3)
	s_mul_f32 s7, s3, 0x2f800000
	s_trunc_f32 s7, s7
	s_delay_alu instid0(SALU_CYCLE_3) | instskip(SKIP_1) | instid1(SALU_CYCLE_2)
	s_fmamk_f32 s3, s7, 0xcf800000, s3
	s_cvt_u32_f32 s23, s7
	s_cvt_u32_f32 s22, s3
	s_delay_alu instid0(SALU_CYCLE_3) | instskip(NEXT) | instid1(SALU_CYCLE_1)
	s_mul_u64 s[26:27], s[24:25], s[22:23]
	s_mul_hi_u32 s29, s22, s27
	s_mul_i32 s28, s22, s27
	s_mul_hi_u32 s10, s22, s26
	s_mul_i32 s7, s23, s26
	s_add_nc_u64 s[28:29], s[10:11], s[28:29]
	s_mul_hi_u32 s3, s23, s26
	s_mul_hi_u32 s14, s23, s27
	s_add_co_u32 s7, s28, s7
	s_add_co_ci_u32 s10, s29, s3
	s_mul_i32 s26, s23, s27
	s_add_co_ci_u32 s27, s14, 0
	s_delay_alu instid0(SALU_CYCLE_1) | instskip(NEXT) | instid1(SALU_CYCLE_1)
	s_add_nc_u64 s[26:27], s[10:11], s[26:27]
	s_add_co_u32 s22, s22, s26
	s_cselect_b32 s3, -1, 0
	s_delay_alu instid0(SALU_CYCLE_1) | instskip(SKIP_1) | instid1(SALU_CYCLE_1)
	s_cmp_lg_u32 s3, 0
	s_add_co_ci_u32 s23, s23, s27
	s_mul_u64 s[24:25], s[24:25], s[22:23]
	s_delay_alu instid0(SALU_CYCLE_1)
	s_mul_hi_u32 s27, s22, s25
	s_mul_i32 s26, s22, s25
	s_mul_hi_u32 s10, s22, s24
	s_mul_i32 s7, s23, s24
	s_add_nc_u64 s[26:27], s[10:11], s[26:27]
	s_mul_hi_u32 s3, s23, s24
	s_mul_hi_u32 s14, s23, s25
	s_add_co_u32 s7, s26, s7
	s_add_co_ci_u32 s10, s27, s3
	s_mul_i32 s24, s23, s25
	s_add_co_ci_u32 s25, s14, 0
	s_delay_alu instid0(SALU_CYCLE_1) | instskip(NEXT) | instid1(SALU_CYCLE_1)
	s_add_nc_u64 s[24:25], s[10:11], s[24:25]
	s_add_co_u32 s3, s22, s24
	s_cselect_b32 s7, -1, 0
	s_delay_alu instid0(SALU_CYCLE_1) | instskip(SKIP_2) | instid1(SALU_CYCLE_1)
	s_cmp_lg_u32 s7, 0
	s_add_co_ci_u32 s7, s23, s25
	s_ashr_i32 s22, s9, 31
	s_mov_b32 s23, s22
	s_delay_alu instid0(SALU_CYCLE_1) | instskip(NEXT) | instid1(SALU_CYCLE_1)
	s_add_nc_u64 s[24:25], s[8:9], s[22:23]
	s_xor_b64 s[24:25], s[24:25], s[22:23]
	s_delay_alu instid0(SALU_CYCLE_1)
	s_mul_hi_u32 s27, s24, s7
	s_mul_i32 s26, s24, s7
	s_mul_hi_u32 s10, s24, s3
	s_mul_hi_u32 s14, s25, s3
	s_mul_i32 s3, s25, s3
	s_add_nc_u64 s[26:27], s[10:11], s[26:27]
	s_mul_hi_u32 s9, s25, s7
	s_add_co_u32 s3, s26, s3
	s_add_co_ci_u32 s10, s27, s14
	s_mul_i32 s28, s25, s7
	s_add_co_ci_u32 s29, s9, 0
	s_delay_alu instid0(SALU_CYCLE_1) | instskip(NEXT) | instid1(SALU_CYCLE_1)
	s_add_nc_u64 s[26:27], s[10:11], s[28:29]
	s_and_b64 s[28:29], s[26:27], 0xffffffff00000000
	s_delay_alu instid0(SALU_CYCLE_1) | instskip(NEXT) | instid1(SALU_CYCLE_1)
	s_or_b32 s28, s28, s26
	s_mul_u64 s[26:27], s[12:13], s[28:29]
	s_add_nc_u64 s[30:31], s[28:29], 1
	s_sub_co_u32 s3, s24, s26
	s_cselect_b32 s7, -1, 0
	s_sub_co_i32 s9, s25, s27
	s_cmp_lg_u32 s7, 0
	s_add_nc_u64 s[34:35], s[28:29], 2
	s_sub_co_ci_u32 s9, s9, s13
	s_sub_co_u32 s10, s3, s12
	s_cselect_b32 s14, -1, 0
	s_delay_alu instid0(SALU_CYCLE_1) | instskip(SKIP_1) | instid1(SALU_CYCLE_1)
	s_cmp_lg_u32 s14, 0
	s_sub_co_ci_u32 s9, s9, 0
	s_cmp_ge_u32 s9, s13
	s_cselect_b32 s14, -1, 0
	s_cmp_ge_u32 s10, s12
	s_cselect_b32 s10, -1, 0
	s_cmp_eq_u32 s9, s13
	s_cselect_b32 s9, s10, s14
	s_delay_alu instid0(SALU_CYCLE_1) | instskip(SKIP_4) | instid1(SALU_CYCLE_1)
	s_cmp_lg_u32 s9, 0
	s_cselect_b32 s9, s34, s30
	s_cselect_b32 s10, s35, s31
	s_cmp_lg_u32 s7, 0
	s_sub_co_ci_u32 s7, s25, s27
	s_cmp_ge_u32 s7, s13
	s_cselect_b32 s14, -1, 0
	s_cmp_ge_u32 s3, s12
	s_cselect_b32 s3, -1, 0
	s_cmp_eq_u32 s7, s13
	s_cselect_b32 s3, s3, s14
	s_delay_alu instid0(SALU_CYCLE_1) | instskip(SKIP_3) | instid1(SALU_CYCLE_1)
	s_cmp_lg_u32 s3, 0
	s_cselect_b32 s13, s10, s29
	s_cselect_b32 s12, s9, s28
	s_xor_b64 s[22:23], s[22:23], 0
	s_xor_b64 s[12:13], s[12:13], s[22:23]
	s_delay_alu instid0(SALU_CYCLE_1)
	s_sub_nc_u64 s[24:25], s[12:13], s[22:23]
	s_load_b96 s[12:14], s[0:1], 0x44
	s_cbranch_execnz .LBB70_6
.LBB70_5:
	v_cvt_f32_u32_e32 v1, s16
	s_sub_co_i32 s7, 0, s16
	s_delay_alu instid0(VALU_DEP_1) | instskip(SKIP_1) | instid1(TRANS32_DEP_1)
	v_rcp_iflag_f32_e32 v1, v1
	v_nop
	v_mul_f32_e32 v1, 0x4f7ffffe, v1
	s_delay_alu instid0(VALU_DEP_1) | instskip(NEXT) | instid1(VALU_DEP_1)
	v_cvt_u32_f32_e32 v1, v1
	v_readfirstlane_b32 s3, v1
	s_mul_i32 s7, s7, s3
	s_delay_alu instid0(SALU_CYCLE_1) | instskip(NEXT) | instid1(SALU_CYCLE_1)
	s_mul_hi_u32 s7, s3, s7
	s_add_co_i32 s3, s3, s7
	s_delay_alu instid0(SALU_CYCLE_1) | instskip(NEXT) | instid1(SALU_CYCLE_1)
	s_mul_hi_u32 s3, s8, s3
	s_mul_i32 s7, s3, s16
	s_delay_alu instid0(SALU_CYCLE_1)
	s_sub_co_i32 s7, s8, s7
	s_add_co_i32 s8, s3, 1
	s_sub_co_i32 s9, s7, s16
	s_cmp_ge_u32 s7, s16
	s_cselect_b32 s3, s8, s3
	s_cselect_b32 s7, s9, s7
	s_add_co_i32 s8, s3, 1
	s_cmp_ge_u32 s7, s16
	s_cselect_b32 s24, s8, s3
.LBB70_6:
	s_delay_alu instid0(SALU_CYCLE_1)
	s_cmp_eq_u32 s20, s24
	s_mov_b64 s[8:9], 0xffffffff
	s_cselect_b32 s3, -1, 0
	s_and_b64 s[8:9], s[20:21], s[8:9]
	s_mov_b32 s23, 0
	s_wait_kmcnt 0x0
	s_mov_b32 s22, s12
	s_mov_b32 s25, s23
	s_mul_u64 s[10:11], s[8:9], s[22:23]
	s_delay_alu instid0(SALU_CYCLE_1) | instskip(SKIP_2) | instid1(SALU_CYCLE_1)
	s_add_co_i32 s7, s11, s20
	s_mul_u64 s[10:11], s[24:25], s[22:23]
	s_lshr_b32 s12, s7, s13
	s_mul_i32 s7, s12, s14
	s_delay_alu instid0(SALU_CYCLE_1) | instskip(SKIP_2) | instid1(SALU_CYCLE_1)
	s_cmp_eq_u32 s7, s20
	s_cselect_b32 s7, -1, 0
	s_add_co_i32 s10, s11, s24
	s_lshr_b32 s10, s10, s13
	s_delay_alu instid0(SALU_CYCLE_1)
	s_cmp_eq_u32 s12, s10
	s_mul_i32 s10, s10, s14
	s_cselect_b32 s11, -1, 0
	s_cmp_lg_u32 s10, s24
	s_cselect_b32 s10, -1, 0
	s_or_b32 s3, s3, s7
	s_and_b32 s10, s11, s10
	s_delay_alu instid0(SALU_CYCLE_1) | instskip(NEXT) | instid1(SALU_CYCLE_1)
	s_or_b32 s3, s3, s10
	s_and_b32 vcc_lo, exec_lo, s3
	s_cbranch_vccnz .LBB70_24
; %bb.7:
	s_load_b256 s[24:31], s[0:1], 0x20
	s_bfe_u32 s7, ttmp6, 0x40014
	s_bfe_u32 s33, ttmp6, 0x40010
	s_lshr_b32 s3, ttmp7, 16
	s_add_co_i32 s7, s7, 1
	s_and_b32 s21, ttmp7, 0xffff
	s_add_co_i32 s33, s33, 1
	s_bfe_u32 s10, ttmp6, 0x40008
	s_mul_i32 s7, s3, s7
	s_bfe_u32 s34, ttmp6, 0x40004
	s_mul_i32 s33, s21, s33
	s_mov_b32 s11, s23
	s_add_co_i32 s7, s10, s7
	s_add_co_i32 s34, s34, s33
	s_cmp_eq_u32 s15, 0
	s_cselect_b32 s15, s21, s34
	s_cselect_b32 s3, s3, s7
	s_wait_kmcnt 0x0
	s_mov_b32 s10, s24
	s_delay_alu instid0(SALU_CYCLE_1) | instskip(SKIP_2) | instid1(SALU_CYCLE_1)
	s_mul_u64 s[8:9], s[8:9], s[10:11]
	s_load_b32 s8, s[0:1], 0x40
	s_add_co_i32 s7, s9, s20
	s_lshr_b32 s7, s7, s25
	s_delay_alu instid0(SALU_CYCLE_1) | instskip(NEXT) | instid1(SALU_CYCLE_1)
	s_mul_i32 s9, s7, s26
	s_sub_co_i32 s9, s20, s9
	s_delay_alu instid0(SALU_CYCLE_1) | instskip(NEXT) | instid1(SALU_CYCLE_1)
	s_mul_hi_u32 s10, s9, s27
	s_add_co_i32 s10, s9, s10
	s_delay_alu instid0(SALU_CYCLE_1) | instskip(NEXT) | instid1(SALU_CYCLE_1)
	s_lshr_b32 s21, s10, s28
	s_mul_i32 s10, s21, s29
	s_delay_alu instid0(SALU_CYCLE_1) | instskip(NEXT) | instid1(SALU_CYCLE_1)
	s_sub_co_i32 s10, s9, s10
	s_mul_hi_u32 s9, s10, s30
	s_delay_alu instid0(SALU_CYCLE_1) | instskip(NEXT) | instid1(SALU_CYCLE_1)
	s_add_co_i32 s9, s10, s9
	s_lshr_b32 s25, s9, s31
	s_mov_b32 s9, s23
	s_wait_kmcnt 0x0
	s_mul_i32 s8, s25, s8
	s_delay_alu instid0(SALU_CYCLE_1) | instskip(NEXT) | instid1(SALU_CYCLE_1)
	s_sub_co_i32 s8, s10, s8
	s_mul_u64 s[10:11], s[8:9], s[22:23]
	s_delay_alu instid0(SALU_CYCLE_1) | instskip(NEXT) | instid1(SALU_CYCLE_1)
	s_add_co_i32 s8, s8, s11
	s_lshr_b32 s24, s8, s13
	s_delay_alu instid0(SALU_CYCLE_1) | instskip(NEXT) | instid1(SALU_CYCLE_1)
	s_lshl_b32 s8, s24, 1
	s_add_co_i32 s8, s8, s15
	s_delay_alu instid0(SALU_CYCLE_1) | instskip(SKIP_2) | instid1(SALU_CYCLE_1)
	s_cmp_lt_i32 s8, s4
	s_cselect_b32 s8, -1, 0
	s_add_co_i32 s25, s25, s3
	s_cmp_lt_i32 s25, s6
	s_cselect_b32 s9, -1, 0
	s_delay_alu instid0(SALU_CYCLE_1) | instskip(NEXT) | instid1(SALU_CYCLE_1)
	s_and_b32 s8, s8, s9
	s_and_not1_b32 vcc_lo, exec_lo, s8
	s_cbranch_vccnz .LBB70_24
; %bb.8:
	s_load_b128 s[8:11], s[0:1], 0x0
	s_wait_xcnt 0x0
	s_mul_i32 s0, s7, s4
	s_mul_i32 s21, s21, s6
	s_add_co_i32 s0, s0, s15
	s_add_co_i32 s1, s25, s21
	s_mul_i32 s0, s0, s5
	s_mul_i32 s4, s5, s24
	s_add_co_i32 s0, s1, s0
	s_mulk_i32 s4, 0x90
	s_mulk_i32 s0, 0x48
	s_add_co_i32 s15, s15, s3
	v_add3_u32 v2, s4, s0, v0
	s_add_nc_u64 s[0:1], s[16:17], 0
	v_cvt_f32_u32_e32 v4, s16
	s_xor_b64 s[6:7], s[0:1], 0
	s_lshl_b32 s0, s2, 1
	s_cvt_f32_u32 s3, s6
	s_cvt_f32_u32 s4, s7
	s_add_co_i32 s0, s0, s15
	v_rcp_iflag_f32_e32 v4, v4
	s_wait_kmcnt 0x0
	global_load_b32 v1, v2, s[8:9] scale_offset
	s_fmamk_f32 s3, s4, 0x4f800000, s3
	s_ashr_i32 s1, s0, 31
	s_lshl_b32 s24, s16, 3
	s_lshl_b64 s[0:1], s[0:1], 3
	v_s_rcp_f32 s3, s3
	s_add_nc_u64 s[0:1], s[10:11], s[0:1]
	s_mov_b32 s25, 0
	s_load_b64 s[28:29], s[0:1], 0x0
	v_mad_u32 v6, 0x48, s15, v0
	v_dual_mul_f32 v4, 0x4f7ffffe, v4 :: v_dual_ashrrev_i32 v3, 31, v2
	s_wait_xcnt 0x0
	s_lshl_b64 s[0:1], s[24:25], 2
	s_mul_f32 s3, s3, 0x5f7ffffc
	s_add_nc_u64 s[26:27], s[10:11], s[0:1]
	v_lshl_add_u64 v[2:3], v[2:3], 2, s[8:9]
	v_cvt_u32_f32_e32 v7, v4
	s_mul_f32 s4, s3, 0x2f800000
	s_mov_b64 s[8:9], 0xffffffff
	s_add_co_i32 s36, s2, -1
	s_sub_nc_u64 s[34:35], 0, s[6:7]
	s_trunc_f32 s4, s4
	s_delay_alu instid0(SALU_CYCLE_3)
	s_fmamk_f32 s0, s4, 0xcf800000, s3
	s_cvt_u32_f32 s31, s4
	s_wait_kmcnt 0x0
	v_mov_b32_e32 v0, s29
	s_cvt_u32_f32 s30, s0
.LBB70_9:                               ; =>This Inner Loop Header: Depth=1
	s_ashr_i32 s37, s36, 31
                                        ; implicit-def: $sgpr40_sgpr41
	s_delay_alu instid0(SALU_CYCLE_1) | instskip(NEXT) | instid1(SALU_CYCLE_1)
	s_mul_u64 s[0:1], s[36:37], s[18:19]
	s_and_b64 s[2:3], s[0:1], 0xffffffff00000000
	s_delay_alu instid0(SALU_CYCLE_1)
	s_cmp_lg_u64 s[2:3], 0
	s_mov_b32 s2, -1
	s_cbranch_scc0 .LBB70_11
; %bb.10:                               ;   in Loop: Header=BB70_9 Depth=1
	s_mul_u64 s[2:3], s[34:35], s[30:31]
	s_delay_alu instid0(SALU_CYCLE_1)
	s_mul_hi_u32 s5, s30, s3
	s_mul_i32 s4, s30, s3
	s_mul_hi_u32 s24, s30, s2
	s_mul_hi_u32 s17, s31, s2
	s_add_nc_u64 s[4:5], s[24:25], s[4:5]
	s_mul_i32 s2, s31, s2
	s_mul_hi_u32 s21, s31, s3
	s_add_co_u32 s2, s4, s2
	s_add_co_ci_u32 s24, s5, s17
	s_add_co_ci_u32 s5, s21, 0
	s_mul_i32 s4, s31, s3
	s_delay_alu instid0(SALU_CYCLE_1) | instskip(NEXT) | instid1(SALU_CYCLE_1)
	s_add_nc_u64 s[2:3], s[24:25], s[4:5]
	s_add_co_u32 s2, s30, s2
	s_cselect_b32 s4, -1, 0
	s_delay_alu instid0(SALU_CYCLE_1) | instskip(SKIP_1) | instid1(SALU_CYCLE_1)
	s_cmp_lg_u32 s4, 0
	s_add_co_ci_u32 s3, s31, s3
	s_mul_u64 s[4:5], s[34:35], s[2:3]
	s_delay_alu instid0(SALU_CYCLE_1)
	s_mul_hi_u32 s39, s2, s5
	s_mul_i32 s38, s2, s5
	s_mul_hi_u32 s24, s2, s4
	s_mul_hi_u32 s17, s3, s4
	s_mul_i32 s4, s3, s4
	s_add_nc_u64 s[38:39], s[24:25], s[38:39]
	s_mul_hi_u32 s21, s3, s5
	s_add_co_u32 s4, s38, s4
	s_add_co_ci_u32 s24, s39, s17
	s_mul_i32 s4, s3, s5
	s_add_co_ci_u32 s5, s21, 0
	s_delay_alu instid0(SALU_CYCLE_1) | instskip(NEXT) | instid1(SALU_CYCLE_1)
	s_add_nc_u64 s[4:5], s[24:25], s[4:5]
	s_add_co_u32 s17, s2, s4
	s_cselect_b32 s2, -1, 0
	s_delay_alu instid0(SALU_CYCLE_1) | instskip(SKIP_2) | instid1(SALU_CYCLE_1)
	s_cmp_lg_u32 s2, 0
	s_add_co_ci_u32 s21, s3, s5
	s_ashr_i32 s2, s1, 31
	s_mov_b32 s3, s2
	s_delay_alu instid0(SALU_CYCLE_1) | instskip(NEXT) | instid1(SALU_CYCLE_1)
	s_add_nc_u64 s[4:5], s[0:1], s[2:3]
	s_xor_b64 s[4:5], s[4:5], s[2:3]
	s_delay_alu instid0(SALU_CYCLE_1)
	s_mul_hi_u32 s39, s4, s21
	s_mul_i32 s38, s4, s21
	s_mul_hi_u32 s24, s4, s17
	s_mul_hi_u32 s29, s5, s17
	s_mul_i32 s17, s5, s17
	s_add_nc_u64 s[38:39], s[24:25], s[38:39]
	s_mul_hi_u32 s1, s5, s21
	s_add_co_u32 s17, s38, s17
	s_add_co_ci_u32 s24, s39, s29
	s_mul_i32 s40, s5, s21
	s_add_co_ci_u32 s41, s1, 0
	s_delay_alu instid0(SALU_CYCLE_1) | instskip(NEXT) | instid1(SALU_CYCLE_1)
	s_add_nc_u64 s[38:39], s[24:25], s[40:41]
	s_and_b64 s[40:41], s[38:39], 0xffffffff00000000
	s_delay_alu instid0(SALU_CYCLE_1) | instskip(NEXT) | instid1(SALU_CYCLE_1)
	s_or_b32 s40, s40, s38
	s_mul_u64 s[38:39], s[6:7], s[40:41]
	s_add_nc_u64 s[42:43], s[40:41], 1
	s_sub_co_u32 s1, s4, s38
	s_cselect_b32 s4, -1, 0
	s_sub_co_i32 s17, s5, s39
	s_cmp_lg_u32 s4, 0
	s_add_nc_u64 s[44:45], s[40:41], 2
	s_sub_co_ci_u32 s17, s17, s7
	s_sub_co_u32 s21, s1, s6
	s_cselect_b32 s24, -1, 0
	s_delay_alu instid0(SALU_CYCLE_1) | instskip(SKIP_1) | instid1(SALU_CYCLE_1)
	s_cmp_lg_u32 s24, 0
	s_sub_co_ci_u32 s17, s17, 0
	s_cmp_ge_u32 s17, s7
	s_cselect_b32 s24, -1, 0
	s_cmp_ge_u32 s21, s6
	s_cselect_b32 s21, -1, 0
	s_cmp_eq_u32 s17, s7
	s_cselect_b32 s17, s21, s24
	s_delay_alu instid0(SALU_CYCLE_1) | instskip(SKIP_4) | instid1(SALU_CYCLE_1)
	s_cmp_lg_u32 s17, 0
	s_cselect_b32 s17, s44, s42
	s_cselect_b32 s21, s45, s43
	s_cmp_lg_u32 s4, 0
	s_sub_co_ci_u32 s4, s5, s39
	s_cmp_ge_u32 s4, s7
	s_cselect_b32 s5, -1, 0
	s_cmp_ge_u32 s1, s6
	s_cselect_b32 s1, -1, 0
	s_cmp_eq_u32 s4, s7
	s_cselect_b32 s1, s1, s5
	s_delay_alu instid0(SALU_CYCLE_1) | instskip(SKIP_3) | instid1(SALU_CYCLE_1)
	s_cmp_lg_u32 s1, 0
	s_cselect_b32 s5, s21, s41
	s_cselect_b32 s4, s17, s40
	s_xor_b64 s[2:3], s[2:3], 0
	s_xor_b64 s[4:5], s[4:5], s[2:3]
	s_delay_alu instid0(SALU_CYCLE_1)
	s_sub_nc_u64 s[40:41], s[4:5], s[2:3]
	s_mov_b32 s2, 0
.LBB70_11:                              ;   in Loop: Header=BB70_9 Depth=1
	s_delay_alu instid0(SALU_CYCLE_1)
	s_and_not1_b32 vcc_lo, exec_lo, s2
	s_cbranch_vccnz .LBB70_13
; %bb.12:                               ;   in Loop: Header=BB70_9 Depth=1
	v_readfirstlane_b32 s1, v7
	s_sub_co_i32 s2, 0, s16
	s_delay_alu instid0(SALU_CYCLE_1) | instskip(NEXT) | instid1(SALU_CYCLE_1)
	s_mul_i32 s2, s2, s1
	s_mul_hi_u32 s2, s1, s2
	s_delay_alu instid0(SALU_CYCLE_1) | instskip(NEXT) | instid1(SALU_CYCLE_1)
	s_add_co_i32 s1, s1, s2
	s_mul_hi_u32 s1, s0, s1
	s_delay_alu instid0(SALU_CYCLE_1) | instskip(NEXT) | instid1(SALU_CYCLE_1)
	s_mul_i32 s2, s1, s16
	s_sub_co_i32 s0, s0, s2
	s_add_co_i32 s2, s1, 1
	s_sub_co_i32 s3, s0, s16
	s_cmp_ge_u32 s0, s16
	s_cselect_b32 s1, s2, s1
	s_cselect_b32 s0, s3, s0
	s_add_co_i32 s2, s1, 1
	s_cmp_ge_u32 s0, s16
	s_cselect_b32 s24, s2, s1
	s_delay_alu instid0(SALU_CYCLE_1)
	s_mov_b64 s[40:41], s[24:25]
.LBB70_13:                              ;   in Loop: Header=BB70_9 Depth=1
	s_delay_alu instid0(SALU_CYCLE_1)
	s_cmp_lg_u32 s20, s40
	s_mov_b32 s0, -1
                                        ; implicit-def: $vgpr4_vgpr5
                                        ; implicit-def: $sgpr24
                                        ; implicit-def: $sgpr17
                                        ; implicit-def: $sgpr21
                                        ; implicit-def: $sgpr29
	s_cbranch_scc0 .LBB70_18
; %bb.14:                               ;   in Loop: Header=BB70_9 Depth=1
	s_add_co_i32 s0, s36, s16
	v_max_num_f32_e64 v4, s28, s28
	s_lshl_b32 s0, s0, 1
	s_mov_b32 s29, s20
	s_add_co_i32 s0, s0, s15
	s_load_b64 s[38:39], s[10:11], s0 offset:0x0 scale_offset
	s_wait_xcnt 0x0
	v_readfirstlane_b32 s0, v4
	s_wait_kmcnt 0x0
	v_max_num_f32_e64 v5, s38, s38
	s_delay_alu instid0(VALU_DEP_1) | instskip(SKIP_1) | instid1(SALU_CYCLE_3)
	v_readfirstlane_b32 s1, v5
	s_max_num_f32 s17, s0, s1
	s_sub_f32 s33, s28, s17
	s_sub_f32 s37, s38, s17
	s_delay_alu instid0(SALU_CYCLE_2)
	s_cmp_nlt_f32 s33, 0xc2ce8ed0
	s_cselect_b32 s1, -1, 0
	s_cmp_ngt_f32 s33, 0x42b17218
	s_cselect_b32 s2, -1, 0
	s_cmp_ge_f32 s33, 0xc1a00000
	s_cselect_b32 s0, -1, 0
	s_cmp_nlt_f32 s37, 0xc2ce8ed0
	s_cselect_b32 s3, -1, 0
	s_cmp_ngt_f32 s37, 0x42b17218
	s_cselect_b32 s4, -1, 0
	s_cmp_ge_f32 s37, 0xc1a00000
	s_cselect_b32 s5, -1, 0
	s_and_b64 s[42:43], s[40:41], s[8:9]
	s_delay_alu instid0(SALU_CYCLE_1) | instskip(NEXT) | instid1(SALU_CYCLE_1)
	s_mul_u64 s[42:43], s[42:43], s[22:23]
	s_add_co_i32 s21, s43, s40
	s_delay_alu instid0(SALU_CYCLE_1) | instskip(NEXT) | instid1(SALU_CYCLE_1)
	s_lshr_b32 s21, s21, s13
	s_mul_i32 s24, s21, s14
	s_delay_alu instid0(SALU_CYCLE_1) | instskip(SKIP_3) | instid1(SALU_CYCLE_1)
	s_cmp_eq_u32 s24, s40
	s_cselect_b32 s24, -1, 0
	s_cmp_lt_u32 s21, s12
	s_cselect_b32 s21, -1, 0
	s_or_b32 s21, s21, s24
	s_mov_b32 s24, -1
	s_and_b32 vcc_lo, exec_lo, s21
	s_mov_b32 s21, s36
	s_cbranch_vccnz .LBB70_16
; %bb.15:                               ;   in Loop: Header=BB70_9 Depth=1
	s_add_co_i32 s21, s36, -1
	s_mov_b32 s24, 0
	s_mov_b32 s29, s40
.LBB70_16:                              ;   in Loop: Header=BB70_9 Depth=1
	v_mad_u32 v4, 0x90, s36, v6
	s_mul_f32 s40, s33, 0x3fb8aa3b
	s_mul_f32 s38, s37, 0x3fb8aa3b
	s_delay_alu instid0(SALU_CYCLE_2)
	s_xor_b32 s42, s40, 0x80000000
	s_rndne_f32 s44, s40
	s_fmamk_f32 s42, s33, 0x3fb8aa3b, s42
	s_xor_b32 s41, s38, 0x80000000
	s_rndne_f32 s43, s38
	s_sub_f32 s40, s40, s44
	global_load_b32 v5, v4, s[26:27] scale_offset
	s_fmamk_f32 s33, s33, 0x32a5705f, s42
	s_fmamk_f32 s41, s37, 0x3fb8aa3b, s41
	s_sub_f32 s38, s38, s43
	s_delay_alu instid0(SALU_CYCLE_1) | instskip(NEXT) | instid1(SALU_CYCLE_1)
	s_add_f32 s33, s40, s33
	s_fmamk_f32 s37, s37, 0x32a5705f, s41
	s_cvt_i32_f32 s40, s44
	s_delay_alu instid0(SALU_CYCLE_1) | instskip(NEXT) | instid1(SALU_CYCLE_1)
	v_s_exp_f32 s33, s33
	s_add_f32 s37, s38, s37
	s_cvt_i32_f32 s38, s43
	s_delay_alu instid0(SALU_CYCLE_2) | instskip(NEXT) | instid1(TRANS32_DEP_2)
	v_s_exp_f32 s37, s37
	v_ldexp_f32 v8, s33, s40
	s_wait_xcnt 0x0
	s_delay_alu instid0(TRANS32_DEP_1) | instskip(NEXT) | instid1(VALU_DEP_2)
	v_ldexp_f32 v4, s37, s38
	v_cndmask_b32_e64 v8, 0, v8, s1
	s_delay_alu instid0(VALU_DEP_1) | instskip(NEXT) | instid1(VALU_DEP_1)
	v_cndmask_b32_e64 v9, 0x7f800000, v8, s2
	v_dual_cndmask_b32 v4, 0, v4, s3 :: v_dual_cndmask_b32 v10, 0, v9, s0
	s_delay_alu instid0(VALU_DEP_1) | instskip(NEXT) | instid1(VALU_DEP_1)
	v_cndmask_b32_e64 v4, 0x7f800000, v4, s4
	v_dual_cndmask_b32 v8, 0, v4, s5 :: v_dual_mov_b32 v4, s39
	s_wait_loadcnt 0x0
	s_delay_alu instid0(VALU_DEP_1) | instskip(NEXT) | instid1(VALU_DEP_1)
	v_pk_mul_f32 v[4:5], v[4:5], v[8:9] op_sel_hi:[1,0]
	v_pk_fma_f32 v[4:5], v[0:1], v[10:11], v[4:5] op_sel_hi:[1,0,1]
	s_cbranch_execz .LBB70_19
.LBB70_17:                              ;   in Loop: Header=BB70_9 Depth=1
	s_and_not1_b32 vcc_lo, exec_lo, s24
	s_cbranch_vccnz .LBB70_20
	s_branch .LBB70_23
.LBB70_18:                              ;   in Loop: Header=BB70_9 Depth=1
	s_and_not1_b32 vcc_lo, exec_lo, s0
	s_cbranch_vccnz .LBB70_17
.LBB70_19:                              ;   in Loop: Header=BB70_9 Depth=1
	s_wait_loadcnt 0x0
	v_mov_b64_e32 v[4:5], v[0:1]
	s_add_co_i32 s21, s36, -1
	s_mov_b32 s29, s20
	s_mov_b32 s17, s28
	s_cbranch_execz .LBB70_23
.LBB70_20:                              ;   in Loop: Header=BB70_9 Depth=1
	s_wait_loadcnt 0x0
	s_delay_alu instid0(VALU_DEP_1)
	v_mov_b64_e32 v[0:1], v[4:5]
	s_mov_b32 s20, s29
	s_mov_b32 s36, s21
	;; [unrolled: 1-line block ×3, first 2 shown]
	s_branch .LBB70_9
.LBB70_21:
                                        ; implicit-def: $sgpr20_sgpr21
	s_branch .LBB70_2
.LBB70_22:
                                        ; implicit-def: $sgpr24_sgpr25
	s_load_b96 s[12:14], s[0:1], 0x44
	s_branch .LBB70_5
.LBB70_23:
	s_delay_alu instid0(VALU_DEP_1) | instskip(SKIP_1) | instid1(VALU_DEP_1)
	v_div_scale_f32 v0, null, v4, v4, v5
	s_wait_loadcnt 0x0
	v_rcp_f32_e32 v1, v0
	v_nop
	s_delay_alu instid0(TRANS32_DEP_1) | instskip(NEXT) | instid1(VALU_DEP_1)
	v_fma_f32 v6, -v0, v1, 1.0
	v_fmac_f32_e32 v1, v6, v1
	v_div_scale_f32 v6, vcc_lo, v5, v4, v5
	s_delay_alu instid0(VALU_DEP_1) | instskip(NEXT) | instid1(VALU_DEP_1)
	v_mul_f32_e32 v7, v6, v1
	v_fma_f32 v8, -v0, v7, v6
	s_delay_alu instid0(VALU_DEP_1) | instskip(NEXT) | instid1(VALU_DEP_1)
	v_fmac_f32_e32 v7, v8, v1
	v_fma_f32 v0, -v0, v7, v6
	s_delay_alu instid0(VALU_DEP_1) | instskip(NEXT) | instid1(VALU_DEP_1)
	v_div_fmas_f32 v0, v0, v1, v7
	v_div_fixup_f32 v0, v0, v4, v5
	global_store_b32 v[2:3], v0, off
.LBB70_24:
	s_endpgm
	.section	.rodata,"a",@progbits
	.p2align	6, 0x0
	.amdhsa_kernel _ZL33flash_attn_stream_k_fixup_generalILi72ELi2ELi1EEvPfPK15HIP_vector_typeIfLj2EEiiiiS1_IjLj3EES5_S5_S5_
		.amdhsa_group_segment_fixed_size 0
		.amdhsa_private_segment_fixed_size 0
		.amdhsa_kernarg_size 336
		.amdhsa_user_sgpr_count 2
		.amdhsa_user_sgpr_dispatch_ptr 0
		.amdhsa_user_sgpr_queue_ptr 0
		.amdhsa_user_sgpr_kernarg_segment_ptr 1
		.amdhsa_user_sgpr_dispatch_id 0
		.amdhsa_user_sgpr_kernarg_preload_length 0
		.amdhsa_user_sgpr_kernarg_preload_offset 0
		.amdhsa_user_sgpr_private_segment_size 0
		.amdhsa_wavefront_size32 1
		.amdhsa_uses_dynamic_stack 0
		.amdhsa_enable_private_segment 0
		.amdhsa_system_sgpr_workgroup_id_x 1
		.amdhsa_system_sgpr_workgroup_id_y 1
		.amdhsa_system_sgpr_workgroup_id_z 1
		.amdhsa_system_sgpr_workgroup_info 0
		.amdhsa_system_vgpr_workitem_id 0
		.amdhsa_next_free_vgpr 12
		.amdhsa_next_free_sgpr 46
		.amdhsa_named_barrier_count 0
		.amdhsa_reserve_vcc 1
		.amdhsa_float_round_mode_32 0
		.amdhsa_float_round_mode_16_64 0
		.amdhsa_float_denorm_mode_32 3
		.amdhsa_float_denorm_mode_16_64 3
		.amdhsa_fp16_overflow 0
		.amdhsa_memory_ordered 1
		.amdhsa_forward_progress 1
		.amdhsa_inst_pref_size 27
		.amdhsa_round_robin_scheduling 0
		.amdhsa_exception_fp_ieee_invalid_op 0
		.amdhsa_exception_fp_denorm_src 0
		.amdhsa_exception_fp_ieee_div_zero 0
		.amdhsa_exception_fp_ieee_overflow 0
		.amdhsa_exception_fp_ieee_underflow 0
		.amdhsa_exception_fp_ieee_inexact 0
		.amdhsa_exception_int_div_zero 0
	.end_amdhsa_kernel
	.section	.text._ZL33flash_attn_stream_k_fixup_generalILi72ELi2ELi1EEvPfPK15HIP_vector_typeIfLj2EEiiiiS1_IjLj3EES5_S5_S5_,"axG",@progbits,_ZL33flash_attn_stream_k_fixup_generalILi72ELi2ELi1EEvPfPK15HIP_vector_typeIfLj2EEiiiiS1_IjLj3EES5_S5_S5_,comdat
.Lfunc_end70:
	.size	_ZL33flash_attn_stream_k_fixup_generalILi72ELi2ELi1EEvPfPK15HIP_vector_typeIfLj2EEiiiiS1_IjLj3EES5_S5_S5_, .Lfunc_end70-_ZL33flash_attn_stream_k_fixup_generalILi72ELi2ELi1EEvPfPK15HIP_vector_typeIfLj2EEiiiiS1_IjLj3EES5_S5_S5_
                                        ; -- End function
	.set _ZL33flash_attn_stream_k_fixup_generalILi72ELi2ELi1EEvPfPK15HIP_vector_typeIfLj2EEiiiiS1_IjLj3EES5_S5_S5_.num_vgpr, 12
	.set _ZL33flash_attn_stream_k_fixup_generalILi72ELi2ELi1EEvPfPK15HIP_vector_typeIfLj2EEiiiiS1_IjLj3EES5_S5_S5_.num_agpr, 0
	.set _ZL33flash_attn_stream_k_fixup_generalILi72ELi2ELi1EEvPfPK15HIP_vector_typeIfLj2EEiiiiS1_IjLj3EES5_S5_S5_.numbered_sgpr, 46
	.set _ZL33flash_attn_stream_k_fixup_generalILi72ELi2ELi1EEvPfPK15HIP_vector_typeIfLj2EEiiiiS1_IjLj3EES5_S5_S5_.num_named_barrier, 0
	.set _ZL33flash_attn_stream_k_fixup_generalILi72ELi2ELi1EEvPfPK15HIP_vector_typeIfLj2EEiiiiS1_IjLj3EES5_S5_S5_.private_seg_size, 0
	.set _ZL33flash_attn_stream_k_fixup_generalILi72ELi2ELi1EEvPfPK15HIP_vector_typeIfLj2EEiiiiS1_IjLj3EES5_S5_S5_.uses_vcc, 1
	.set _ZL33flash_attn_stream_k_fixup_generalILi72ELi2ELi1EEvPfPK15HIP_vector_typeIfLj2EEiiiiS1_IjLj3EES5_S5_S5_.uses_flat_scratch, 0
	.set _ZL33flash_attn_stream_k_fixup_generalILi72ELi2ELi1EEvPfPK15HIP_vector_typeIfLj2EEiiiiS1_IjLj3EES5_S5_S5_.has_dyn_sized_stack, 0
	.set _ZL33flash_attn_stream_k_fixup_generalILi72ELi2ELi1EEvPfPK15HIP_vector_typeIfLj2EEiiiiS1_IjLj3EES5_S5_S5_.has_recursion, 0
	.set _ZL33flash_attn_stream_k_fixup_generalILi72ELi2ELi1EEvPfPK15HIP_vector_typeIfLj2EEiiiiS1_IjLj3EES5_S5_S5_.has_indirect_call, 0
	.section	.AMDGPU.csdata,"",@progbits
; Kernel info:
; codeLenInByte = 3344
; TotalNumSgprs: 48
; NumVgprs: 12
; ScratchSize: 0
; MemoryBound: 0
; FloatMode: 240
; IeeeMode: 1
; LDSByteSize: 0 bytes/workgroup (compile time only)
; SGPRBlocks: 0
; VGPRBlocks: 0
; NumSGPRsForWavesPerEU: 48
; NumVGPRsForWavesPerEU: 12
; NamedBarCnt: 0
; Occupancy: 16
; WaveLimiterHint : 0
; COMPUTE_PGM_RSRC2:SCRATCH_EN: 0
; COMPUTE_PGM_RSRC2:USER_SGPR: 2
; COMPUTE_PGM_RSRC2:TRAP_HANDLER: 0
; COMPUTE_PGM_RSRC2:TGID_X_EN: 1
; COMPUTE_PGM_RSRC2:TGID_Y_EN: 1
; COMPUTE_PGM_RSRC2:TGID_Z_EN: 1
; COMPUTE_PGM_RSRC2:TIDIG_COMP_CNT: 0
	.text
	.p2align	2                               ; -- Begin function __ockl_printf_append_string_n
	.type	__ockl_printf_append_string_n,@function
__ockl_printf_append_string_n:          ; @__ockl_printf_append_string_n
; %bb.0:
	s_wait_loadcnt_dscnt 0x0
	s_wait_kmcnt 0x0
	v_mov_b32_e32 v2, v0
	v_mbcnt_lo_u32_b32 v30, -1, 0
	s_get_pc_i64 s[0:1]
	s_add_nc_u64 s[0:1], s[0:1], __FUNCTION__._ZL15flash_attn_tileILi72ELi72ELi8ELi8ELb1EEvPKcS1_S1_S1_S1_PKiPfP15HIP_vector_typeIfLj2EEffffjfiS5_IjLj3EEiiiiiiiiiiiliiliiiiil@rel64+4
	s_delay_alu instid0(SALU_CYCLE_1)
	s_cmp_lg_u64 s[0:1], 0
	s_cbranch_scc0 .LBB71_87
; %bb.1:
	s_load_b64 s[2:3], s[8:9], 0x50
	v_dual_mov_b32 v11, 0 :: v_dual_bitop2_b32 v0, -3, v2 bitop3:0x40
	v_mov_b64_e32 v[12:13], 0x100000002
	v_mov_b64_e32 v[34:35], s[0:1]
	v_and_b32_e32 v32, 2, v2
	s_delay_alu instid0(VALU_DEP_4)
	v_mov_b64_e32 v[6:7], v[0:1]
	s_mov_b32 s7, 0
	s_mov_b32 s6, 0
	s_branch .LBB71_3
.LBB71_2:                               ;   in Loop: Header=BB71_3 Depth=1
	s_or_b32 exec_lo, exec_lo, s10
	v_sub_nc_u64_e32 v[4:5], v[4:5], v[36:37]
	v_add_nc_u64_e32 v[34:35], v[34:35], v[36:37]
	s_delay_alu instid0(VALU_DEP_2) | instskip(SKIP_1) | instid1(SALU_CYCLE_1)
	v_cmp_eq_u64_e32 vcc_lo, 0, v[4:5]
	s_or_b32 s6, vcc_lo, s6
	s_and_not1_b32 exec_lo, exec_lo, s6
	s_cbranch_execz .LBB71_85
.LBB71_3:                               ; =>This Loop Header: Depth=1
                                        ;     Child Loop BB71_6 Depth 2
                                        ;     Child Loop BB71_14 Depth 2
                                        ;     Child Loop BB71_22 Depth 2
                                        ;     Child Loop BB71_30 Depth 2
                                        ;     Child Loop BB71_38 Depth 2
                                        ;     Child Loop BB71_46 Depth 2
                                        ;     Child Loop BB71_54 Depth 2
                                        ;     Child Loop BB71_62 Depth 2
                                        ;     Child Loop BB71_70 Depth 2
                                        ;     Child Loop BB71_79 Depth 2
                                        ;     Child Loop BB71_84 Depth 2
	v_min_u64 v[36:37], v[4:5], 56
	s_delay_alu instid0(VALU_DEP_3)
	v_add_nc_u64_e32 v[16:17], 8, v[34:35]
	s_mov_b32 s0, exec_lo
	v_cmpx_gt_u64_e32 8, v[4:5]
	s_xor_b32 s4, exec_lo, s0
	s_cbranch_execz .LBB71_9
; %bb.4:                                ;   in Loop: Header=BB71_3 Depth=1
	v_mov_b64_e32 v[8:9], 0
	s_mov_b32 s5, exec_lo
	v_cmpx_ne_u64_e32 0, v[4:5]
	s_cbranch_execz .LBB71_8
; %bb.5:                                ;   in Loop: Header=BB71_3 Depth=1
	v_mov_b64_e32 v[8:9], 0
	v_mov_b64_e32 v[14:15], v[34:35]
	v_lshlrev_b32_e32 v0, 3, v36
	s_mov_b64 s[0:1], 0
	s_mov_b32 s10, 0
.LBB71_6:                               ;   Parent Loop BB71_3 Depth=1
                                        ; =>  This Inner Loop Header: Depth=2
	global_load_u8 v3, v[14:15], off
	v_mov_b32_e32 v17, s7
	s_wait_xcnt 0x0
	v_add_nc_u64_e32 v[14:15], 1, v[14:15]
	s_wait_loadcnt 0x0
	v_and_b32_e32 v16, 0xffff, v3
	s_delay_alu instid0(VALU_DEP_1) | instskip(SKIP_1) | instid1(SALU_CYCLE_1)
	v_lshlrev_b64_e32 v[16:17], s0, v[16:17]
	s_add_nc_u64 s[0:1], s[0:1], 8
	v_cmp_eq_u32_e32 vcc_lo, s0, v0
	s_delay_alu instid0(VALU_DEP_2) | instskip(NEXT) | instid1(VALU_DEP_3)
	v_or_b32_e32 v9, v17, v9
	v_or_b32_e32 v8, v16, v8
	s_or_b32 s10, vcc_lo, s10
	s_delay_alu instid0(SALU_CYCLE_1)
	s_and_not1_b32 exec_lo, exec_lo, s10
	s_cbranch_execnz .LBB71_6
; %bb.7:                                ;   in Loop: Header=BB71_3 Depth=1
	s_or_b32 exec_lo, exec_lo, s10
.LBB71_8:                               ;   in Loop: Header=BB71_3 Depth=1
	s_delay_alu instid0(SALU_CYCLE_1)
	s_or_b32 exec_lo, exec_lo, s5
	v_mov_b64_e32 v[16:17], v[34:35]
.LBB71_9:                               ;   in Loop: Header=BB71_3 Depth=1
	s_or_saveexec_b32 s0, s4
	v_mov_b32_e32 v0, 0
	s_xor_b32 exec_lo, exec_lo, s0
	s_cbranch_execz .LBB71_11
; %bb.10:                               ;   in Loop: Header=BB71_3 Depth=1
	global_load_b64 v[8:9], v[34:35], off
	v_add_nc_u32_e32 v0, -8, v36
.LBB71_11:                              ;   in Loop: Header=BB71_3 Depth=1
	s_wait_xcnt 0x0
	s_or_b32 exec_lo, exec_lo, s0
	v_add_nc_u64_e32 v[18:19], 8, v[16:17]
                                        ; implicit-def: $vgpr14_vgpr15
	s_mov_b32 s0, exec_lo
	v_cmpx_gt_u32_e32 8, v0
	s_xor_b32 s10, exec_lo, s0
	s_cbranch_execz .LBB71_17
; %bb.12:                               ;   in Loop: Header=BB71_3 Depth=1
	v_mov_b64_e32 v[14:15], 0
	s_mov_b32 s11, exec_lo
	v_cmpx_ne_u32_e32 0, v0
	s_cbranch_execz .LBB71_16
; %bb.13:                               ;   in Loop: Header=BB71_3 Depth=1
	v_mov_b64_e32 v[14:15], 0
	s_mov_b64 s[0:1], 0
	s_mov_b32 s12, 0
	s_mov_b64 s[4:5], 0
.LBB71_14:                              ;   Parent Loop BB71_3 Depth=1
                                        ; =>  This Inner Loop Header: Depth=2
	s_delay_alu instid0(SALU_CYCLE_1) | instskip(SKIP_1) | instid1(SALU_CYCLE_1)
	v_add_nc_u64_e32 v[18:19], s[4:5], v[16:17]
	s_add_nc_u64 s[4:5], s[4:5], 1
	v_cmp_eq_u32_e32 vcc_lo, s4, v0
	global_load_u8 v3, v[18:19], off
	s_wait_xcnt 0x0
	v_mov_b32_e32 v19, s7
	s_or_b32 s12, vcc_lo, s12
	s_wait_loadcnt 0x0
	v_and_b32_e32 v18, 0xffff, v3
	s_delay_alu instid0(VALU_DEP_1) | instskip(SKIP_1) | instid1(VALU_DEP_1)
	v_lshlrev_b64_e32 v[18:19], s0, v[18:19]
	s_add_nc_u64 s[0:1], s[0:1], 8
	v_or_b32_e32 v15, v19, v15
	s_delay_alu instid0(VALU_DEP_2)
	v_or_b32_e32 v14, v18, v14
	s_and_not1_b32 exec_lo, exec_lo, s12
	s_cbranch_execnz .LBB71_14
; %bb.15:                               ;   in Loop: Header=BB71_3 Depth=1
	s_or_b32 exec_lo, exec_lo, s12
.LBB71_16:                              ;   in Loop: Header=BB71_3 Depth=1
	s_delay_alu instid0(SALU_CYCLE_1)
	s_or_b32 exec_lo, exec_lo, s11
	v_mov_b64_e32 v[18:19], v[16:17]
                                        ; implicit-def: $vgpr0
.LBB71_17:                              ;   in Loop: Header=BB71_3 Depth=1
	s_or_saveexec_b32 s0, s10
	v_mov_b32_e32 v3, 0
	s_xor_b32 exec_lo, exec_lo, s0
	s_cbranch_execz .LBB71_19
; %bb.18:                               ;   in Loop: Header=BB71_3 Depth=1
	global_load_b64 v[14:15], v[16:17], off
	v_add_nc_u32_e32 v3, -8, v0
.LBB71_19:                              ;   in Loop: Header=BB71_3 Depth=1
	s_wait_xcnt 0x0
	s_or_b32 exec_lo, exec_lo, s0
	v_add_nc_u64_e32 v[20:21], 8, v[18:19]
	s_mov_b32 s0, exec_lo
	v_cmpx_gt_u32_e32 8, v3
	s_xor_b32 s10, exec_lo, s0
	s_cbranch_execz .LBB71_25
; %bb.20:                               ;   in Loop: Header=BB71_3 Depth=1
	v_mov_b64_e32 v[16:17], 0
	s_mov_b32 s11, exec_lo
	v_cmpx_ne_u32_e32 0, v3
	s_cbranch_execz .LBB71_24
; %bb.21:                               ;   in Loop: Header=BB71_3 Depth=1
	v_mov_b64_e32 v[16:17], 0
	s_mov_b64 s[0:1], 0
	s_mov_b32 s12, 0
	s_mov_b64 s[4:5], 0
.LBB71_22:                              ;   Parent Loop BB71_3 Depth=1
                                        ; =>  This Inner Loop Header: Depth=2
	s_delay_alu instid0(SALU_CYCLE_1) | instskip(SKIP_1) | instid1(SALU_CYCLE_1)
	v_add_nc_u64_e32 v[20:21], s[4:5], v[18:19]
	s_add_nc_u64 s[4:5], s[4:5], 1
	v_cmp_eq_u32_e32 vcc_lo, s4, v3
	global_load_u8 v0, v[20:21], off
	s_wait_xcnt 0x0
	v_mov_b32_e32 v21, s7
	s_or_b32 s12, vcc_lo, s12
	s_wait_loadcnt 0x0
	v_and_b32_e32 v20, 0xffff, v0
	s_delay_alu instid0(VALU_DEP_1) | instskip(SKIP_1) | instid1(VALU_DEP_1)
	v_lshlrev_b64_e32 v[20:21], s0, v[20:21]
	s_add_nc_u64 s[0:1], s[0:1], 8
	v_or_b32_e32 v17, v21, v17
	s_delay_alu instid0(VALU_DEP_2)
	v_or_b32_e32 v16, v20, v16
	s_and_not1_b32 exec_lo, exec_lo, s12
	s_cbranch_execnz .LBB71_22
; %bb.23:                               ;   in Loop: Header=BB71_3 Depth=1
	s_or_b32 exec_lo, exec_lo, s12
.LBB71_24:                              ;   in Loop: Header=BB71_3 Depth=1
	s_delay_alu instid0(SALU_CYCLE_1)
	s_or_b32 exec_lo, exec_lo, s11
	v_mov_b64_e32 v[20:21], v[18:19]
                                        ; implicit-def: $vgpr3
.LBB71_25:                              ;   in Loop: Header=BB71_3 Depth=1
	s_or_saveexec_b32 s0, s10
	v_mov_b32_e32 v0, 0
	s_xor_b32 exec_lo, exec_lo, s0
	s_cbranch_execz .LBB71_27
; %bb.26:                               ;   in Loop: Header=BB71_3 Depth=1
	global_load_b64 v[16:17], v[18:19], off
	v_add_nc_u32_e32 v0, -8, v3
.LBB71_27:                              ;   in Loop: Header=BB71_3 Depth=1
	s_wait_xcnt 0x0
	s_or_b32 exec_lo, exec_lo, s0
	v_add_nc_u64_e32 v[22:23], 8, v[20:21]
                                        ; implicit-def: $vgpr18_vgpr19
	s_mov_b32 s0, exec_lo
	v_cmpx_gt_u32_e32 8, v0
	s_xor_b32 s10, exec_lo, s0
	s_cbranch_execz .LBB71_33
; %bb.28:                               ;   in Loop: Header=BB71_3 Depth=1
	v_mov_b64_e32 v[18:19], 0
	s_mov_b32 s11, exec_lo
	v_cmpx_ne_u32_e32 0, v0
	s_cbranch_execz .LBB71_32
; %bb.29:                               ;   in Loop: Header=BB71_3 Depth=1
	v_mov_b64_e32 v[18:19], 0
	s_mov_b64 s[0:1], 0
	s_mov_b32 s12, 0
	s_mov_b64 s[4:5], 0
.LBB71_30:                              ;   Parent Loop BB71_3 Depth=1
                                        ; =>  This Inner Loop Header: Depth=2
	s_delay_alu instid0(SALU_CYCLE_1) | instskip(SKIP_1) | instid1(SALU_CYCLE_1)
	v_add_nc_u64_e32 v[22:23], s[4:5], v[20:21]
	s_add_nc_u64 s[4:5], s[4:5], 1
	v_cmp_eq_u32_e32 vcc_lo, s4, v0
	global_load_u8 v3, v[22:23], off
	s_wait_xcnt 0x0
	v_mov_b32_e32 v23, s7
	s_or_b32 s12, vcc_lo, s12
	s_wait_loadcnt 0x0
	v_and_b32_e32 v22, 0xffff, v3
	s_delay_alu instid0(VALU_DEP_1) | instskip(SKIP_1) | instid1(VALU_DEP_1)
	v_lshlrev_b64_e32 v[22:23], s0, v[22:23]
	s_add_nc_u64 s[0:1], s[0:1], 8
	v_or_b32_e32 v19, v23, v19
	s_delay_alu instid0(VALU_DEP_2)
	v_or_b32_e32 v18, v22, v18
	s_and_not1_b32 exec_lo, exec_lo, s12
	s_cbranch_execnz .LBB71_30
; %bb.31:                               ;   in Loop: Header=BB71_3 Depth=1
	s_or_b32 exec_lo, exec_lo, s12
.LBB71_32:                              ;   in Loop: Header=BB71_3 Depth=1
	s_delay_alu instid0(SALU_CYCLE_1)
	s_or_b32 exec_lo, exec_lo, s11
	v_mov_b64_e32 v[22:23], v[20:21]
                                        ; implicit-def: $vgpr0
.LBB71_33:                              ;   in Loop: Header=BB71_3 Depth=1
	s_or_saveexec_b32 s0, s10
	v_mov_b32_e32 v3, 0
	s_xor_b32 exec_lo, exec_lo, s0
	s_cbranch_execz .LBB71_35
; %bb.34:                               ;   in Loop: Header=BB71_3 Depth=1
	global_load_b64 v[18:19], v[20:21], off
	v_add_nc_u32_e32 v3, -8, v0
.LBB71_35:                              ;   in Loop: Header=BB71_3 Depth=1
	s_wait_xcnt 0x0
	s_or_b32 exec_lo, exec_lo, s0
	v_add_nc_u64_e32 v[24:25], 8, v[22:23]
	s_mov_b32 s0, exec_lo
	v_cmpx_gt_u32_e32 8, v3
	s_xor_b32 s10, exec_lo, s0
	s_cbranch_execz .LBB71_41
; %bb.36:                               ;   in Loop: Header=BB71_3 Depth=1
	v_mov_b64_e32 v[20:21], 0
	s_mov_b32 s11, exec_lo
	v_cmpx_ne_u32_e32 0, v3
	s_cbranch_execz .LBB71_40
; %bb.37:                               ;   in Loop: Header=BB71_3 Depth=1
	v_mov_b64_e32 v[20:21], 0
	s_mov_b64 s[0:1], 0
	s_mov_b32 s12, 0
	s_mov_b64 s[4:5], 0
.LBB71_38:                              ;   Parent Loop BB71_3 Depth=1
                                        ; =>  This Inner Loop Header: Depth=2
	s_delay_alu instid0(SALU_CYCLE_1) | instskip(SKIP_1) | instid1(SALU_CYCLE_1)
	v_add_nc_u64_e32 v[24:25], s[4:5], v[22:23]
	s_add_nc_u64 s[4:5], s[4:5], 1
	v_cmp_eq_u32_e32 vcc_lo, s4, v3
	global_load_u8 v0, v[24:25], off
	s_wait_xcnt 0x0
	v_mov_b32_e32 v25, s7
	s_or_b32 s12, vcc_lo, s12
	s_wait_loadcnt 0x0
	v_and_b32_e32 v24, 0xffff, v0
	s_delay_alu instid0(VALU_DEP_1) | instskip(SKIP_1) | instid1(VALU_DEP_1)
	v_lshlrev_b64_e32 v[24:25], s0, v[24:25]
	s_add_nc_u64 s[0:1], s[0:1], 8
	v_or_b32_e32 v21, v25, v21
	s_delay_alu instid0(VALU_DEP_2)
	v_or_b32_e32 v20, v24, v20
	s_and_not1_b32 exec_lo, exec_lo, s12
	s_cbranch_execnz .LBB71_38
; %bb.39:                               ;   in Loop: Header=BB71_3 Depth=1
	s_or_b32 exec_lo, exec_lo, s12
.LBB71_40:                              ;   in Loop: Header=BB71_3 Depth=1
	s_delay_alu instid0(SALU_CYCLE_1)
	s_or_b32 exec_lo, exec_lo, s11
	v_mov_b64_e32 v[24:25], v[22:23]
                                        ; implicit-def: $vgpr3
.LBB71_41:                              ;   in Loop: Header=BB71_3 Depth=1
	s_or_saveexec_b32 s0, s10
	v_mov_b32_e32 v0, 0
	s_xor_b32 exec_lo, exec_lo, s0
	s_cbranch_execz .LBB71_43
; %bb.42:                               ;   in Loop: Header=BB71_3 Depth=1
	global_load_b64 v[20:21], v[22:23], off
	v_add_nc_u32_e32 v0, -8, v3
.LBB71_43:                              ;   in Loop: Header=BB71_3 Depth=1
	s_wait_xcnt 0x0
	s_or_b32 exec_lo, exec_lo, s0
	v_add_nc_u64_e32 v[26:27], 8, v[24:25]
                                        ; implicit-def: $vgpr22_vgpr23
	s_mov_b32 s0, exec_lo
	v_cmpx_gt_u32_e32 8, v0
	s_xor_b32 s10, exec_lo, s0
	s_cbranch_execz .LBB71_49
; %bb.44:                               ;   in Loop: Header=BB71_3 Depth=1
	v_mov_b64_e32 v[22:23], 0
	s_mov_b32 s11, exec_lo
	v_cmpx_ne_u32_e32 0, v0
	s_cbranch_execz .LBB71_48
; %bb.45:                               ;   in Loop: Header=BB71_3 Depth=1
	v_mov_b64_e32 v[22:23], 0
	s_mov_b64 s[0:1], 0
	s_mov_b32 s12, 0
	s_mov_b64 s[4:5], 0
.LBB71_46:                              ;   Parent Loop BB71_3 Depth=1
                                        ; =>  This Inner Loop Header: Depth=2
	s_delay_alu instid0(SALU_CYCLE_1) | instskip(SKIP_1) | instid1(SALU_CYCLE_1)
	v_add_nc_u64_e32 v[26:27], s[4:5], v[24:25]
	s_add_nc_u64 s[4:5], s[4:5], 1
	v_cmp_eq_u32_e32 vcc_lo, s4, v0
	global_load_u8 v3, v[26:27], off
	s_wait_xcnt 0x0
	v_mov_b32_e32 v27, s7
	s_or_b32 s12, vcc_lo, s12
	s_wait_loadcnt 0x0
	v_and_b32_e32 v26, 0xffff, v3
	s_delay_alu instid0(VALU_DEP_1) | instskip(SKIP_1) | instid1(VALU_DEP_1)
	v_lshlrev_b64_e32 v[26:27], s0, v[26:27]
	s_add_nc_u64 s[0:1], s[0:1], 8
	v_or_b32_e32 v23, v27, v23
	s_delay_alu instid0(VALU_DEP_2)
	v_or_b32_e32 v22, v26, v22
	s_and_not1_b32 exec_lo, exec_lo, s12
	s_cbranch_execnz .LBB71_46
; %bb.47:                               ;   in Loop: Header=BB71_3 Depth=1
	s_or_b32 exec_lo, exec_lo, s12
.LBB71_48:                              ;   in Loop: Header=BB71_3 Depth=1
	s_delay_alu instid0(SALU_CYCLE_1)
	s_or_b32 exec_lo, exec_lo, s11
	v_mov_b64_e32 v[26:27], v[24:25]
                                        ; implicit-def: $vgpr0
.LBB71_49:                              ;   in Loop: Header=BB71_3 Depth=1
	s_or_saveexec_b32 s0, s10
	v_mov_b32_e32 v3, 0
	s_xor_b32 exec_lo, exec_lo, s0
	s_cbranch_execz .LBB71_51
; %bb.50:                               ;   in Loop: Header=BB71_3 Depth=1
	global_load_b64 v[22:23], v[24:25], off
	v_add_nc_u32_e32 v3, -8, v0
.LBB71_51:                              ;   in Loop: Header=BB71_3 Depth=1
	s_wait_xcnt 0x0
	s_or_b32 exec_lo, exec_lo, s0
	s_delay_alu instid0(SALU_CYCLE_1) | instskip(NEXT) | instid1(VALU_DEP_1)
	s_mov_b32 s0, exec_lo
	v_cmpx_gt_u32_e32 8, v3
	s_xor_b32 s4, exec_lo, s0
	s_cbranch_execz .LBB71_57
; %bb.52:                               ;   in Loop: Header=BB71_3 Depth=1
	v_mov_b64_e32 v[24:25], 0
	s_mov_b32 s5, exec_lo
	v_cmpx_ne_u32_e32 0, v3
	s_cbranch_execz .LBB71_56
; %bb.53:                               ;   in Loop: Header=BB71_3 Depth=1
	v_mov_b64_e32 v[24:25], 0
	s_mov_b64 s[0:1], 0
	s_mov_b32 s10, 0
.LBB71_54:                              ;   Parent Loop BB71_3 Depth=1
                                        ; =>  This Inner Loop Header: Depth=2
	global_load_u8 v0, v[26:27], off
	v_dual_mov_b32 v29, s7 :: v_dual_add_nc_u32 v3, -1, v3
	s_wait_xcnt 0x0
	v_add_nc_u64_e32 v[26:27], 1, v[26:27]
	s_delay_alu instid0(VALU_DEP_2) | instskip(SKIP_3) | instid1(VALU_DEP_1)
	v_cmp_eq_u32_e32 vcc_lo, 0, v3
	s_or_b32 s10, vcc_lo, s10
	s_wait_loadcnt 0x0
	v_and_b32_e32 v28, 0xffff, v0
	v_lshlrev_b64_e32 v[28:29], s0, v[28:29]
	s_add_nc_u64 s[0:1], s[0:1], 8
	s_delay_alu instid0(VALU_DEP_1) | instskip(NEXT) | instid1(VALU_DEP_2)
	v_or_b32_e32 v25, v29, v25
	v_or_b32_e32 v24, v28, v24
	s_and_not1_b32 exec_lo, exec_lo, s10
	s_cbranch_execnz .LBB71_54
; %bb.55:                               ;   in Loop: Header=BB71_3 Depth=1
	s_or_b32 exec_lo, exec_lo, s10
.LBB71_56:                              ;   in Loop: Header=BB71_3 Depth=1
	s_delay_alu instid0(SALU_CYCLE_1)
	s_or_b32 exec_lo, exec_lo, s5
                                        ; implicit-def: $vgpr26_vgpr27
.LBB71_57:                              ;   in Loop: Header=BB71_3 Depth=1
	s_and_not1_saveexec_b32 s0, s4
	s_cbranch_execz .LBB71_59
; %bb.58:                               ;   in Loop: Header=BB71_3 Depth=1
	global_load_b64 v[24:25], v[26:27], off
.LBB71_59:                              ;   in Loop: Header=BB71_3 Depth=1
	s_wait_xcnt 0x0
	s_or_b32 exec_lo, exec_lo, s0
	v_readfirstlane_b32 s0, v30
	v_mov_b64_e32 v[38:39], 0
	s_delay_alu instid0(VALU_DEP_2)
	v_cmp_eq_u32_e64 s0, s0, v30
	s_and_saveexec_b32 s1, s0
	s_cbranch_execz .LBB71_65
; %bb.60:                               ;   in Loop: Header=BB71_3 Depth=1
	s_wait_kmcnt 0x0
	global_load_b64 v[28:29], v11, s[2:3] offset:24 scope:SCOPE_SYS
	s_wait_loadcnt 0x0
	global_inv scope:SCOPE_SYS
	s_clause 0x1
	global_load_b64 v[26:27], v11, s[2:3] offset:40
	global_load_b64 v[38:39], v11, s[2:3]
	s_mov_b32 s4, exec_lo
	s_wait_loadcnt 0x1
	v_and_b32_e32 v26, v26, v28
	v_and_b32_e32 v27, v27, v29
	s_delay_alu instid0(VALU_DEP_1) | instskip(SKIP_1) | instid1(VALU_DEP_1)
	v_mul_u64_e32 v[26:27], 24, v[26:27]
	s_wait_loadcnt 0x0
	v_add_nc_u64_e32 v[26:27], v[38:39], v[26:27]
	global_load_b64 v[26:27], v[26:27], off scope:SCOPE_SYS
	s_wait_xcnt 0x0
	s_wait_loadcnt 0x0
	global_atomic_cmpswap_b64 v[38:39], v11, v[26:29], s[2:3] offset:24 th:TH_ATOMIC_RETURN scope:SCOPE_SYS
	s_wait_loadcnt 0x0
	global_inv scope:SCOPE_SYS
	s_wait_xcnt 0x0
	v_cmpx_ne_u64_e64 v[38:39], v[28:29]
	s_cbranch_execz .LBB71_64
; %bb.61:                               ;   in Loop: Header=BB71_3 Depth=1
	s_mov_b32 s5, 0
.LBB71_62:                              ;   Parent Loop BB71_3 Depth=1
                                        ; =>  This Inner Loop Header: Depth=2
	s_sleep 1
	s_clause 0x1
	global_load_b64 v[26:27], v11, s[2:3] offset:40
	global_load_b64 v[48:49], v11, s[2:3]
	v_mov_b64_e32 v[28:29], v[38:39]
	s_wait_loadcnt 0x1
	s_delay_alu instid0(VALU_DEP_1) | instskip(SKIP_1) | instid1(VALU_DEP_1)
	v_and_b32_e32 v0, v26, v28
	s_wait_loadcnt 0x0
	v_mad_nc_u64_u32 v[38:39], v0, 24, v[48:49]
	s_delay_alu instid0(VALU_DEP_3) | instskip(NEXT) | instid1(VALU_DEP_1)
	v_and_b32_e32 v0, v27, v29
	v_mad_u32 v39, v0, 24, v39
	global_load_b64 v[26:27], v[38:39], off scope:SCOPE_SYS
	s_wait_xcnt 0x0
	s_wait_loadcnt 0x0
	global_atomic_cmpswap_b64 v[38:39], v11, v[26:29], s[2:3] offset:24 th:TH_ATOMIC_RETURN scope:SCOPE_SYS
	s_wait_loadcnt 0x0
	global_inv scope:SCOPE_SYS
	v_cmp_eq_u64_e32 vcc_lo, v[38:39], v[28:29]
	s_or_b32 s5, vcc_lo, s5
	s_wait_xcnt 0x0
	s_and_not1_b32 exec_lo, exec_lo, s5
	s_cbranch_execnz .LBB71_62
; %bb.63:                               ;   in Loop: Header=BB71_3 Depth=1
	s_or_b32 exec_lo, exec_lo, s5
.LBB71_64:                              ;   in Loop: Header=BB71_3 Depth=1
	s_delay_alu instid0(SALU_CYCLE_1)
	s_or_b32 exec_lo, exec_lo, s4
.LBB71_65:                              ;   in Loop: Header=BB71_3 Depth=1
	s_delay_alu instid0(SALU_CYCLE_1)
	s_or_b32 exec_lo, exec_lo, s1
	s_wait_kmcnt 0x0
	s_clause 0x1
	global_load_b64 v[48:49], v11, s[2:3] offset:40
	global_load_b128 v[26:29], v11, s[2:3]
	v_readfirstlane_b32 s4, v38
	v_readfirstlane_b32 s5, v39
	s_mov_b32 s1, exec_lo
	s_wait_loadcnt 0x1
	v_and_b32_e32 v48, s4, v48
	v_and_b32_e32 v49, s5, v49
	s_delay_alu instid0(VALU_DEP_1) | instskip(SKIP_1) | instid1(VALU_DEP_1)
	v_mul_u64_e32 v[38:39], 24, v[48:49]
	s_wait_loadcnt 0x0
	v_add_nc_u64_e32 v[38:39], v[26:27], v[38:39]
	s_wait_xcnt 0x0
	s_and_saveexec_b32 s10, s0
	s_cbranch_execz .LBB71_67
; %bb.66:                               ;   in Loop: Header=BB71_3 Depth=1
	v_mov_b32_e32 v10, s1
	global_store_b128 v[38:39], v[10:13], off offset:8
.LBB71_67:                              ;   in Loop: Header=BB71_3 Depth=1
	s_wait_xcnt 0x0
	s_or_b32 exec_lo, exec_lo, s10
	v_cmp_gt_u64_e32 vcc_lo, 57, v[4:5]
	v_lshlrev_b64_e32 v[48:49], 12, v[48:49]
	v_and_b32_e32 v3, 0xffffff1f, v6
	v_lshl_add_u32 v6, v36, 2, 28
	v_dual_lshlrev_b32 v10, 6, v30 :: v_dual_cndmask_b32 v0, 0, v32, vcc_lo
	s_delay_alu instid0(VALU_DEP_4) | instskip(NEXT) | instid1(VALU_DEP_2)
	v_add_nc_u64_e32 v[28:29], v[28:29], v[48:49]
	v_or_b32_e32 v0, v3, v0
	s_delay_alu instid0(VALU_DEP_2) | instskip(NEXT) | instid1(VALU_DEP_3)
	v_readfirstlane_b32 s10, v28
	v_readfirstlane_b32 s11, v29
	s_delay_alu instid0(VALU_DEP_3)
	v_and_or_b32 v6, 0x1e0, v6, v0
	s_clause 0x3
	global_store_b128 v10, v[6:9], s[10:11]
	global_store_b128 v10, v[14:17], s[10:11] offset:16
	global_store_b128 v10, v[18:21], s[10:11] offset:32
	;; [unrolled: 1-line block ×3, first 2 shown]
	s_wait_xcnt 0x0
	s_and_saveexec_b32 s1, s0
	s_cbranch_execz .LBB71_75
; %bb.68:                               ;   in Loop: Header=BB71_3 Depth=1
	s_clause 0x1
	global_load_b64 v[18:19], v11, s[2:3] offset:32 scope:SCOPE_SYS
	global_load_b64 v[6:7], v11, s[2:3] offset:40
	s_mov_b32 s10, exec_lo
	v_dual_mov_b32 v16, s4 :: v_dual_mov_b32 v17, s5
	s_wait_loadcnt 0x0
	v_and_b32_e32 v7, s5, v7
	v_and_b32_e32 v6, s4, v6
	s_delay_alu instid0(VALU_DEP_1) | instskip(NEXT) | instid1(VALU_DEP_1)
	v_mul_u64_e32 v[6:7], 24, v[6:7]
	v_add_nc_u64_e32 v[14:15], v[26:27], v[6:7]
	global_store_b64 v[14:15], v[18:19], off
	global_wb scope:SCOPE_SYS
	s_wait_storecnt 0x0
	s_wait_xcnt 0x0
	global_atomic_cmpswap_b64 v[8:9], v11, v[16:19], s[2:3] offset:32 th:TH_ATOMIC_RETURN scope:SCOPE_SYS
	s_wait_loadcnt 0x0
	v_cmpx_ne_u64_e64 v[8:9], v[18:19]
	s_cbranch_execz .LBB71_71
; %bb.69:                               ;   in Loop: Header=BB71_3 Depth=1
	s_mov_b32 s11, 0
.LBB71_70:                              ;   Parent Loop BB71_3 Depth=1
                                        ; =>  This Inner Loop Header: Depth=2
	v_dual_mov_b32 v6, s4 :: v_dual_mov_b32 v7, s5
	s_sleep 1
	global_store_b64 v[14:15], v[8:9], off
	global_wb scope:SCOPE_SYS
	s_wait_storecnt 0x0
	s_wait_xcnt 0x0
	global_atomic_cmpswap_b64 v[6:7], v11, v[6:9], s[2:3] offset:32 th:TH_ATOMIC_RETURN scope:SCOPE_SYS
	s_wait_loadcnt 0x0
	v_cmp_eq_u64_e32 vcc_lo, v[6:7], v[8:9]
	v_mov_b64_e32 v[8:9], v[6:7]
	s_or_b32 s11, vcc_lo, s11
	s_delay_alu instid0(SALU_CYCLE_1)
	s_and_not1_b32 exec_lo, exec_lo, s11
	s_cbranch_execnz .LBB71_70
.LBB71_71:                              ;   in Loop: Header=BB71_3 Depth=1
	s_or_b32 exec_lo, exec_lo, s10
	global_load_b64 v[6:7], v11, s[2:3] offset:16
	s_mov_b32 s11, exec_lo
	s_mov_b32 s10, exec_lo
	v_mbcnt_lo_u32_b32 v0, s11, 0
	s_wait_xcnt 0x0
	s_delay_alu instid0(VALU_DEP_1)
	v_cmpx_eq_u32_e32 0, v0
	s_cbranch_execz .LBB71_73
; %bb.72:                               ;   in Loop: Header=BB71_3 Depth=1
	s_bcnt1_i32_b32 s11, s11
	s_delay_alu instid0(SALU_CYCLE_1)
	v_dual_mov_b32 v9, v11 :: v_dual_mov_b32 v8, s11
	global_wb scope:SCOPE_SYS
	s_wait_loadcnt 0x0
	s_wait_storecnt 0x0
	global_atomic_add_u64 v[6:7], v[8:9], off offset:8 scope:SCOPE_SYS
.LBB71_73:                              ;   in Loop: Header=BB71_3 Depth=1
	s_wait_xcnt 0x0
	s_or_b32 exec_lo, exec_lo, s10
	s_wait_loadcnt 0x0
	global_load_b64 v[8:9], v[6:7], off offset:16
	s_wait_loadcnt 0x0
	v_cmp_eq_u64_e32 vcc_lo, 0, v[8:9]
	s_cbranch_vccnz .LBB71_75
; %bb.74:                               ;   in Loop: Header=BB71_3 Depth=1
	global_load_b32 v6, v[6:7], off offset:24
	s_wait_xcnt 0x0
	v_mov_b32_e32 v7, v11
	s_wait_loadcnt 0x0
	v_readfirstlane_b32 s10, v6
	global_wb scope:SCOPE_SYS
	s_wait_storecnt 0x0
	global_store_b64 v[8:9], v[6:7], off scope:SCOPE_SYS
	s_and_b32 m0, s10, 0xffffff
	s_sendmsg sendmsg(MSG_INTERRUPT)
.LBB71_75:                              ;   in Loop: Header=BB71_3 Depth=1
	s_wait_xcnt 0x0
	s_or_b32 exec_lo, exec_lo, s1
	v_add_nc_u64_e32 v[6:7], v[28:29], v[10:11]
	s_branch .LBB71_79
.LBB71_76:                              ;   in Loop: Header=BB71_79 Depth=2
	s_wait_xcnt 0x0
	s_or_b32 exec_lo, exec_lo, s1
	s_delay_alu instid0(VALU_DEP_1)
	v_readfirstlane_b32 s1, v0
	s_cmp_eq_u32 s1, 0
	s_cbranch_scc1 .LBB71_78
; %bb.77:                               ;   in Loop: Header=BB71_79 Depth=2
	s_sleep 1
	s_cbranch_execnz .LBB71_79
	s_branch .LBB71_81
.LBB71_78:                              ;   in Loop: Header=BB71_3 Depth=1
	s_branch .LBB71_81
.LBB71_79:                              ;   Parent Loop BB71_3 Depth=1
                                        ; =>  This Inner Loop Header: Depth=2
	v_mov_b32_e32 v0, 1
	s_and_saveexec_b32 s1, s0
	s_cbranch_execz .LBB71_76
; %bb.80:                               ;   in Loop: Header=BB71_79 Depth=2
	global_load_b32 v0, v[38:39], off offset:20 scope:SCOPE_SYS
	s_wait_loadcnt 0x0
	global_inv scope:SCOPE_SYS
	v_and_b32_e32 v0, 1, v0
	s_branch .LBB71_76
.LBB71_81:                              ;   in Loop: Header=BB71_3 Depth=1
	global_load_b64 v[6:7], v[6:7], off
	s_wait_xcnt 0x0
	s_and_saveexec_b32 s10, s0
	s_cbranch_execz .LBB71_2
; %bb.82:                               ;   in Loop: Header=BB71_3 Depth=1
	s_clause 0x2
	global_load_b64 v[8:9], v11, s[2:3] offset:40
	global_load_b64 v[18:19], v11, s[2:3] offset:24 scope:SCOPE_SYS
	global_load_b64 v[14:15], v11, s[2:3]
	s_wait_loadcnt 0x2
	v_readfirstlane_b32 s12, v8
	v_readfirstlane_b32 s13, v9
	s_add_nc_u64 s[0:1], s[12:13], 1
	s_delay_alu instid0(SALU_CYCLE_1) | instskip(NEXT) | instid1(SALU_CYCLE_1)
	s_add_nc_u64 s[4:5], s[0:1], s[4:5]
	s_cmp_eq_u64 s[4:5], 0
	s_cselect_b32 s1, s1, s5
	s_cselect_b32 s0, s0, s4
	s_delay_alu instid0(SALU_CYCLE_1) | instskip(SKIP_1) | instid1(SALU_CYCLE_1)
	v_dual_mov_b32 v17, s1 :: v_dual_mov_b32 v16, s0
	s_and_b64 s[4:5], s[0:1], s[12:13]
	s_mul_u64 s[4:5], s[4:5], 24
	s_wait_loadcnt 0x0
	v_add_nc_u64_e32 v[8:9], s[4:5], v[14:15]
	global_store_b64 v[8:9], v[18:19], off
	global_wb scope:SCOPE_SYS
	s_wait_storecnt 0x0
	s_wait_xcnt 0x0
	global_atomic_cmpswap_b64 v[16:17], v11, v[16:19], s[2:3] offset:24 th:TH_ATOMIC_RETURN scope:SCOPE_SYS
	s_wait_loadcnt 0x0
	v_cmp_ne_u64_e32 vcc_lo, v[16:17], v[18:19]
	s_and_b32 exec_lo, exec_lo, vcc_lo
	s_cbranch_execz .LBB71_2
; %bb.83:                               ;   in Loop: Header=BB71_3 Depth=1
	s_mov_b32 s4, 0
.LBB71_84:                              ;   Parent Loop BB71_3 Depth=1
                                        ; =>  This Inner Loop Header: Depth=2
	v_dual_mov_b32 v14, s0 :: v_dual_mov_b32 v15, s1
	s_sleep 1
	global_store_b64 v[8:9], v[16:17], off
	global_wb scope:SCOPE_SYS
	s_wait_storecnt 0x0
	s_wait_xcnt 0x0
	global_atomic_cmpswap_b64 v[14:15], v11, v[14:17], s[2:3] offset:24 th:TH_ATOMIC_RETURN scope:SCOPE_SYS
	s_wait_loadcnt 0x0
	v_cmp_eq_u64_e32 vcc_lo, v[14:15], v[16:17]
	v_mov_b64_e32 v[16:17], v[14:15]
	s_or_b32 s4, vcc_lo, s4
	s_delay_alu instid0(SALU_CYCLE_1)
	s_and_not1_b32 exec_lo, exec_lo, s4
	s_cbranch_execnz .LBB71_84
	s_branch .LBB71_2
.LBB71_85:
	s_or_b32 exec_lo, exec_lo, s6
.LBB71_86:
	s_wait_loadcnt 0x0
	v_dual_mov_b32 v0, v6 :: v_dual_mov_b32 v1, v7
	s_wait_kmcnt 0x0
	s_set_pc_i64 s[30:31]
.LBB71_87:
                                        ; implicit-def: $vgpr6_vgpr7
	s_cbranch_execz .LBB71_86
; %bb.88:
	s_load_b64 s[2:3], s[8:9], 0x50
	v_readfirstlane_b32 s0, v30
	s_wait_loadcnt 0x0
	v_mov_b64_e32 v[6:7], 0
	s_delay_alu instid0(VALU_DEP_2)
	v_cmp_eq_u32_e64 s0, s0, v30
	s_and_saveexec_b32 s1, s0
	s_cbranch_execz .LBB71_94
; %bb.89:
	v_mov_b32_e32 v0, 0
	s_mov_b32 s4, exec_lo
	s_wait_kmcnt 0x0
	global_load_b64 v[8:9], v0, s[2:3] offset:24 scope:SCOPE_SYS
	s_wait_loadcnt 0x0
	global_inv scope:SCOPE_SYS
	s_clause 0x1
	global_load_b64 v[4:5], v0, s[2:3] offset:40
	global_load_b64 v[6:7], v0, s[2:3]
	s_wait_loadcnt 0x1
	v_and_b32_e32 v4, v4, v8
	v_and_b32_e32 v5, v5, v9
	s_delay_alu instid0(VALU_DEP_1) | instskip(SKIP_1) | instid1(VALU_DEP_1)
	v_mul_u64_e32 v[4:5], 24, v[4:5]
	s_wait_loadcnt 0x0
	v_add_nc_u64_e32 v[4:5], v[6:7], v[4:5]
	global_load_b64 v[6:7], v[4:5], off scope:SCOPE_SYS
	s_wait_xcnt 0x0
	s_wait_loadcnt 0x0
	global_atomic_cmpswap_b64 v[6:7], v0, v[6:9], s[2:3] offset:24 th:TH_ATOMIC_RETURN scope:SCOPE_SYS
	s_wait_loadcnt 0x0
	global_inv scope:SCOPE_SYS
	s_wait_xcnt 0x0
	v_cmpx_ne_u64_e64 v[6:7], v[8:9]
	s_cbranch_execz .LBB71_93
; %bb.90:
	s_mov_b32 s5, 0
.LBB71_91:                              ; =>This Inner Loop Header: Depth=1
	s_sleep 1
	s_clause 0x1
	global_load_b64 v[4:5], v0, s[2:3] offset:40
	global_load_b64 v[10:11], v0, s[2:3]
	v_mov_b64_e32 v[8:9], v[6:7]
	s_wait_loadcnt 0x1
	s_delay_alu instid0(VALU_DEP_1) | instskip(SKIP_1) | instid1(VALU_DEP_1)
	v_and_b32_e32 v3, v4, v8
	s_wait_loadcnt 0x0
	v_mad_nc_u64_u32 v[6:7], v3, 24, v[10:11]
	s_delay_alu instid0(VALU_DEP_3) | instskip(NEXT) | instid1(VALU_DEP_1)
	v_and_b32_e32 v3, v5, v9
	v_mad_u32 v7, v3, 24, v7
	global_load_b64 v[6:7], v[6:7], off scope:SCOPE_SYS
	s_wait_xcnt 0x0
	s_wait_loadcnt 0x0
	global_atomic_cmpswap_b64 v[6:7], v0, v[6:9], s[2:3] offset:24 th:TH_ATOMIC_RETURN scope:SCOPE_SYS
	s_wait_loadcnt 0x0
	global_inv scope:SCOPE_SYS
	v_cmp_eq_u64_e32 vcc_lo, v[6:7], v[8:9]
	s_or_b32 s5, vcc_lo, s5
	s_wait_xcnt 0x0
	s_and_not1_b32 exec_lo, exec_lo, s5
	s_cbranch_execnz .LBB71_91
; %bb.92:
	s_or_b32 exec_lo, exec_lo, s5
.LBB71_93:
	s_delay_alu instid0(SALU_CYCLE_1)
	s_or_b32 exec_lo, exec_lo, s4
.LBB71_94:
	s_delay_alu instid0(SALU_CYCLE_1)
	s_or_b32 exec_lo, exec_lo, s1
	v_readfirstlane_b32 s4, v6
	v_mov_b32_e32 v5, 0
	v_readfirstlane_b32 s5, v7
	s_mov_b32 s1, exec_lo
	s_wait_kmcnt 0x0
	s_clause 0x1
	global_load_b64 v[12:13], v5, s[2:3] offset:40
	global_load_b128 v[8:11], v5, s[2:3]
	s_wait_loadcnt 0x1
	v_and_b32_e32 v14, s4, v12
	v_and_b32_e32 v15, s5, v13
	s_delay_alu instid0(VALU_DEP_1) | instskip(SKIP_1) | instid1(VALU_DEP_1)
	v_mul_u64_e32 v[6:7], 24, v[14:15]
	s_wait_loadcnt 0x0
	v_add_nc_u64_e32 v[12:13], v[8:9], v[6:7]
	s_wait_xcnt 0x0
	s_and_saveexec_b32 s6, s0
	s_cbranch_execz .LBB71_96
; %bb.95:
	v_mov_b64_e32 v[6:7], 0x100000002
	v_mov_b32_e32 v4, s1
	global_store_b128 v[12:13], v[4:7], off offset:8
.LBB71_96:
	s_wait_xcnt 0x0
	s_or_b32 exec_lo, exec_lo, s6
	v_lshlrev_b64_e32 v[6:7], 12, v[14:15]
	s_mov_b32 s8, 0
	v_and_or_b32 v0, 0xffffff1f, v2, 32
	s_mov_b32 s10, s8
	s_mov_b32 s11, s8
	;; [unrolled: 1-line block ×3, first 2 shown]
	v_mov_b64_e32 v[16:17], s[10:11]
	v_add_nc_u64_e32 v[6:7], v[10:11], v[6:7]
	v_mov_b64_e32 v[14:15], s[8:9]
	v_dual_lshlrev_b32 v4, 6, v30 :: v_dual_mov_b32 v2, v5
	v_mov_b32_e32 v3, v5
	s_delay_alu instid0(VALU_DEP_4)
	v_readfirstlane_b32 s6, v6
	v_readfirstlane_b32 s7, v7
	s_clause 0x3
	global_store_b128 v4, v[0:3], s[6:7]
	global_store_b128 v4, v[14:17], s[6:7] offset:16
	global_store_b128 v4, v[14:17], s[6:7] offset:32
	;; [unrolled: 1-line block ×3, first 2 shown]
	s_wait_xcnt 0x0
	s_and_saveexec_b32 s1, s0
	s_cbranch_execz .LBB71_104
; %bb.97:
	v_dual_mov_b32 v10, 0 :: v_dual_mov_b32 v15, s5
	s_mov_b32 s6, exec_lo
	s_clause 0x1
	global_load_b64 v[16:17], v10, s[2:3] offset:32 scope:SCOPE_SYS
	global_load_b64 v[0:1], v10, s[2:3] offset:40
	s_wait_loadcnt 0x0
	v_dual_mov_b32 v14, s4 :: v_dual_bitop2_b32 v1, s5, v1 bitop3:0x40
	v_and_b32_e32 v0, s4, v0
	s_delay_alu instid0(VALU_DEP_1) | instskip(NEXT) | instid1(VALU_DEP_1)
	v_mul_u64_e32 v[0:1], 24, v[0:1]
	v_add_nc_u64_e32 v[8:9], v[8:9], v[0:1]
	global_store_b64 v[8:9], v[16:17], off
	global_wb scope:SCOPE_SYS
	s_wait_storecnt 0x0
	s_wait_xcnt 0x0
	global_atomic_cmpswap_b64 v[2:3], v10, v[14:17], s[2:3] offset:32 th:TH_ATOMIC_RETURN scope:SCOPE_SYS
	s_wait_loadcnt 0x0
	v_cmpx_ne_u64_e64 v[2:3], v[16:17]
	s_cbranch_execz .LBB71_100
; %bb.98:
	s_mov_b32 s7, 0
.LBB71_99:                              ; =>This Inner Loop Header: Depth=1
	v_dual_mov_b32 v0, s4 :: v_dual_mov_b32 v1, s5
	s_sleep 1
	global_store_b64 v[8:9], v[2:3], off
	global_wb scope:SCOPE_SYS
	s_wait_storecnt 0x0
	s_wait_xcnt 0x0
	global_atomic_cmpswap_b64 v[0:1], v10, v[0:3], s[2:3] offset:32 th:TH_ATOMIC_RETURN scope:SCOPE_SYS
	s_wait_loadcnt 0x0
	v_cmp_eq_u64_e32 vcc_lo, v[0:1], v[2:3]
	v_mov_b64_e32 v[2:3], v[0:1]
	s_or_b32 s7, vcc_lo, s7
	s_delay_alu instid0(SALU_CYCLE_1)
	s_and_not1_b32 exec_lo, exec_lo, s7
	s_cbranch_execnz .LBB71_99
.LBB71_100:
	s_or_b32 exec_lo, exec_lo, s6
	v_mov_b32_e32 v3, 0
	s_mov_b32 s7, exec_lo
	s_mov_b32 s6, exec_lo
	v_mbcnt_lo_u32_b32 v2, s7, 0
	global_load_b64 v[0:1], v3, s[2:3] offset:16
	s_wait_xcnt 0x0
	v_cmpx_eq_u32_e32 0, v2
	s_cbranch_execz .LBB71_102
; %bb.101:
	s_bcnt1_i32_b32 s7, s7
	s_delay_alu instid0(SALU_CYCLE_1)
	v_mov_b32_e32 v2, s7
	global_wb scope:SCOPE_SYS
	s_wait_loadcnt 0x0
	s_wait_storecnt 0x0
	global_atomic_add_u64 v[0:1], v[2:3], off offset:8 scope:SCOPE_SYS
.LBB71_102:
	s_wait_xcnt 0x0
	s_or_b32 exec_lo, exec_lo, s6
	s_wait_loadcnt 0x0
	global_load_b64 v[2:3], v[0:1], off offset:16
	s_wait_loadcnt 0x0
	v_cmp_eq_u64_e32 vcc_lo, 0, v[2:3]
	s_cbranch_vccnz .LBB71_104
; %bb.103:
	global_load_b32 v0, v[0:1], off offset:24
	s_wait_xcnt 0x0
	v_mov_b32_e32 v1, 0
	s_wait_loadcnt 0x0
	v_readfirstlane_b32 s6, v0
	global_wb scope:SCOPE_SYS
	s_wait_storecnt 0x0
	global_store_b64 v[2:3], v[0:1], off scope:SCOPE_SYS
	s_and_b32 m0, s6, 0xffffff
	s_sendmsg sendmsg(MSG_INTERRUPT)
.LBB71_104:
	s_wait_xcnt 0x0
	s_or_b32 exec_lo, exec_lo, s1
	v_add_nc_u64_e32 v[0:1], v[6:7], v[4:5]
	s_branch .LBB71_108
.LBB71_105:                             ;   in Loop: Header=BB71_108 Depth=1
	s_wait_xcnt 0x0
	s_or_b32 exec_lo, exec_lo, s1
	s_delay_alu instid0(VALU_DEP_1)
	v_readfirstlane_b32 s1, v2
	s_cmp_eq_u32 s1, 0
	s_cbranch_scc1 .LBB71_107
; %bb.106:                              ;   in Loop: Header=BB71_108 Depth=1
	s_sleep 1
	s_cbranch_execnz .LBB71_108
	s_branch .LBB71_110
.LBB71_107:
	s_branch .LBB71_110
.LBB71_108:                             ; =>This Inner Loop Header: Depth=1
	v_mov_b32_e32 v2, 1
	s_and_saveexec_b32 s1, s0
	s_cbranch_execz .LBB71_105
; %bb.109:                              ;   in Loop: Header=BB71_108 Depth=1
	global_load_b32 v2, v[12:13], off offset:20 scope:SCOPE_SYS
	s_wait_loadcnt 0x0
	global_inv scope:SCOPE_SYS
	v_and_b32_e32 v2, 1, v2
	s_branch .LBB71_105
.LBB71_110:
	global_load_b64 v[6:7], v[0:1], off
	s_wait_xcnt 0x0
	s_and_saveexec_b32 s6, s0
	s_cbranch_execz .LBB71_114
; %bb.111:
	v_mov_b32_e32 v8, 0
	s_clause 0x2
	global_load_b64 v[0:1], v8, s[2:3] offset:40
	global_load_b64 v[12:13], v8, s[2:3] offset:24 scope:SCOPE_SYS
	global_load_b64 v[2:3], v8, s[2:3]
	s_wait_loadcnt 0x2
	v_readfirstlane_b32 s8, v0
	v_readfirstlane_b32 s9, v1
	s_add_nc_u64 s[0:1], s[8:9], 1
	s_delay_alu instid0(SALU_CYCLE_1) | instskip(NEXT) | instid1(SALU_CYCLE_1)
	s_add_nc_u64 s[4:5], s[0:1], s[4:5]
	s_cmp_eq_u64 s[4:5], 0
	s_cselect_b32 s1, s1, s5
	s_cselect_b32 s0, s0, s4
	v_mov_b32_e32 v11, s1
	s_and_b64 s[4:5], s[0:1], s[8:9]
	v_mov_b32_e32 v10, s0
	s_mul_u64 s[4:5], s[4:5], 24
	s_wait_loadcnt 0x0
	v_add_nc_u64_e32 v[4:5], s[4:5], v[2:3]
	global_store_b64 v[4:5], v[12:13], off
	global_wb scope:SCOPE_SYS
	s_wait_storecnt 0x0
	s_wait_xcnt 0x0
	global_atomic_cmpswap_b64 v[2:3], v8, v[10:13], s[2:3] offset:24 th:TH_ATOMIC_RETURN scope:SCOPE_SYS
	s_wait_loadcnt 0x0
	v_cmp_ne_u64_e32 vcc_lo, v[2:3], v[12:13]
	s_and_b32 exec_lo, exec_lo, vcc_lo
	s_cbranch_execz .LBB71_114
; %bb.112:
	s_mov_b32 s4, 0
.LBB71_113:                             ; =>This Inner Loop Header: Depth=1
	v_dual_mov_b32 v0, s0 :: v_dual_mov_b32 v1, s1
	s_sleep 1
	global_store_b64 v[4:5], v[2:3], off
	global_wb scope:SCOPE_SYS
	s_wait_storecnt 0x0
	s_wait_xcnt 0x0
	global_atomic_cmpswap_b64 v[0:1], v8, v[0:3], s[2:3] offset:24 th:TH_ATOMIC_RETURN scope:SCOPE_SYS
	s_wait_loadcnt 0x0
	v_cmp_eq_u64_e32 vcc_lo, v[0:1], v[2:3]
	v_mov_b64_e32 v[2:3], v[0:1]
	s_or_b32 s4, vcc_lo, s4
	s_delay_alu instid0(SALU_CYCLE_1)
	s_and_not1_b32 exec_lo, exec_lo, s4
	s_cbranch_execnz .LBB71_113
.LBB71_114:
	s_or_b32 exec_lo, exec_lo, s6
	s_wait_loadcnt 0x0
	v_dual_mov_b32 v0, v6 :: v_dual_mov_b32 v1, v7
	s_wait_kmcnt 0x0
	s_set_pc_i64 s[30:31]
.Lfunc_end71:
	.size	__ockl_printf_append_string_n, .Lfunc_end71-__ockl_printf_append_string_n
                                        ; -- End function
	.set .L__ockl_printf_append_string_n.num_vgpr, 50
	.set .L__ockl_printf_append_string_n.num_agpr, 0
	.set .L__ockl_printf_append_string_n.numbered_sgpr, 32
	.set .L__ockl_printf_append_string_n.num_named_barrier, 0
	.set .L__ockl_printf_append_string_n.private_seg_size, 0
	.set .L__ockl_printf_append_string_n.uses_vcc, 1
	.set .L__ockl_printf_append_string_n.uses_flat_scratch, 0
	.set .L__ockl_printf_append_string_n.has_dyn_sized_stack, 0
	.set .L__ockl_printf_append_string_n.has_recursion, 0
	.set .L__ockl_printf_append_string_n.has_indirect_call, 0
	.section	.AMDGPU.csdata,"",@progbits
; Function info:
; codeLenInByte = 4348
; TotalNumSgprs: 34
; NumVgprs: 50
; ScratchSize: 0
; MemoryBound: 0
	.text
	.p2align	2                               ; -- Begin function __ockl_printf_append_args
	.type	__ockl_printf_append_args,@function
__ockl_printf_append_args:              ; @__ockl_printf_append_args
; %bb.0:
	s_wait_loadcnt_dscnt 0x0
	s_wait_kmcnt 0x0
	s_load_b64 s[2:3], s[8:9], 0x50
	v_mbcnt_lo_u32_b32 v5, -1, 0
	v_mov_b64_e32 v[12:13], 0
	s_delay_alu instid0(VALU_DEP_2) | instskip(NEXT) | instid1(VALU_DEP_1)
	v_readfirstlane_b32 s0, v5
	v_cmp_eq_u32_e64 s0, s0, v5
	s_and_saveexec_b32 s1, s0
	s_cbranch_execz .LBB72_6
; %bb.1:
	v_mov_b32_e32 v6, 0
	s_mov_b32 s4, exec_lo
	s_wait_kmcnt 0x0
	global_load_b64 v[10:11], v6, s[2:3] offset:24 scope:SCOPE_SYS
	s_wait_loadcnt 0x0
	global_inv scope:SCOPE_SYS
	s_clause 0x1
	global_load_b64 v[8:9], v6, s[2:3] offset:40
	global_load_b64 v[12:13], v6, s[2:3]
	s_wait_loadcnt 0x1
	v_and_b32_e32 v8, v8, v10
	v_and_b32_e32 v9, v9, v11
	s_delay_alu instid0(VALU_DEP_1) | instskip(SKIP_1) | instid1(VALU_DEP_1)
	v_mul_u64_e32 v[8:9], 24, v[8:9]
	s_wait_loadcnt 0x0
	v_add_nc_u64_e32 v[8:9], v[12:13], v[8:9]
	global_load_b64 v[8:9], v[8:9], off scope:SCOPE_SYS
	s_wait_xcnt 0x0
	s_wait_loadcnt 0x0
	global_atomic_cmpswap_b64 v[12:13], v6, v[8:11], s[2:3] offset:24 th:TH_ATOMIC_RETURN scope:SCOPE_SYS
	s_wait_loadcnt 0x0
	global_inv scope:SCOPE_SYS
	s_wait_xcnt 0x0
	v_cmpx_ne_u64_e64 v[12:13], v[10:11]
	s_cbranch_execz .LBB72_5
; %bb.2:
	s_mov_b32 s5, 0
.LBB72_3:                               ; =>This Inner Loop Header: Depth=1
	s_sleep 1
	s_clause 0x1
	global_load_b64 v[8:9], v6, s[2:3] offset:40
	global_load_b64 v[14:15], v6, s[2:3]
	v_mov_b64_e32 v[10:11], v[12:13]
	s_wait_loadcnt 0x1
	s_delay_alu instid0(VALU_DEP_1) | instskip(SKIP_1) | instid1(VALU_DEP_1)
	v_and_b32_e32 v7, v8, v10
	s_wait_loadcnt 0x0
	v_mad_nc_u64_u32 v[12:13], v7, 24, v[14:15]
	s_delay_alu instid0(VALU_DEP_3) | instskip(NEXT) | instid1(VALU_DEP_1)
	v_and_b32_e32 v7, v9, v11
	v_mad_u32 v13, v7, 24, v13
	global_load_b64 v[8:9], v[12:13], off scope:SCOPE_SYS
	s_wait_xcnt 0x0
	s_wait_loadcnt 0x0
	global_atomic_cmpswap_b64 v[12:13], v6, v[8:11], s[2:3] offset:24 th:TH_ATOMIC_RETURN scope:SCOPE_SYS
	s_wait_loadcnt 0x0
	global_inv scope:SCOPE_SYS
	v_cmp_eq_u64_e32 vcc_lo, v[12:13], v[10:11]
	s_or_b32 s5, vcc_lo, s5
	s_wait_xcnt 0x0
	s_and_not1_b32 exec_lo, exec_lo, s5
	s_cbranch_execnz .LBB72_3
; %bb.4:
	s_or_b32 exec_lo, exec_lo, s5
.LBB72_5:
	s_delay_alu instid0(SALU_CYCLE_1)
	s_or_b32 exec_lo, exec_lo, s4
.LBB72_6:
	s_delay_alu instid0(SALU_CYCLE_1)
	s_or_b32 exec_lo, exec_lo, s1
	v_readfirstlane_b32 s4, v12
	v_mov_b32_e32 v11, 0
	v_readfirstlane_b32 s5, v13
	s_mov_b32 s1, exec_lo
	s_wait_kmcnt 0x0
	s_clause 0x1
	global_load_b64 v[14:15], v11, s[2:3] offset:40
	global_load_b128 v[6:9], v11, s[2:3]
	s_wait_loadcnt 0x1
	v_and_b32_e32 v16, s4, v14
	v_and_b32_e32 v17, s5, v15
	s_delay_alu instid0(VALU_DEP_1) | instskip(SKIP_1) | instid1(VALU_DEP_1)
	v_mul_u64_e32 v[12:13], 24, v[16:17]
	s_wait_loadcnt 0x0
	v_add_nc_u64_e32 v[14:15], v[6:7], v[12:13]
	s_wait_xcnt 0x0
	s_and_saveexec_b32 s6, s0
	s_cbranch_execz .LBB72_8
; %bb.7:
	v_mov_b64_e32 v[12:13], 0x100000002
	v_mov_b32_e32 v10, s1
	global_store_b128 v[14:15], v[10:13], off offset:8
.LBB72_8:
	s_wait_xcnt 0x0
	s_or_b32 exec_lo, exec_lo, s6
	v_lshlrev_b64_e32 v[10:11], 12, v[16:17]
	v_or_b32_e32 v12, 2, v0
	v_cmp_eq_u32_e32 vcc_lo, 0, v4
	s_mov_b32 s8, 0
	v_lshlrev_b32_e32 v4, 6, v5
	s_mov_b32 s9, s8
	s_mov_b32 s10, s8
	v_add_nc_u64_e32 v[8:9], v[8:9], v[10:11]
	v_cndmask_b32_e32 v0, v12, v0, vcc_lo
	s_mov_b32 s11, s8
	s_delay_alu instid0(VALU_DEP_1) | instskip(NEXT) | instid1(VALU_DEP_3)
	v_and_or_b32 v0, 0xffffff1f, v0, 32
	v_readfirstlane_b32 s6, v8
	s_delay_alu instid0(VALU_DEP_4)
	v_readfirstlane_b32 s7, v9
	v_mov_b64_e32 v[8:9], s[8:9]
	v_mov_b64_e32 v[10:11], s[10:11]
	s_clause 0x3
	global_store_b128 v4, v[0:3], s[6:7]
	global_store_b128 v4, v[8:11], s[6:7] offset:16
	global_store_b128 v4, v[8:11], s[6:7] offset:32
	;; [unrolled: 1-line block ×3, first 2 shown]
	s_wait_xcnt 0x0
	s_and_saveexec_b32 s1, s0
	s_cbranch_execz .LBB72_16
; %bb.9:
	v_dual_mov_b32 v8, 0 :: v_dual_mov_b32 v11, s5
	s_mov_b32 s6, exec_lo
	s_clause 0x1
	global_load_b64 v[12:13], v8, s[2:3] offset:32 scope:SCOPE_SYS
	global_load_b64 v[0:1], v8, s[2:3] offset:40
	s_wait_loadcnt 0x0
	v_dual_mov_b32 v10, s4 :: v_dual_bitop2_b32 v1, s5, v1 bitop3:0x40
	v_and_b32_e32 v0, s4, v0
	s_delay_alu instid0(VALU_DEP_1) | instskip(NEXT) | instid1(VALU_DEP_1)
	v_mul_u64_e32 v[0:1], 24, v[0:1]
	v_add_nc_u64_e32 v[4:5], v[6:7], v[0:1]
	global_store_b64 v[4:5], v[12:13], off
	global_wb scope:SCOPE_SYS
	s_wait_storecnt 0x0
	s_wait_xcnt 0x0
	global_atomic_cmpswap_b64 v[2:3], v8, v[10:13], s[2:3] offset:32 th:TH_ATOMIC_RETURN scope:SCOPE_SYS
	s_wait_loadcnt 0x0
	v_cmpx_ne_u64_e64 v[2:3], v[12:13]
	s_cbranch_execz .LBB72_12
; %bb.10:
	s_mov_b32 s7, 0
.LBB72_11:                              ; =>This Inner Loop Header: Depth=1
	v_dual_mov_b32 v0, s4 :: v_dual_mov_b32 v1, s5
	s_sleep 1
	global_store_b64 v[4:5], v[2:3], off
	global_wb scope:SCOPE_SYS
	s_wait_storecnt 0x0
	s_wait_xcnt 0x0
	global_atomic_cmpswap_b64 v[0:1], v8, v[0:3], s[2:3] offset:32 th:TH_ATOMIC_RETURN scope:SCOPE_SYS
	s_wait_loadcnt 0x0
	v_cmp_eq_u64_e32 vcc_lo, v[0:1], v[2:3]
	v_mov_b64_e32 v[2:3], v[0:1]
	s_or_b32 s7, vcc_lo, s7
	s_delay_alu instid0(SALU_CYCLE_1)
	s_and_not1_b32 exec_lo, exec_lo, s7
	s_cbranch_execnz .LBB72_11
.LBB72_12:
	s_or_b32 exec_lo, exec_lo, s6
	v_mov_b32_e32 v3, 0
	s_mov_b32 s7, exec_lo
	s_mov_b32 s6, exec_lo
	v_mbcnt_lo_u32_b32 v2, s7, 0
	global_load_b64 v[0:1], v3, s[2:3] offset:16
	s_wait_xcnt 0x0
	v_cmpx_eq_u32_e32 0, v2
	s_cbranch_execz .LBB72_14
; %bb.13:
	s_bcnt1_i32_b32 s7, s7
	s_delay_alu instid0(SALU_CYCLE_1)
	v_mov_b32_e32 v2, s7
	global_wb scope:SCOPE_SYS
	s_wait_loadcnt 0x0
	s_wait_storecnt 0x0
	global_atomic_add_u64 v[0:1], v[2:3], off offset:8 scope:SCOPE_SYS
.LBB72_14:
	s_wait_xcnt 0x0
	s_or_b32 exec_lo, exec_lo, s6
	s_wait_loadcnt 0x0
	global_load_b64 v[2:3], v[0:1], off offset:16
	s_wait_loadcnt 0x0
	v_cmp_eq_u64_e32 vcc_lo, 0, v[2:3]
	s_cbranch_vccnz .LBB72_16
; %bb.15:
	global_load_b32 v0, v[0:1], off offset:24
	s_wait_xcnt 0x0
	v_mov_b32_e32 v1, 0
	s_wait_loadcnt 0x0
	v_readfirstlane_b32 s6, v0
	global_wb scope:SCOPE_SYS
	s_wait_storecnt 0x0
	global_store_b64 v[2:3], v[0:1], off scope:SCOPE_SYS
	s_and_b32 m0, s6, 0xffffff
	s_sendmsg sendmsg(MSG_INTERRUPT)
.LBB72_16:
	s_wait_xcnt 0x0
	s_or_b32 exec_lo, exec_lo, s1
	s_branch .LBB72_20
.LBB72_17:                              ;   in Loop: Header=BB72_20 Depth=1
	s_wait_xcnt 0x0
	s_or_b32 exec_lo, exec_lo, s1
	s_delay_alu instid0(VALU_DEP_1)
	v_readfirstlane_b32 s1, v0
	s_cmp_eq_u32 s1, 0
	s_cbranch_scc1 .LBB72_19
; %bb.18:                               ;   in Loop: Header=BB72_20 Depth=1
	s_sleep 1
	s_cbranch_execnz .LBB72_20
	s_branch .LBB72_22
.LBB72_19:
	s_branch .LBB72_22
.LBB72_20:                              ; =>This Inner Loop Header: Depth=1
	v_mov_b32_e32 v0, 1
	s_and_saveexec_b32 s1, s0
	s_cbranch_execz .LBB72_17
; %bb.21:                               ;   in Loop: Header=BB72_20 Depth=1
	global_load_b32 v0, v[14:15], off offset:20 scope:SCOPE_SYS
	s_wait_loadcnt 0x0
	global_inv scope:SCOPE_SYS
	v_and_b32_e32 v0, 1, v0
	s_branch .LBB72_17
.LBB72_22:
	s_and_saveexec_b32 s6, s0
	s_cbranch_execz .LBB72_26
; %bb.23:
	v_mov_b32_e32 v6, 0
	s_clause 0x2
	global_load_b64 v[0:1], v6, s[2:3] offset:40
	global_load_b64 v[10:11], v6, s[2:3] offset:24 scope:SCOPE_SYS
	global_load_b64 v[2:3], v6, s[2:3]
	s_wait_loadcnt 0x2
	v_readfirstlane_b32 s8, v0
	v_readfirstlane_b32 s9, v1
	s_add_nc_u64 s[0:1], s[8:9], 1
	s_delay_alu instid0(SALU_CYCLE_1) | instskip(NEXT) | instid1(SALU_CYCLE_1)
	s_add_nc_u64 s[4:5], s[0:1], s[4:5]
	s_cmp_eq_u64 s[4:5], 0
	s_cselect_b32 s1, s1, s5
	s_cselect_b32 s0, s0, s4
	v_mov_b32_e32 v9, s1
	s_and_b64 s[4:5], s[0:1], s[8:9]
	v_mov_b32_e32 v8, s0
	s_mul_u64 s[4:5], s[4:5], 24
	s_wait_loadcnt 0x0
	v_add_nc_u64_e32 v[4:5], s[4:5], v[2:3]
	global_store_b64 v[4:5], v[10:11], off
	global_wb scope:SCOPE_SYS
	s_wait_storecnt 0x0
	s_wait_xcnt 0x0
	global_atomic_cmpswap_b64 v[2:3], v6, v[8:11], s[2:3] offset:24 th:TH_ATOMIC_RETURN scope:SCOPE_SYS
	s_wait_loadcnt 0x0
	v_cmp_ne_u64_e32 vcc_lo, v[2:3], v[10:11]
	s_and_b32 exec_lo, exec_lo, vcc_lo
	s_cbranch_execz .LBB72_26
; %bb.24:
	s_mov_b32 s4, 0
.LBB72_25:                              ; =>This Inner Loop Header: Depth=1
	v_dual_mov_b32 v0, s0 :: v_dual_mov_b32 v1, s1
	s_sleep 1
	global_store_b64 v[4:5], v[2:3], off
	global_wb scope:SCOPE_SYS
	s_wait_storecnt 0x0
	s_wait_xcnt 0x0
	global_atomic_cmpswap_b64 v[0:1], v6, v[0:3], s[2:3] offset:24 th:TH_ATOMIC_RETURN scope:SCOPE_SYS
	s_wait_loadcnt 0x0
	v_cmp_eq_u64_e32 vcc_lo, v[0:1], v[2:3]
	v_mov_b64_e32 v[2:3], v[0:1]
	s_or_b32 s4, vcc_lo, s4
	s_delay_alu instid0(SALU_CYCLE_1)
	s_and_not1_b32 exec_lo, exec_lo, s4
	s_cbranch_execnz .LBB72_25
.LBB72_26:
	s_or_b32 exec_lo, exec_lo, s6
	s_wait_loadcnt 0x0
	s_wait_kmcnt 0x0
	s_set_pc_i64 s[30:31]
.Lfunc_end72:
	.size	__ockl_printf_append_args, .Lfunc_end72-__ockl_printf_append_args
                                        ; -- End function
	.set .L__ockl_printf_append_args.num_vgpr, 18
	.set .L__ockl_printf_append_args.num_agpr, 0
	.set .L__ockl_printf_append_args.numbered_sgpr, 32
	.set .L__ockl_printf_append_args.num_named_barrier, 0
	.set .L__ockl_printf_append_args.private_seg_size, 0
	.set .L__ockl_printf_append_args.uses_vcc, 1
	.set .L__ockl_printf_append_args.uses_flat_scratch, 0
	.set .L__ockl_printf_append_args.has_dyn_sized_stack, 0
	.set .L__ockl_printf_append_args.has_recursion, 0
	.set .L__ockl_printf_append_args.has_indirect_call, 0
	.section	.AMDGPU.csdata,"",@progbits
; Function info:
; codeLenInByte = 1436
; TotalNumSgprs: 34
; NumVgprs: 18
; ScratchSize: 0
; MemoryBound: 0
	.text
	.p2align	2                               ; -- Begin function _ZL14no_device_codePKciS0_iS0_
	.type	_ZL14no_device_codePKciS0_iS0_,@function
_ZL14no_device_codePKciS0_iS0_:         ; @_ZL14no_device_codePKciS0_iS0_
; %bb.0:
	s_wait_loadcnt_dscnt 0x0
	s_wait_kmcnt 0x0
	s_mov_b32 s20, s33
	s_mov_b32 s33, s32
	s_or_saveexec_b32 s0, -1
	scratch_store_b32 off, v40, s33         ; 4-byte Folded Spill
	s_wait_xcnt 0x0
	s_mov_b32 exec_lo, s0
	v_writelane_b32 v40, s30, 0
	s_add_co_i32 s32, s32, 16
	v_writelane_b32 v40, s31, 1
	s_load_b64 s[2:3], s[8:9], 0x50
	v_mbcnt_lo_u32_b32 v29, -1, 0
	v_mov_b64_e32 v[2:3], 0
	s_delay_alu instid0(VALU_DEP_2) | instskip(NEXT) | instid1(VALU_DEP_1)
	v_readfirstlane_b32 s0, v29
	v_cmp_eq_u32_e64 s0, s0, v29
	s_and_saveexec_b32 s1, s0
	s_cbranch_execz .LBB73_6
; %bb.1:
	v_mov_b32_e32 v0, 0
	s_mov_b32 s4, exec_lo
	s_wait_kmcnt 0x0
	global_load_b64 v[4:5], v0, s[2:3] offset:24 scope:SCOPE_SYS
	s_wait_loadcnt 0x0
	global_inv scope:SCOPE_SYS
	s_clause 0x1
	global_load_b64 v[2:3], v0, s[2:3] offset:40
	global_load_b64 v[6:7], v0, s[2:3]
	s_wait_loadcnt 0x1
	v_and_b32_e32 v2, v2, v4
	v_and_b32_e32 v3, v3, v5
	s_delay_alu instid0(VALU_DEP_1) | instskip(SKIP_1) | instid1(VALU_DEP_1)
	v_mul_u64_e32 v[2:3], 24, v[2:3]
	s_wait_loadcnt 0x0
	v_add_nc_u64_e32 v[2:3], v[6:7], v[2:3]
	global_load_b64 v[2:3], v[2:3], off scope:SCOPE_SYS
	s_wait_xcnt 0x0
	s_wait_loadcnt 0x0
	global_atomic_cmpswap_b64 v[2:3], v0, v[2:5], s[2:3] offset:24 th:TH_ATOMIC_RETURN scope:SCOPE_SYS
	s_wait_loadcnt 0x0
	global_inv scope:SCOPE_SYS
	s_wait_xcnt 0x0
	v_cmpx_ne_u64_e64 v[2:3], v[4:5]
	s_cbranch_execz .LBB73_5
; %bb.2:
	s_mov_b32 s5, 0
.LBB73_3:                               ; =>This Inner Loop Header: Depth=1
	s_sleep 1
	s_clause 0x1
	global_load_b64 v[6:7], v0, s[2:3] offset:40
	global_load_b64 v[8:9], v0, s[2:3]
	v_mov_b64_e32 v[4:5], v[2:3]
	s_wait_loadcnt 0x1
	s_delay_alu instid0(VALU_DEP_1) | instskip(SKIP_1) | instid1(VALU_DEP_1)
	v_and_b32_e32 v1, v6, v4
	s_wait_loadcnt 0x0
	v_mad_nc_u64_u32 v[2:3], v1, 24, v[8:9]
	s_delay_alu instid0(VALU_DEP_3) | instskip(NEXT) | instid1(VALU_DEP_1)
	v_and_b32_e32 v1, v7, v5
	v_mad_u32 v3, v1, 24, v3
	global_load_b64 v[2:3], v[2:3], off scope:SCOPE_SYS
	s_wait_xcnt 0x0
	s_wait_loadcnt 0x0
	global_atomic_cmpswap_b64 v[2:3], v0, v[2:5], s[2:3] offset:24 th:TH_ATOMIC_RETURN scope:SCOPE_SYS
	s_wait_loadcnt 0x0
	global_inv scope:SCOPE_SYS
	v_cmp_eq_u64_e32 vcc_lo, v[2:3], v[4:5]
	s_or_b32 s5, vcc_lo, s5
	s_wait_xcnt 0x0
	s_and_not1_b32 exec_lo, exec_lo, s5
	s_cbranch_execnz .LBB73_3
; %bb.4:
	s_or_b32 exec_lo, exec_lo, s5
.LBB73_5:
	s_delay_alu instid0(SALU_CYCLE_1)
	s_or_b32 exec_lo, exec_lo, s4
.LBB73_6:
	s_delay_alu instid0(SALU_CYCLE_1)
	s_or_b32 exec_lo, exec_lo, s1
	v_readfirstlane_b32 s4, v2
	v_mov_b32_e32 v1, 0
	v_readfirstlane_b32 s5, v3
	s_mov_b32 s1, exec_lo
	s_wait_kmcnt 0x0
	s_clause 0x1
	global_load_b64 v[8:9], v1, s[2:3] offset:40
	global_load_b128 v[4:7], v1, s[2:3]
	s_wait_loadcnt 0x1
	v_and_b32_e32 v10, s4, v8
	v_and_b32_e32 v11, s5, v9
	s_delay_alu instid0(VALU_DEP_1) | instskip(SKIP_1) | instid1(VALU_DEP_1)
	v_mul_u64_e32 v[2:3], 24, v[10:11]
	s_wait_loadcnt 0x0
	v_add_nc_u64_e32 v[8:9], v[4:5], v[2:3]
	s_wait_xcnt 0x0
	s_and_saveexec_b32 s6, s0
	s_cbranch_execz .LBB73_8
; %bb.7:
	v_mov_b64_e32 v[2:3], 0x100000002
	v_mov_b32_e32 v0, s1
	global_store_b128 v[8:9], v[0:3], off offset:8
.LBB73_8:
	s_wait_xcnt 0x0
	s_or_b32 exec_lo, exec_lo, s6
	v_lshlrev_b64_e32 v[2:3], 12, v[10:11]
	s_mov_b32 s12, 0
	v_dual_lshlrev_b32 v0, 6, v29 :: v_dual_mov_b32 v10, 33
	s_mov_b32 s14, s12
	s_mov_b32 s15, s12
	;; [unrolled: 1-line block ×3, first 2 shown]
	s_delay_alu instid0(VALU_DEP_2)
	v_add_nc_u64_e32 v[6:7], v[6:7], v[2:3]
	v_mov_b64_e32 v[16:17], s[14:15]
	v_mov_b64_e32 v[14:15], s[12:13]
	v_dual_mov_b32 v11, v1 :: v_dual_mov_b32 v12, v1
	v_mov_b32_e32 v13, v1
	v_readfirstlane_b32 s6, v6
	v_readfirstlane_b32 s7, v7
	s_clause 0x3
	global_store_b128 v0, v[10:13], s[6:7]
	global_store_b128 v0, v[14:17], s[6:7] offset:16
	global_store_b128 v0, v[14:17], s[6:7] offset:32
	;; [unrolled: 1-line block ×3, first 2 shown]
	s_wait_xcnt 0x0
	s_and_saveexec_b32 s1, s0
	s_cbranch_execz .LBB73_16
; %bb.9:
	v_dual_mov_b32 v12, 0 :: v_dual_mov_b32 v15, s5
	s_mov_b32 s6, exec_lo
	s_clause 0x1
	global_load_b64 v[16:17], v12, s[2:3] offset:32 scope:SCOPE_SYS
	global_load_b64 v[2:3], v12, s[2:3] offset:40
	s_wait_loadcnt 0x0
	v_dual_mov_b32 v14, s4 :: v_dual_bitop2_b32 v3, s5, v3 bitop3:0x40
	v_and_b32_e32 v2, s4, v2
	s_delay_alu instid0(VALU_DEP_1) | instskip(NEXT) | instid1(VALU_DEP_1)
	v_mul_u64_e32 v[2:3], 24, v[2:3]
	v_add_nc_u64_e32 v[10:11], v[4:5], v[2:3]
	global_store_b64 v[10:11], v[16:17], off
	global_wb scope:SCOPE_SYS
	s_wait_storecnt 0x0
	s_wait_xcnt 0x0
	global_atomic_cmpswap_b64 v[4:5], v12, v[14:17], s[2:3] offset:32 th:TH_ATOMIC_RETURN scope:SCOPE_SYS
	s_wait_loadcnt 0x0
	v_cmpx_ne_u64_e64 v[4:5], v[16:17]
	s_cbranch_execz .LBB73_12
; %bb.10:
	s_mov_b32 s7, 0
.LBB73_11:                              ; =>This Inner Loop Header: Depth=1
	v_dual_mov_b32 v2, s4 :: v_dual_mov_b32 v3, s5
	s_sleep 1
	global_store_b64 v[10:11], v[4:5], off
	global_wb scope:SCOPE_SYS
	s_wait_storecnt 0x0
	s_wait_xcnt 0x0
	global_atomic_cmpswap_b64 v[2:3], v12, v[2:5], s[2:3] offset:32 th:TH_ATOMIC_RETURN scope:SCOPE_SYS
	s_wait_loadcnt 0x0
	v_cmp_eq_u64_e32 vcc_lo, v[2:3], v[4:5]
	v_mov_b64_e32 v[4:5], v[2:3]
	s_or_b32 s7, vcc_lo, s7
	s_delay_alu instid0(SALU_CYCLE_1)
	s_and_not1_b32 exec_lo, exec_lo, s7
	s_cbranch_execnz .LBB73_11
.LBB73_12:
	s_or_b32 exec_lo, exec_lo, s6
	v_mov_b32_e32 v5, 0
	s_mov_b32 s7, exec_lo
	s_mov_b32 s6, exec_lo
	v_mbcnt_lo_u32_b32 v4, s7, 0
	global_load_b64 v[2:3], v5, s[2:3] offset:16
	s_wait_xcnt 0x0
	v_cmpx_eq_u32_e32 0, v4
	s_cbranch_execz .LBB73_14
; %bb.13:
	s_bcnt1_i32_b32 s7, s7
	s_delay_alu instid0(SALU_CYCLE_1)
	v_mov_b32_e32 v4, s7
	global_wb scope:SCOPE_SYS
	s_wait_loadcnt 0x0
	s_wait_storecnt 0x0
	global_atomic_add_u64 v[2:3], v[4:5], off offset:8 scope:SCOPE_SYS
.LBB73_14:
	s_wait_xcnt 0x0
	s_or_b32 exec_lo, exec_lo, s6
	s_wait_loadcnt 0x0
	global_load_b64 v[4:5], v[2:3], off offset:16
	s_wait_loadcnt 0x0
	v_cmp_eq_u64_e32 vcc_lo, 0, v[4:5]
	s_cbranch_vccnz .LBB73_16
; %bb.15:
	global_load_b32 v2, v[2:3], off offset:24
	s_wait_xcnt 0x0
	v_mov_b32_e32 v3, 0
	s_wait_loadcnt 0x0
	v_readfirstlane_b32 s6, v2
	global_wb scope:SCOPE_SYS
	s_wait_storecnt 0x0
	global_store_b64 v[4:5], v[2:3], off scope:SCOPE_SYS
	s_and_b32 m0, s6, 0xffffff
	s_sendmsg sendmsg(MSG_INTERRUPT)
.LBB73_16:
	s_wait_xcnt 0x0
	s_or_b32 exec_lo, exec_lo, s1
	v_add_nc_u64_e32 v[2:3], v[6:7], v[0:1]
	s_branch .LBB73_20
.LBB73_17:                              ;   in Loop: Header=BB73_20 Depth=1
	s_wait_xcnt 0x0
	s_or_b32 exec_lo, exec_lo, s1
	s_delay_alu instid0(VALU_DEP_1)
	v_readfirstlane_b32 s1, v1
	s_cmp_eq_u32 s1, 0
	s_cbranch_scc1 .LBB73_19
; %bb.18:                               ;   in Loop: Header=BB73_20 Depth=1
	s_sleep 1
	s_cbranch_execnz .LBB73_20
	s_branch .LBB73_22
.LBB73_19:
	s_branch .LBB73_22
.LBB73_20:                              ; =>This Inner Loop Header: Depth=1
	v_mov_b32_e32 v1, 1
	s_and_saveexec_b32 s1, s0
	s_cbranch_execz .LBB73_17
; %bb.21:                               ;   in Loop: Header=BB73_20 Depth=1
	global_load_b32 v1, v[8:9], off offset:20 scope:SCOPE_SYS
	s_wait_loadcnt 0x0
	global_inv scope:SCOPE_SYS
	v_and_b32_e32 v1, 1, v1
	s_branch .LBB73_17
.LBB73_22:
	global_load_b64 v[6:7], v[2:3], off
	s_wait_xcnt 0x0
	s_and_saveexec_b32 s6, s0
	s_cbranch_execz .LBB73_26
; %bb.23:
	v_mov_b32_e32 v1, 0
	s_clause 0x2
	global_load_b64 v[2:3], v1, s[2:3] offset:40
	global_load_b64 v[12:13], v1, s[2:3] offset:24 scope:SCOPE_SYS
	global_load_b64 v[4:5], v1, s[2:3]
	s_wait_loadcnt 0x2
	v_readfirstlane_b32 s10, v2
	v_readfirstlane_b32 s11, v3
	s_add_nc_u64 s[0:1], s[10:11], 1
	s_delay_alu instid0(SALU_CYCLE_1) | instskip(NEXT) | instid1(SALU_CYCLE_1)
	s_add_nc_u64 s[4:5], s[0:1], s[4:5]
	s_cmp_eq_u64 s[4:5], 0
	s_cselect_b32 s1, s1, s5
	s_cselect_b32 s0, s0, s4
	v_mov_b32_e32 v11, s1
	s_and_b64 s[4:5], s[0:1], s[10:11]
	v_mov_b32_e32 v10, s0
	s_mul_u64 s[4:5], s[4:5], 24
	s_wait_loadcnt 0x0
	v_add_nc_u64_e32 v[8:9], s[4:5], v[4:5]
	global_store_b64 v[8:9], v[12:13], off
	global_wb scope:SCOPE_SYS
	s_wait_storecnt 0x0
	s_wait_xcnt 0x0
	global_atomic_cmpswap_b64 v[4:5], v1, v[10:13], s[2:3] offset:24 th:TH_ATOMIC_RETURN scope:SCOPE_SYS
	s_wait_loadcnt 0x0
	v_cmp_ne_u64_e32 vcc_lo, v[4:5], v[12:13]
	s_and_b32 exec_lo, exec_lo, vcc_lo
	s_cbranch_execz .LBB73_26
; %bb.24:
	s_mov_b32 s4, 0
.LBB73_25:                              ; =>This Inner Loop Header: Depth=1
	v_dual_mov_b32 v2, s0 :: v_dual_mov_b32 v3, s1
	s_sleep 1
	global_store_b64 v[8:9], v[4:5], off
	global_wb scope:SCOPE_SYS
	s_wait_storecnt 0x0
	s_wait_xcnt 0x0
	global_atomic_cmpswap_b64 v[2:3], v1, v[2:5], s[2:3] offset:24 th:TH_ATOMIC_RETURN scope:SCOPE_SYS
	s_wait_loadcnt 0x0
	v_cmp_eq_u64_e32 vcc_lo, v[2:3], v[4:5]
	v_mov_b64_e32 v[4:5], v[2:3]
	s_or_b32 s4, vcc_lo, s4
	s_delay_alu instid0(SALU_CYCLE_1)
	s_and_not1_b32 exec_lo, exec_lo, s4
	s_cbranch_execnz .LBB73_25
.LBB73_26:
	s_or_b32 exec_lo, exec_lo, s6
	s_get_pc_i64 s[4:5]
	s_add_nc_u64 s[4:5], s[4:5], .str.5@rel64+4
	s_delay_alu instid0(SALU_CYCLE_1)
	s_cmp_lg_u64 s[4:5], 0
	s_cbranch_scc0 .LBB73_104
; %bb.27:
	v_mov_b64_e32 v[10:11], 0x100000002
	s_wait_loadcnt 0x0
	v_dual_mov_b32 v9, 0 :: v_dual_bitop2_b32 v28, 2, v6 bitop3:0x40
	v_dual_mov_b32 v3, v7 :: v_dual_bitop2_b32 v2, -3, v6 bitop3:0x40
	s_mov_b64 s[6:7], 0x4d
	s_branch .LBB73_29
.LBB73_28:                              ;   in Loop: Header=BB73_29 Depth=1
	s_or_b32 exec_lo, exec_lo, s14
	s_sub_nc_u64 s[6:7], s[6:7], s[10:11]
	s_add_nc_u64 s[4:5], s[4:5], s[10:11]
	s_cmp_lg_u64 s[6:7], 0
	s_cbranch_scc0 .LBB73_105
.LBB73_29:                              ; =>This Loop Header: Depth=1
                                        ;     Child Loop BB73_32 Depth 2
                                        ;     Child Loop BB73_39 Depth 2
	;; [unrolled: 1-line block ×11, first 2 shown]
	v_min_u64 v[4:5], s[6:7], 56
	v_cmp_gt_u64_e64 s0, s[6:7], 7
	s_and_b32 vcc_lo, exec_lo, s0
	v_readfirstlane_b32 s10, v4
	v_readfirstlane_b32 s11, v5
	s_cbranch_vccnz .LBB73_34
; %bb.30:                               ;   in Loop: Header=BB73_29 Depth=1
	v_mov_b64_e32 v[4:5], 0
	s_cmp_eq_u64 s[6:7], 0
	s_cbranch_scc1 .LBB73_33
; %bb.31:                               ;   in Loop: Header=BB73_29 Depth=1
	s_mov_b64 s[0:1], 0
	s_mov_b64 s[12:13], 0
.LBB73_32:                              ;   Parent Loop BB73_29 Depth=1
                                        ; =>  This Inner Loop Header: Depth=2
	s_wait_xcnt 0x0
	s_add_nc_u64 s[14:15], s[4:5], s[12:13]
	s_add_nc_u64 s[12:13], s[12:13], 1
	global_load_u8 v1, v9, s[14:15]
	s_cmp_lg_u32 s10, s12
	s_wait_loadcnt 0x0
	v_and_b32_e32 v8, 0xffff, v1
	s_delay_alu instid0(VALU_DEP_1) | instskip(SKIP_1) | instid1(VALU_DEP_1)
	v_lshlrev_b64_e32 v[12:13], s0, v[8:9]
	s_add_nc_u64 s[0:1], s[0:1], 8
	v_or_b32_e32 v4, v12, v4
	s_delay_alu instid0(VALU_DEP_2)
	v_or_b32_e32 v5, v13, v5
	s_cbranch_scc1 .LBB73_32
.LBB73_33:                              ;   in Loop: Header=BB73_29 Depth=1
	s_mov_b64 s[12:13], s[4:5]
	s_mov_b32 s16, 0
	s_cbranch_execz .LBB73_35
	s_branch .LBB73_36
.LBB73_34:                              ;   in Loop: Header=BB73_29 Depth=1
	s_add_nc_u64 s[12:13], s[4:5], 8
	s_mov_b32 s16, 0
.LBB73_35:                              ;   in Loop: Header=BB73_29 Depth=1
	global_load_b64 v[4:5], v9, s[4:5]
	s_add_co_i32 s16, s10, -8
.LBB73_36:                              ;   in Loop: Header=BB73_29 Depth=1
	s_delay_alu instid0(SALU_CYCLE_1)
	s_cmp_gt_u32 s16, 7
	s_cbranch_scc1 .LBB73_41
; %bb.37:                               ;   in Loop: Header=BB73_29 Depth=1
	v_mov_b64_e32 v[12:13], 0
	s_cmp_eq_u32 s16, 0
	s_cbranch_scc1 .LBB73_40
; %bb.38:                               ;   in Loop: Header=BB73_29 Depth=1
	s_mov_b64 s[0:1], 0
	s_wait_xcnt 0x0
	s_mov_b64 s[14:15], 0
.LBB73_39:                              ;   Parent Loop BB73_29 Depth=1
                                        ; =>  This Inner Loop Header: Depth=2
	s_wait_xcnt 0x0
	s_add_nc_u64 s[18:19], s[12:13], s[14:15]
	s_add_nc_u64 s[14:15], s[14:15], 1
	global_load_u8 v1, v9, s[18:19]
	s_cmp_lg_u32 s16, s14
	s_wait_loadcnt 0x0
	v_and_b32_e32 v8, 0xffff, v1
	s_delay_alu instid0(VALU_DEP_1) | instskip(SKIP_1) | instid1(VALU_DEP_1)
	v_lshlrev_b64_e32 v[14:15], s0, v[8:9]
	s_add_nc_u64 s[0:1], s[0:1], 8
	v_or_b32_e32 v12, v14, v12
	s_delay_alu instid0(VALU_DEP_2)
	v_or_b32_e32 v13, v15, v13
	s_cbranch_scc1 .LBB73_39
.LBB73_40:                              ;   in Loop: Header=BB73_29 Depth=1
	s_wait_xcnt 0x0
	s_mov_b64 s[0:1], s[12:13]
	s_mov_b32 s17, 0
	s_cbranch_execz .LBB73_42
	s_branch .LBB73_43
.LBB73_41:                              ;   in Loop: Header=BB73_29 Depth=1
	s_add_nc_u64 s[0:1], s[12:13], 8
	s_wait_xcnt 0x0
                                        ; implicit-def: $vgpr12_vgpr13
	s_mov_b32 s17, 0
.LBB73_42:                              ;   in Loop: Header=BB73_29 Depth=1
	global_load_b64 v[12:13], v9, s[12:13]
	s_add_co_i32 s17, s16, -8
.LBB73_43:                              ;   in Loop: Header=BB73_29 Depth=1
	s_delay_alu instid0(SALU_CYCLE_1)
	s_cmp_gt_u32 s17, 7
	s_cbranch_scc1 .LBB73_48
; %bb.44:                               ;   in Loop: Header=BB73_29 Depth=1
	v_mov_b64_e32 v[14:15], 0
	s_cmp_eq_u32 s17, 0
	s_cbranch_scc1 .LBB73_47
; %bb.45:                               ;   in Loop: Header=BB73_29 Depth=1
	s_wait_xcnt 0x0
	s_mov_b64 s[12:13], 0
	s_mov_b64 s[14:15], 0
.LBB73_46:                              ;   Parent Loop BB73_29 Depth=1
                                        ; =>  This Inner Loop Header: Depth=2
	s_wait_xcnt 0x0
	s_add_nc_u64 s[18:19], s[0:1], s[14:15]
	s_add_nc_u64 s[14:15], s[14:15], 1
	global_load_u8 v1, v9, s[18:19]
	s_cmp_lg_u32 s17, s14
	s_wait_loadcnt 0x0
	v_and_b32_e32 v8, 0xffff, v1
	s_delay_alu instid0(VALU_DEP_1) | instskip(SKIP_1) | instid1(VALU_DEP_1)
	v_lshlrev_b64_e32 v[16:17], s12, v[8:9]
	s_add_nc_u64 s[12:13], s[12:13], 8
	v_or_b32_e32 v14, v16, v14
	s_delay_alu instid0(VALU_DEP_2)
	v_or_b32_e32 v15, v17, v15
	s_cbranch_scc1 .LBB73_46
.LBB73_47:                              ;   in Loop: Header=BB73_29 Depth=1
	s_wait_xcnt 0x0
	s_mov_b64 s[12:13], s[0:1]
	s_mov_b32 s16, 0
	s_cbranch_execz .LBB73_49
	s_branch .LBB73_50
.LBB73_48:                              ;   in Loop: Header=BB73_29 Depth=1
	s_wait_xcnt 0x0
	s_add_nc_u64 s[12:13], s[0:1], 8
	s_mov_b32 s16, 0
.LBB73_49:                              ;   in Loop: Header=BB73_29 Depth=1
	global_load_b64 v[14:15], v9, s[0:1]
	s_add_co_i32 s16, s17, -8
.LBB73_50:                              ;   in Loop: Header=BB73_29 Depth=1
	s_delay_alu instid0(SALU_CYCLE_1)
	s_cmp_gt_u32 s16, 7
	s_cbranch_scc1 .LBB73_55
; %bb.51:                               ;   in Loop: Header=BB73_29 Depth=1
	v_mov_b64_e32 v[16:17], 0
	s_cmp_eq_u32 s16, 0
	s_cbranch_scc1 .LBB73_54
; %bb.52:                               ;   in Loop: Header=BB73_29 Depth=1
	s_wait_xcnt 0x0
	s_mov_b64 s[0:1], 0
	s_mov_b64 s[14:15], 0
.LBB73_53:                              ;   Parent Loop BB73_29 Depth=1
                                        ; =>  This Inner Loop Header: Depth=2
	s_wait_xcnt 0x0
	s_add_nc_u64 s[18:19], s[12:13], s[14:15]
	s_add_nc_u64 s[14:15], s[14:15], 1
	global_load_u8 v1, v9, s[18:19]
	s_cmp_lg_u32 s16, s14
	s_wait_loadcnt 0x0
	v_and_b32_e32 v8, 0xffff, v1
	s_delay_alu instid0(VALU_DEP_1) | instskip(SKIP_1) | instid1(VALU_DEP_1)
	v_lshlrev_b64_e32 v[18:19], s0, v[8:9]
	s_add_nc_u64 s[0:1], s[0:1], 8
	v_or_b32_e32 v16, v18, v16
	s_delay_alu instid0(VALU_DEP_2)
	v_or_b32_e32 v17, v19, v17
	s_cbranch_scc1 .LBB73_53
.LBB73_54:                              ;   in Loop: Header=BB73_29 Depth=1
	s_wait_xcnt 0x0
	s_mov_b64 s[0:1], s[12:13]
	s_mov_b32 s17, 0
	s_cbranch_execz .LBB73_56
	s_branch .LBB73_57
.LBB73_55:                              ;   in Loop: Header=BB73_29 Depth=1
	s_wait_xcnt 0x0
	s_add_nc_u64 s[0:1], s[12:13], 8
                                        ; implicit-def: $vgpr16_vgpr17
	s_mov_b32 s17, 0
.LBB73_56:                              ;   in Loop: Header=BB73_29 Depth=1
	global_load_b64 v[16:17], v9, s[12:13]
	s_add_co_i32 s17, s16, -8
.LBB73_57:                              ;   in Loop: Header=BB73_29 Depth=1
	s_delay_alu instid0(SALU_CYCLE_1)
	s_cmp_gt_u32 s17, 7
	s_cbranch_scc1 .LBB73_62
; %bb.58:                               ;   in Loop: Header=BB73_29 Depth=1
	v_mov_b64_e32 v[18:19], 0
	s_cmp_eq_u32 s17, 0
	s_cbranch_scc1 .LBB73_61
; %bb.59:                               ;   in Loop: Header=BB73_29 Depth=1
	s_wait_xcnt 0x0
	s_mov_b64 s[12:13], 0
	s_mov_b64 s[14:15], 0
.LBB73_60:                              ;   Parent Loop BB73_29 Depth=1
                                        ; =>  This Inner Loop Header: Depth=2
	s_wait_xcnt 0x0
	s_add_nc_u64 s[18:19], s[0:1], s[14:15]
	s_add_nc_u64 s[14:15], s[14:15], 1
	global_load_u8 v1, v9, s[18:19]
	s_cmp_lg_u32 s17, s14
	s_wait_loadcnt 0x0
	v_and_b32_e32 v8, 0xffff, v1
	s_delay_alu instid0(VALU_DEP_1) | instskip(SKIP_1) | instid1(VALU_DEP_1)
	v_lshlrev_b64_e32 v[20:21], s12, v[8:9]
	s_add_nc_u64 s[12:13], s[12:13], 8
	v_or_b32_e32 v18, v20, v18
	s_delay_alu instid0(VALU_DEP_2)
	v_or_b32_e32 v19, v21, v19
	s_cbranch_scc1 .LBB73_60
.LBB73_61:                              ;   in Loop: Header=BB73_29 Depth=1
	s_wait_xcnt 0x0
	s_mov_b64 s[12:13], s[0:1]
	s_mov_b32 s16, 0
	s_cbranch_execz .LBB73_63
	s_branch .LBB73_64
.LBB73_62:                              ;   in Loop: Header=BB73_29 Depth=1
	s_wait_xcnt 0x0
	s_add_nc_u64 s[12:13], s[0:1], 8
	s_mov_b32 s16, 0
.LBB73_63:                              ;   in Loop: Header=BB73_29 Depth=1
	global_load_b64 v[18:19], v9, s[0:1]
	s_add_co_i32 s16, s17, -8
.LBB73_64:                              ;   in Loop: Header=BB73_29 Depth=1
	s_delay_alu instid0(SALU_CYCLE_1)
	s_cmp_gt_u32 s16, 7
	s_cbranch_scc1 .LBB73_69
; %bb.65:                               ;   in Loop: Header=BB73_29 Depth=1
	v_mov_b64_e32 v[20:21], 0
	s_cmp_eq_u32 s16, 0
	s_cbranch_scc1 .LBB73_68
; %bb.66:                               ;   in Loop: Header=BB73_29 Depth=1
	s_wait_xcnt 0x0
	s_mov_b64 s[0:1], 0
	s_mov_b64 s[14:15], 0
.LBB73_67:                              ;   Parent Loop BB73_29 Depth=1
                                        ; =>  This Inner Loop Header: Depth=2
	s_wait_xcnt 0x0
	s_add_nc_u64 s[18:19], s[12:13], s[14:15]
	s_add_nc_u64 s[14:15], s[14:15], 1
	global_load_u8 v1, v9, s[18:19]
	s_cmp_lg_u32 s16, s14
	s_wait_loadcnt 0x0
	v_and_b32_e32 v8, 0xffff, v1
	s_delay_alu instid0(VALU_DEP_1) | instskip(SKIP_1) | instid1(VALU_DEP_1)
	v_lshlrev_b64_e32 v[22:23], s0, v[8:9]
	s_add_nc_u64 s[0:1], s[0:1], 8
	v_or_b32_e32 v20, v22, v20
	s_delay_alu instid0(VALU_DEP_2)
	v_or_b32_e32 v21, v23, v21
	s_cbranch_scc1 .LBB73_67
.LBB73_68:                              ;   in Loop: Header=BB73_29 Depth=1
	s_wait_xcnt 0x0
	s_mov_b64 s[0:1], s[12:13]
	s_mov_b32 s17, 0
	s_cbranch_execz .LBB73_70
	s_branch .LBB73_71
.LBB73_69:                              ;   in Loop: Header=BB73_29 Depth=1
	s_wait_xcnt 0x0
	s_add_nc_u64 s[0:1], s[12:13], 8
                                        ; implicit-def: $vgpr20_vgpr21
	s_mov_b32 s17, 0
.LBB73_70:                              ;   in Loop: Header=BB73_29 Depth=1
	global_load_b64 v[20:21], v9, s[12:13]
	s_add_co_i32 s17, s16, -8
.LBB73_71:                              ;   in Loop: Header=BB73_29 Depth=1
	s_delay_alu instid0(SALU_CYCLE_1)
	s_cmp_gt_u32 s17, 7
	s_cbranch_scc1 .LBB73_76
; %bb.72:                               ;   in Loop: Header=BB73_29 Depth=1
	v_mov_b64_e32 v[22:23], 0
	s_cmp_eq_u32 s17, 0
	s_cbranch_scc1 .LBB73_75
; %bb.73:                               ;   in Loop: Header=BB73_29 Depth=1
	s_wait_xcnt 0x0
	s_mov_b64 s[12:13], 0
	s_mov_b64 s[14:15], s[0:1]
.LBB73_74:                              ;   Parent Loop BB73_29 Depth=1
                                        ; =>  This Inner Loop Header: Depth=2
	global_load_u8 v1, v9, s[14:15]
	s_add_co_i32 s17, s17, -1
	s_wait_xcnt 0x0
	s_add_nc_u64 s[14:15], s[14:15], 1
	s_cmp_lg_u32 s17, 0
	s_wait_loadcnt 0x0
	v_and_b32_e32 v8, 0xffff, v1
	s_delay_alu instid0(VALU_DEP_1) | instskip(SKIP_1) | instid1(VALU_DEP_1)
	v_lshlrev_b64_e32 v[24:25], s12, v[8:9]
	s_add_nc_u64 s[12:13], s[12:13], 8
	v_or_b32_e32 v22, v24, v22
	s_delay_alu instid0(VALU_DEP_2)
	v_or_b32_e32 v23, v25, v23
	s_cbranch_scc1 .LBB73_74
.LBB73_75:                              ;   in Loop: Header=BB73_29 Depth=1
	s_wait_xcnt 0x0
	s_cbranch_execz .LBB73_77
	s_branch .LBB73_78
.LBB73_76:                              ;   in Loop: Header=BB73_29 Depth=1
	s_wait_xcnt 0x0
.LBB73_77:                              ;   in Loop: Header=BB73_29 Depth=1
	global_load_b64 v[22:23], v9, s[0:1]
.LBB73_78:                              ;   in Loop: Header=BB73_29 Depth=1
	s_wait_xcnt 0x0
	v_readfirstlane_b32 s0, v29
	v_mov_b64_e32 v[30:31], 0
	s_delay_alu instid0(VALU_DEP_2)
	v_cmp_eq_u32_e64 s0, s0, v29
	s_and_saveexec_b32 s1, s0
	s_cbranch_execz .LBB73_84
; %bb.79:                               ;   in Loop: Header=BB73_29 Depth=1
	global_load_b64 v[26:27], v9, s[2:3] offset:24 scope:SCOPE_SYS
	s_wait_loadcnt 0x0
	global_inv scope:SCOPE_SYS
	s_clause 0x1
	global_load_b64 v[24:25], v9, s[2:3] offset:40
	global_load_b64 v[30:31], v9, s[2:3]
	s_mov_b32 s12, exec_lo
	s_wait_loadcnt 0x1
	v_and_b32_e32 v24, v24, v26
	v_and_b32_e32 v25, v25, v27
	s_delay_alu instid0(VALU_DEP_1) | instskip(SKIP_1) | instid1(VALU_DEP_1)
	v_mul_u64_e32 v[24:25], 24, v[24:25]
	s_wait_loadcnt 0x0
	v_add_nc_u64_e32 v[24:25], v[30:31], v[24:25]
	global_load_b64 v[24:25], v[24:25], off scope:SCOPE_SYS
	s_wait_xcnt 0x0
	s_wait_loadcnt 0x0
	global_atomic_cmpswap_b64 v[30:31], v9, v[24:27], s[2:3] offset:24 th:TH_ATOMIC_RETURN scope:SCOPE_SYS
	s_wait_loadcnt 0x0
	global_inv scope:SCOPE_SYS
	s_wait_xcnt 0x0
	v_cmpx_ne_u64_e64 v[30:31], v[26:27]
	s_cbranch_execz .LBB73_83
; %bb.80:                               ;   in Loop: Header=BB73_29 Depth=1
	s_mov_b32 s13, 0
.LBB73_81:                              ;   Parent Loop BB73_29 Depth=1
                                        ; =>  This Inner Loop Header: Depth=2
	s_sleep 1
	s_clause 0x1
	global_load_b64 v[24:25], v9, s[2:3] offset:40
	global_load_b64 v[32:33], v9, s[2:3]
	v_mov_b64_e32 v[26:27], v[30:31]
	s_wait_loadcnt 0x1
	s_delay_alu instid0(VALU_DEP_1) | instskip(SKIP_1) | instid1(VALU_DEP_1)
	v_and_b32_e32 v1, v24, v26
	s_wait_loadcnt 0x0
	v_mad_nc_u64_u32 v[30:31], v1, 24, v[32:33]
	s_delay_alu instid0(VALU_DEP_3) | instskip(NEXT) | instid1(VALU_DEP_1)
	v_and_b32_e32 v1, v25, v27
	v_mad_u32 v31, v1, 24, v31
	global_load_b64 v[24:25], v[30:31], off scope:SCOPE_SYS
	s_wait_xcnt 0x0
	s_wait_loadcnt 0x0
	global_atomic_cmpswap_b64 v[30:31], v9, v[24:27], s[2:3] offset:24 th:TH_ATOMIC_RETURN scope:SCOPE_SYS
	s_wait_loadcnt 0x0
	global_inv scope:SCOPE_SYS
	v_cmp_eq_u64_e32 vcc_lo, v[30:31], v[26:27]
	s_or_b32 s13, vcc_lo, s13
	s_wait_xcnt 0x0
	s_and_not1_b32 exec_lo, exec_lo, s13
	s_cbranch_execnz .LBB73_81
; %bb.82:                               ;   in Loop: Header=BB73_29 Depth=1
	s_or_b32 exec_lo, exec_lo, s13
.LBB73_83:                              ;   in Loop: Header=BB73_29 Depth=1
	s_delay_alu instid0(SALU_CYCLE_1)
	s_or_b32 exec_lo, exec_lo, s12
.LBB73_84:                              ;   in Loop: Header=BB73_29 Depth=1
	s_delay_alu instid0(SALU_CYCLE_1)
	s_or_b32 exec_lo, exec_lo, s1
	s_clause 0x1
	global_load_b64 v[32:33], v9, s[2:3] offset:40
	global_load_b128 v[24:27], v9, s[2:3]
	v_readfirstlane_b32 s12, v30
	v_readfirstlane_b32 s13, v31
	s_mov_b32 s1, exec_lo
	s_wait_loadcnt 0x1
	v_and_b32_e32 v32, s12, v32
	v_and_b32_e32 v33, s13, v33
	s_delay_alu instid0(VALU_DEP_1) | instskip(SKIP_1) | instid1(VALU_DEP_1)
	v_mul_u64_e32 v[30:31], 24, v[32:33]
	s_wait_loadcnt 0x0
	v_add_nc_u64_e32 v[30:31], v[24:25], v[30:31]
	s_wait_xcnt 0x0
	s_and_saveexec_b32 s14, s0
	s_cbranch_execz .LBB73_86
; %bb.85:                               ;   in Loop: Header=BB73_29 Depth=1
	v_mov_b32_e32 v8, s1
	global_store_b128 v[30:31], v[8:11], off offset:8
.LBB73_86:                              ;   in Loop: Header=BB73_29 Depth=1
	s_wait_xcnt 0x0
	s_or_b32 exec_lo, exec_lo, s14
	v_cmp_lt_u64_e64 vcc_lo, s[6:7], 57
	v_lshlrev_b64_e32 v[32:33], 12, v[32:33]
	v_and_b32_e32 v2, 0xffffff1f, v2
	s_lshl_b32 s1, s10, 2
	s_delay_alu instid0(SALU_CYCLE_1) | instskip(SKIP_1) | instid1(VALU_DEP_3)
	s_add_co_i32 s1, s1, 28
	v_cndmask_b32_e32 v1, 0, v28, vcc_lo
	v_add_nc_u64_e32 v[26:27], v[26:27], v[32:33]
	s_delay_alu instid0(VALU_DEP_2) | instskip(NEXT) | instid1(VALU_DEP_2)
	v_or_b32_e32 v1, v2, v1
	v_readfirstlane_b32 s14, v26
	s_delay_alu instid0(VALU_DEP_3) | instskip(NEXT) | instid1(VALU_DEP_3)
	v_readfirstlane_b32 s15, v27
	v_and_or_b32 v2, 0x1e0, s1, v1
	s_clause 0x3
	global_store_b128 v0, v[2:5], s[14:15]
	global_store_b128 v0, v[12:15], s[14:15] offset:16
	global_store_b128 v0, v[16:19], s[14:15] offset:32
	;; [unrolled: 1-line block ×3, first 2 shown]
	s_wait_xcnt 0x0
	s_and_saveexec_b32 s1, s0
	s_cbranch_execz .LBB73_94
; %bb.87:                               ;   in Loop: Header=BB73_29 Depth=1
	s_clause 0x1
	global_load_b64 v[16:17], v9, s[2:3] offset:32 scope:SCOPE_SYS
	global_load_b64 v[2:3], v9, s[2:3] offset:40
	s_mov_b32 s14, exec_lo
	v_dual_mov_b32 v14, s12 :: v_dual_mov_b32 v15, s13
	s_wait_loadcnt 0x0
	v_and_b32_e32 v3, s13, v3
	v_and_b32_e32 v2, s12, v2
	s_delay_alu instid0(VALU_DEP_1) | instskip(NEXT) | instid1(VALU_DEP_1)
	v_mul_u64_e32 v[2:3], 24, v[2:3]
	v_add_nc_u64_e32 v[12:13], v[24:25], v[2:3]
	global_store_b64 v[12:13], v[16:17], off
	global_wb scope:SCOPE_SYS
	s_wait_storecnt 0x0
	s_wait_xcnt 0x0
	global_atomic_cmpswap_b64 v[4:5], v9, v[14:17], s[2:3] offset:32 th:TH_ATOMIC_RETURN scope:SCOPE_SYS
	s_wait_loadcnt 0x0
	v_cmpx_ne_u64_e64 v[4:5], v[16:17]
	s_cbranch_execz .LBB73_90
; %bb.88:                               ;   in Loop: Header=BB73_29 Depth=1
	s_mov_b32 s15, 0
.LBB73_89:                              ;   Parent Loop BB73_29 Depth=1
                                        ; =>  This Inner Loop Header: Depth=2
	v_dual_mov_b32 v2, s12 :: v_dual_mov_b32 v3, s13
	s_sleep 1
	global_store_b64 v[12:13], v[4:5], off
	global_wb scope:SCOPE_SYS
	s_wait_storecnt 0x0
	s_wait_xcnt 0x0
	global_atomic_cmpswap_b64 v[2:3], v9, v[2:5], s[2:3] offset:32 th:TH_ATOMIC_RETURN scope:SCOPE_SYS
	s_wait_loadcnt 0x0
	v_cmp_eq_u64_e32 vcc_lo, v[2:3], v[4:5]
	v_mov_b64_e32 v[4:5], v[2:3]
	s_or_b32 s15, vcc_lo, s15
	s_delay_alu instid0(SALU_CYCLE_1)
	s_and_not1_b32 exec_lo, exec_lo, s15
	s_cbranch_execnz .LBB73_89
.LBB73_90:                              ;   in Loop: Header=BB73_29 Depth=1
	s_or_b32 exec_lo, exec_lo, s14
	global_load_b64 v[2:3], v9, s[2:3] offset:16
	s_mov_b32 s15, exec_lo
	s_mov_b32 s14, exec_lo
	v_mbcnt_lo_u32_b32 v1, s15, 0
	s_wait_xcnt 0x0
	s_delay_alu instid0(VALU_DEP_1)
	v_cmpx_eq_u32_e32 0, v1
	s_cbranch_execz .LBB73_92
; %bb.91:                               ;   in Loop: Header=BB73_29 Depth=1
	s_bcnt1_i32_b32 s15, s15
	s_delay_alu instid0(SALU_CYCLE_1)
	v_mov_b32_e32 v8, s15
	global_wb scope:SCOPE_SYS
	s_wait_loadcnt 0x0
	s_wait_storecnt 0x0
	global_atomic_add_u64 v[2:3], v[8:9], off offset:8 scope:SCOPE_SYS
.LBB73_92:                              ;   in Loop: Header=BB73_29 Depth=1
	s_wait_xcnt 0x0
	s_or_b32 exec_lo, exec_lo, s14
	s_wait_loadcnt 0x0
	global_load_b64 v[4:5], v[2:3], off offset:16
	s_wait_loadcnt 0x0
	v_cmp_eq_u64_e32 vcc_lo, 0, v[4:5]
	s_cbranch_vccnz .LBB73_94
; %bb.93:                               ;   in Loop: Header=BB73_29 Depth=1
	global_load_b32 v8, v[2:3], off offset:24
	s_wait_loadcnt 0x0
	v_readfirstlane_b32 s14, v8
	global_wb scope:SCOPE_SYS
	s_wait_storecnt 0x0
	s_wait_xcnt 0x0
	global_store_b64 v[4:5], v[8:9], off scope:SCOPE_SYS
	s_and_b32 m0, s14, 0xffffff
	s_sendmsg sendmsg(MSG_INTERRUPT)
.LBB73_94:                              ;   in Loop: Header=BB73_29 Depth=1
	s_wait_xcnt 0x0
	s_or_b32 exec_lo, exec_lo, s1
	v_mov_b32_e32 v1, v9
	s_delay_alu instid0(VALU_DEP_1)
	v_add_nc_u64_e32 v[2:3], v[26:27], v[0:1]
	s_branch .LBB73_98
.LBB73_95:                              ;   in Loop: Header=BB73_98 Depth=2
	s_wait_xcnt 0x0
	s_or_b32 exec_lo, exec_lo, s1
	s_delay_alu instid0(VALU_DEP_1)
	v_readfirstlane_b32 s1, v1
	s_cmp_eq_u32 s1, 0
	s_cbranch_scc1 .LBB73_97
; %bb.96:                               ;   in Loop: Header=BB73_98 Depth=2
	s_sleep 1
	s_cbranch_execnz .LBB73_98
	s_branch .LBB73_100
.LBB73_97:                              ;   in Loop: Header=BB73_29 Depth=1
	s_branch .LBB73_100
.LBB73_98:                              ;   Parent Loop BB73_29 Depth=1
                                        ; =>  This Inner Loop Header: Depth=2
	v_mov_b32_e32 v1, 1
	s_and_saveexec_b32 s1, s0
	s_cbranch_execz .LBB73_95
; %bb.99:                               ;   in Loop: Header=BB73_98 Depth=2
	global_load_b32 v1, v[30:31], off offset:20 scope:SCOPE_SYS
	s_wait_loadcnt 0x0
	global_inv scope:SCOPE_SYS
	v_and_b32_e32 v1, 1, v1
	s_branch .LBB73_95
.LBB73_100:                             ;   in Loop: Header=BB73_29 Depth=1
	global_load_b64 v[2:3], v[2:3], off
	s_wait_xcnt 0x0
	s_and_saveexec_b32 s14, s0
	s_cbranch_execz .LBB73_28
; %bb.101:                              ;   in Loop: Header=BB73_29 Depth=1
	s_clause 0x2
	global_load_b64 v[4:5], v9, s[2:3] offset:40
	global_load_b64 v[16:17], v9, s[2:3] offset:24 scope:SCOPE_SYS
	global_load_b64 v[12:13], v9, s[2:3]
	s_wait_loadcnt 0x2
	v_readfirstlane_b32 s16, v4
	v_readfirstlane_b32 s17, v5
	s_add_nc_u64 s[0:1], s[16:17], 1
	s_delay_alu instid0(SALU_CYCLE_1) | instskip(NEXT) | instid1(SALU_CYCLE_1)
	s_add_nc_u64 s[12:13], s[0:1], s[12:13]
	s_cmp_eq_u64 s[12:13], 0
	s_cselect_b32 s1, s1, s13
	s_cselect_b32 s0, s0, s12
	s_delay_alu instid0(SALU_CYCLE_1) | instskip(SKIP_1) | instid1(SALU_CYCLE_1)
	v_dual_mov_b32 v15, s1 :: v_dual_mov_b32 v14, s0
	s_and_b64 s[12:13], s[0:1], s[16:17]
	s_mul_u64 s[12:13], s[12:13], 24
	s_wait_loadcnt 0x0
	v_add_nc_u64_e32 v[4:5], s[12:13], v[12:13]
	global_store_b64 v[4:5], v[16:17], off
	global_wb scope:SCOPE_SYS
	s_wait_storecnt 0x0
	s_wait_xcnt 0x0
	global_atomic_cmpswap_b64 v[14:15], v9, v[14:17], s[2:3] offset:24 th:TH_ATOMIC_RETURN scope:SCOPE_SYS
	s_wait_loadcnt 0x0
	v_cmp_ne_u64_e32 vcc_lo, v[14:15], v[16:17]
	s_and_b32 exec_lo, exec_lo, vcc_lo
	s_cbranch_execz .LBB73_28
; %bb.102:                              ;   in Loop: Header=BB73_29 Depth=1
	s_mov_b32 s12, 0
.LBB73_103:                             ;   Parent Loop BB73_29 Depth=1
                                        ; =>  This Inner Loop Header: Depth=2
	v_dual_mov_b32 v12, s0 :: v_dual_mov_b32 v13, s1
	s_sleep 1
	global_store_b64 v[4:5], v[14:15], off
	global_wb scope:SCOPE_SYS
	s_wait_storecnt 0x0
	s_wait_xcnt 0x0
	global_atomic_cmpswap_b64 v[12:13], v9, v[12:15], s[2:3] offset:24 th:TH_ATOMIC_RETURN scope:SCOPE_SYS
	s_wait_loadcnt 0x0
	v_cmp_eq_u64_e32 vcc_lo, v[12:13], v[14:15]
	v_mov_b64_e32 v[14:15], v[12:13]
	s_or_b32 s12, vcc_lo, s12
	s_delay_alu instid0(SALU_CYCLE_1)
	s_and_not1_b32 exec_lo, exec_lo, s12
	s_cbranch_execnz .LBB73_103
	s_branch .LBB73_28
.LBB73_104:
                                        ; implicit-def: $vgpr2_vgpr3
	s_cbranch_execnz .LBB73_106
	s_branch .LBB73_133
.LBB73_105:
	s_branch .LBB73_133
.LBB73_106:
	v_readfirstlane_b32 s0, v29
	v_mov_b64_e32 v[8:9], 0
	s_delay_alu instid0(VALU_DEP_2)
	v_cmp_eq_u32_e64 s0, s0, v29
	s_and_saveexec_b32 s1, s0
	s_cbranch_execz .LBB73_112
; %bb.107:
	v_mov_b32_e32 v1, 0
	s_mov_b32 s4, exec_lo
	global_load_b64 v[4:5], v1, s[2:3] offset:24 scope:SCOPE_SYS
	s_wait_loadcnt 0x0
	global_inv scope:SCOPE_SYS
	s_clause 0x1
	global_load_b64 v[2:3], v1, s[2:3] offset:40
	global_load_b64 v[8:9], v1, s[2:3]
	s_wait_loadcnt 0x1
	v_and_b32_e32 v2, v2, v4
	v_and_b32_e32 v3, v3, v5
	s_delay_alu instid0(VALU_DEP_1) | instskip(SKIP_1) | instid1(VALU_DEP_1)
	v_mul_u64_e32 v[2:3], 24, v[2:3]
	s_wait_loadcnt 0x0
	v_add_nc_u64_e32 v[2:3], v[8:9], v[2:3]
	global_load_b64 v[2:3], v[2:3], off scope:SCOPE_SYS
	s_wait_xcnt 0x0
	s_wait_loadcnt 0x0
	global_atomic_cmpswap_b64 v[8:9], v1, v[2:5], s[2:3] offset:24 th:TH_ATOMIC_RETURN scope:SCOPE_SYS
	s_wait_loadcnt 0x0
	global_inv scope:SCOPE_SYS
	s_wait_xcnt 0x0
	v_cmpx_ne_u64_e64 v[8:9], v[4:5]
	s_cbranch_execz .LBB73_111
; %bb.108:
	s_mov_b32 s5, 0
.LBB73_109:                             ; =>This Inner Loop Header: Depth=1
	s_sleep 1
	s_clause 0x1
	global_load_b64 v[2:3], v1, s[2:3] offset:40
	global_load_b64 v[10:11], v1, s[2:3]
	v_mov_b64_e32 v[4:5], v[8:9]
	s_wait_loadcnt 0x1
	s_delay_alu instid0(VALU_DEP_1) | instskip(SKIP_1) | instid1(VALU_DEP_1)
	v_and_b32_e32 v2, v2, v4
	s_wait_loadcnt 0x0
	v_mad_nc_u64_u32 v[8:9], v2, 24, v[10:11]
	s_delay_alu instid0(VALU_DEP_3) | instskip(NEXT) | instid1(VALU_DEP_1)
	v_and_b32_e32 v2, v3, v5
	v_mad_u32 v9, v2, 24, v9
	global_load_b64 v[2:3], v[8:9], off scope:SCOPE_SYS
	s_wait_xcnt 0x0
	s_wait_loadcnt 0x0
	global_atomic_cmpswap_b64 v[8:9], v1, v[2:5], s[2:3] offset:24 th:TH_ATOMIC_RETURN scope:SCOPE_SYS
	s_wait_loadcnt 0x0
	global_inv scope:SCOPE_SYS
	v_cmp_eq_u64_e32 vcc_lo, v[8:9], v[4:5]
	s_or_b32 s5, vcc_lo, s5
	s_wait_xcnt 0x0
	s_and_not1_b32 exec_lo, exec_lo, s5
	s_cbranch_execnz .LBB73_109
; %bb.110:
	s_or_b32 exec_lo, exec_lo, s5
.LBB73_111:
	s_delay_alu instid0(SALU_CYCLE_1)
	s_or_b32 exec_lo, exec_lo, s4
.LBB73_112:
	s_delay_alu instid0(SALU_CYCLE_1)
	s_or_b32 exec_lo, exec_lo, s1
	v_readfirstlane_b32 s4, v8
	v_mov_b32_e32 v1, 0
	v_readfirstlane_b32 s5, v9
	s_mov_b32 s1, exec_lo
	global_load_b64 v[10:11], v1, s[2:3] offset:40
	s_wait_loadcnt 0x1
	global_load_b128 v[2:5], v1, s[2:3]
	s_wait_loadcnt 0x1
	v_and_b32_e32 v8, s4, v10
	v_and_b32_e32 v9, s5, v11
	s_delay_alu instid0(VALU_DEP_1) | instskip(SKIP_1) | instid1(VALU_DEP_1)
	v_mul_u64_e32 v[10:11], 24, v[8:9]
	s_wait_loadcnt 0x0
	v_add_nc_u64_e32 v[10:11], v[2:3], v[10:11]
	s_wait_xcnt 0x0
	s_and_saveexec_b32 s6, s0
	s_cbranch_execz .LBB73_114
; %bb.113:
	v_mov_b64_e32 v[14:15], 0x100000002
	v_dual_mov_b32 v12, s1 :: v_dual_mov_b32 v13, v1
	global_store_b128 v[10:11], v[12:15], off offset:8
.LBB73_114:
	s_wait_xcnt 0x0
	s_or_b32 exec_lo, exec_lo, s6
	v_lshlrev_b64_e32 v[8:9], 12, v[8:9]
	s_mov_b32 s12, 0
	v_and_or_b32 v6, 0xffffff1f, v6, 32
	s_mov_b32 s14, s12
	s_mov_b32 s15, s12
	;; [unrolled: 1-line block ×3, first 2 shown]
	v_mov_b64_e32 v[16:17], s[14:15]
	v_add_nc_u64_e32 v[12:13], v[4:5], v[8:9]
	v_mov_b64_e32 v[14:15], s[12:13]
	v_dual_mov_b32 v8, v1 :: v_dual_mov_b32 v9, v1
	s_delay_alu instid0(VALU_DEP_3) | instskip(NEXT) | instid1(VALU_DEP_4)
	v_readfirstlane_b32 s6, v12
	v_readfirstlane_b32 s7, v13
	s_clause 0x3
	global_store_b128 v0, v[6:9], s[6:7]
	global_store_b128 v0, v[14:17], s[6:7] offset:16
	global_store_b128 v0, v[14:17], s[6:7] offset:32
	;; [unrolled: 1-line block ×3, first 2 shown]
	s_wait_xcnt 0x0
	s_and_saveexec_b32 s1, s0
	s_cbranch_execz .LBB73_122
; %bb.115:
	v_dual_mov_b32 v8, 0 :: v_dual_mov_b32 v15, s5
	s_mov_b32 s6, exec_lo
	s_clause 0x1
	global_load_b64 v[16:17], v8, s[2:3] offset:32 scope:SCOPE_SYS
	global_load_b64 v[4:5], v8, s[2:3] offset:40
	s_wait_loadcnt 0x0
	v_dual_mov_b32 v14, s4 :: v_dual_bitop2_b32 v5, s5, v5 bitop3:0x40
	v_and_b32_e32 v4, s4, v4
	s_delay_alu instid0(VALU_DEP_1) | instskip(NEXT) | instid1(VALU_DEP_1)
	v_mul_u64_e32 v[4:5], 24, v[4:5]
	v_add_nc_u64_e32 v[6:7], v[2:3], v[4:5]
	global_store_b64 v[6:7], v[16:17], off
	global_wb scope:SCOPE_SYS
	s_wait_storecnt 0x0
	s_wait_xcnt 0x0
	global_atomic_cmpswap_b64 v[4:5], v8, v[14:17], s[2:3] offset:32 th:TH_ATOMIC_RETURN scope:SCOPE_SYS
	s_wait_loadcnt 0x0
	v_cmpx_ne_u64_e64 v[4:5], v[16:17]
	s_cbranch_execz .LBB73_118
; %bb.116:
	s_mov_b32 s7, 0
.LBB73_117:                             ; =>This Inner Loop Header: Depth=1
	v_dual_mov_b32 v2, s4 :: v_dual_mov_b32 v3, s5
	s_sleep 1
	global_store_b64 v[6:7], v[4:5], off
	global_wb scope:SCOPE_SYS
	s_wait_storecnt 0x0
	s_wait_xcnt 0x0
	global_atomic_cmpswap_b64 v[2:3], v8, v[2:5], s[2:3] offset:32 th:TH_ATOMIC_RETURN scope:SCOPE_SYS
	s_wait_loadcnt 0x0
	v_cmp_eq_u64_e32 vcc_lo, v[2:3], v[4:5]
	v_mov_b64_e32 v[4:5], v[2:3]
	s_or_b32 s7, vcc_lo, s7
	s_delay_alu instid0(SALU_CYCLE_1)
	s_and_not1_b32 exec_lo, exec_lo, s7
	s_cbranch_execnz .LBB73_117
.LBB73_118:
	s_or_b32 exec_lo, exec_lo, s6
	v_mov_b32_e32 v5, 0
	s_mov_b32 s7, exec_lo
	s_mov_b32 s6, exec_lo
	v_mbcnt_lo_u32_b32 v4, s7, 0
	global_load_b64 v[2:3], v5, s[2:3] offset:16
	s_wait_xcnt 0x0
	v_cmpx_eq_u32_e32 0, v4
	s_cbranch_execz .LBB73_120
; %bb.119:
	s_bcnt1_i32_b32 s7, s7
	s_delay_alu instid0(SALU_CYCLE_1)
	v_mov_b32_e32 v4, s7
	global_wb scope:SCOPE_SYS
	s_wait_loadcnt 0x0
	s_wait_storecnt 0x0
	global_atomic_add_u64 v[2:3], v[4:5], off offset:8 scope:SCOPE_SYS
.LBB73_120:
	s_wait_xcnt 0x0
	s_or_b32 exec_lo, exec_lo, s6
	s_wait_loadcnt 0x0
	global_load_b64 v[4:5], v[2:3], off offset:16
	s_wait_loadcnt 0x0
	v_cmp_eq_u64_e32 vcc_lo, 0, v[4:5]
	s_cbranch_vccnz .LBB73_122
; %bb.121:
	global_load_b32 v2, v[2:3], off offset:24
	s_wait_xcnt 0x0
	v_mov_b32_e32 v3, 0
	s_wait_loadcnt 0x0
	v_readfirstlane_b32 s6, v2
	global_wb scope:SCOPE_SYS
	s_wait_storecnt 0x0
	global_store_b64 v[4:5], v[2:3], off scope:SCOPE_SYS
	s_and_b32 m0, s6, 0xffffff
	s_sendmsg sendmsg(MSG_INTERRUPT)
.LBB73_122:
	s_wait_xcnt 0x0
	s_or_b32 exec_lo, exec_lo, s1
	v_add_nc_u64_e32 v[2:3], v[12:13], v[0:1]
	s_branch .LBB73_126
.LBB73_123:                             ;   in Loop: Header=BB73_126 Depth=1
	s_wait_xcnt 0x0
	s_or_b32 exec_lo, exec_lo, s1
	s_delay_alu instid0(VALU_DEP_1)
	v_readfirstlane_b32 s1, v1
	s_cmp_eq_u32 s1, 0
	s_cbranch_scc1 .LBB73_125
; %bb.124:                              ;   in Loop: Header=BB73_126 Depth=1
	s_sleep 1
	s_cbranch_execnz .LBB73_126
	s_branch .LBB73_128
.LBB73_125:
	s_branch .LBB73_128
.LBB73_126:                             ; =>This Inner Loop Header: Depth=1
	v_mov_b32_e32 v1, 1
	s_and_saveexec_b32 s1, s0
	s_cbranch_execz .LBB73_123
; %bb.127:                              ;   in Loop: Header=BB73_126 Depth=1
	global_load_b32 v1, v[10:11], off offset:20 scope:SCOPE_SYS
	s_wait_loadcnt 0x0
	global_inv scope:SCOPE_SYS
	v_and_b32_e32 v1, 1, v1
	s_branch .LBB73_123
.LBB73_128:
	global_load_b64 v[2:3], v[2:3], off
	s_wait_xcnt 0x0
	s_and_saveexec_b32 s6, s0
	s_cbranch_execz .LBB73_132
; %bb.129:
	v_mov_b32_e32 v1, 0
	s_clause 0x2
	global_load_b64 v[4:5], v1, s[2:3] offset:40
	global_load_b64 v[12:13], v1, s[2:3] offset:24 scope:SCOPE_SYS
	global_load_b64 v[6:7], v1, s[2:3]
	s_wait_loadcnt 0x2
	v_readfirstlane_b32 s10, v4
	v_readfirstlane_b32 s11, v5
	s_add_nc_u64 s[0:1], s[10:11], 1
	s_delay_alu instid0(SALU_CYCLE_1) | instskip(NEXT) | instid1(SALU_CYCLE_1)
	s_add_nc_u64 s[4:5], s[0:1], s[4:5]
	s_cmp_eq_u64 s[4:5], 0
	s_cselect_b32 s1, s1, s5
	s_cselect_b32 s0, s0, s4
	v_mov_b32_e32 v11, s1
	s_and_b64 s[4:5], s[0:1], s[10:11]
	v_mov_b32_e32 v10, s0
	s_mul_u64 s[4:5], s[4:5], 24
	s_wait_loadcnt 0x0
	v_add_nc_u64_e32 v[8:9], s[4:5], v[6:7]
	global_store_b64 v[8:9], v[12:13], off
	global_wb scope:SCOPE_SYS
	s_wait_storecnt 0x0
	s_wait_xcnt 0x0
	global_atomic_cmpswap_b64 v[6:7], v1, v[10:13], s[2:3] offset:24 th:TH_ATOMIC_RETURN scope:SCOPE_SYS
	s_wait_loadcnt 0x0
	v_cmp_ne_u64_e32 vcc_lo, v[6:7], v[12:13]
	s_and_b32 exec_lo, exec_lo, vcc_lo
	s_cbranch_execz .LBB73_132
; %bb.130:
	s_mov_b32 s4, 0
.LBB73_131:                             ; =>This Inner Loop Header: Depth=1
	v_dual_mov_b32 v4, s0 :: v_dual_mov_b32 v5, s1
	s_sleep 1
	global_store_b64 v[8:9], v[6:7], off
	global_wb scope:SCOPE_SYS
	s_wait_storecnt 0x0
	s_wait_xcnt 0x0
	global_atomic_cmpswap_b64 v[4:5], v1, v[4:7], s[2:3] offset:24 th:TH_ATOMIC_RETURN scope:SCOPE_SYS
	s_wait_loadcnt 0x0
	v_cmp_eq_u64_e32 vcc_lo, v[4:5], v[6:7]
	v_mov_b64_e32 v[6:7], v[4:5]
	s_or_b32 s4, vcc_lo, s4
	s_delay_alu instid0(SALU_CYCLE_1)
	s_and_not1_b32 exec_lo, exec_lo, s4
	s_cbranch_execnz .LBB73_131
.LBB73_132:
	s_or_b32 exec_lo, exec_lo, s6
.LBB73_133:
	s_get_pc_i64 s[4:5]
	s_add_nc_u64 s[4:5], s[4:5], .str.3@rel64+4
	s_mov_b64 s[6:7], 0
	s_cmp_lg_u64 s[4:5], 0
	s_cselect_b32 s10, -1, 0
	s_cmp_eq_u64 s[4:5], 0
	s_cbranch_scc1 .LBB73_137
; %bb.134:
	s_get_pc_i64 s[0:1]
	s_add_nc_u64 s[0:1], s[0:1], .str.3@rel64+3
.LBB73_135:                             ; =>This Inner Loop Header: Depth=1
	s_load_u8 s6, s[0:1], 0x1
	s_wait_xcnt 0x0
	s_add_nc_u64 s[0:1], s[0:1], 1
	s_wait_kmcnt 0x0
	s_cmp_lg_u32 s6, 0
	s_cbranch_scc1 .LBB73_135
; %bb.136:
	s_get_pc_i64 s[6:7]
	s_add_nc_u64 s[6:7], s[6:7], .str.3@rel64+4
	s_delay_alu instid0(SALU_CYCLE_1) | instskip(NEXT) | instid1(SALU_CYCLE_1)
	s_sub_nc_u64 s[0:1], s[0:1], s[6:7]
	s_add_nc_u64 s[6:7], s[0:1], 1
.LBB73_137:
	s_and_b32 vcc_lo, exec_lo, s10
	s_cbranch_vccz .LBB73_215
; %bb.138:
	v_mov_b64_e32 v[10:11], 0x100000002
	s_wait_loadcnt 0x0
	v_dual_mov_b32 v9, 0 :: v_dual_bitop2_b32 v28, 2, v2 bitop3:0x40
	v_dual_mov_b32 v5, v3 :: v_dual_bitop2_b32 v4, -3, v2 bitop3:0x40
	s_branch .LBB73_140
.LBB73_139:                             ;   in Loop: Header=BB73_140 Depth=1
	s_or_b32 exec_lo, exec_lo, s14
	s_sub_nc_u64 s[6:7], s[6:7], s[10:11]
	s_add_nc_u64 s[4:5], s[4:5], s[10:11]
	s_cmp_lg_u64 s[6:7], 0
	s_cbranch_scc0 .LBB73_216
.LBB73_140:                             ; =>This Loop Header: Depth=1
                                        ;     Child Loop BB73_143 Depth 2
                                        ;     Child Loop BB73_150 Depth 2
	;; [unrolled: 1-line block ×11, first 2 shown]
	v_min_u64 v[6:7], s[6:7], 56
	v_cmp_gt_u64_e64 s0, s[6:7], 7
	s_and_b32 vcc_lo, exec_lo, s0
	v_readfirstlane_b32 s10, v6
	v_readfirstlane_b32 s11, v7
	s_cbranch_vccnz .LBB73_145
; %bb.141:                              ;   in Loop: Header=BB73_140 Depth=1
	v_mov_b64_e32 v[6:7], 0
	s_cmp_eq_u64 s[6:7], 0
	s_cbranch_scc1 .LBB73_144
; %bb.142:                              ;   in Loop: Header=BB73_140 Depth=1
	s_mov_b64 s[0:1], 0
	s_mov_b64 s[12:13], 0
.LBB73_143:                             ;   Parent Loop BB73_140 Depth=1
                                        ; =>  This Inner Loop Header: Depth=2
	s_wait_xcnt 0x0
	s_add_nc_u64 s[14:15], s[4:5], s[12:13]
	s_add_nc_u64 s[12:13], s[12:13], 1
	global_load_u8 v1, v9, s[14:15]
	s_cmp_lg_u32 s10, s12
	s_wait_loadcnt 0x0
	v_and_b32_e32 v8, 0xffff, v1
	s_delay_alu instid0(VALU_DEP_1) | instskip(SKIP_1) | instid1(VALU_DEP_1)
	v_lshlrev_b64_e32 v[12:13], s0, v[8:9]
	s_add_nc_u64 s[0:1], s[0:1], 8
	v_or_b32_e32 v6, v12, v6
	s_delay_alu instid0(VALU_DEP_2)
	v_or_b32_e32 v7, v13, v7
	s_cbranch_scc1 .LBB73_143
.LBB73_144:                             ;   in Loop: Header=BB73_140 Depth=1
	s_mov_b64 s[12:13], s[4:5]
	s_mov_b32 s16, 0
	s_cbranch_execz .LBB73_146
	s_branch .LBB73_147
.LBB73_145:                             ;   in Loop: Header=BB73_140 Depth=1
	s_add_nc_u64 s[12:13], s[4:5], 8
	s_mov_b32 s16, 0
.LBB73_146:                             ;   in Loop: Header=BB73_140 Depth=1
	global_load_b64 v[6:7], v9, s[4:5]
	s_add_co_i32 s16, s10, -8
.LBB73_147:                             ;   in Loop: Header=BB73_140 Depth=1
	s_delay_alu instid0(SALU_CYCLE_1)
	s_cmp_gt_u32 s16, 7
	s_cbranch_scc1 .LBB73_152
; %bb.148:                              ;   in Loop: Header=BB73_140 Depth=1
	v_mov_b64_e32 v[12:13], 0
	s_cmp_eq_u32 s16, 0
	s_cbranch_scc1 .LBB73_151
; %bb.149:                              ;   in Loop: Header=BB73_140 Depth=1
	s_mov_b64 s[0:1], 0
	s_wait_xcnt 0x0
	s_mov_b64 s[14:15], 0
.LBB73_150:                             ;   Parent Loop BB73_140 Depth=1
                                        ; =>  This Inner Loop Header: Depth=2
	s_wait_xcnt 0x0
	s_add_nc_u64 s[18:19], s[12:13], s[14:15]
	s_add_nc_u64 s[14:15], s[14:15], 1
	global_load_u8 v1, v9, s[18:19]
	s_cmp_lg_u32 s16, s14
	s_wait_loadcnt 0x0
	v_and_b32_e32 v8, 0xffff, v1
	s_delay_alu instid0(VALU_DEP_1) | instskip(SKIP_1) | instid1(VALU_DEP_1)
	v_lshlrev_b64_e32 v[14:15], s0, v[8:9]
	s_add_nc_u64 s[0:1], s[0:1], 8
	v_or_b32_e32 v12, v14, v12
	s_delay_alu instid0(VALU_DEP_2)
	v_or_b32_e32 v13, v15, v13
	s_cbranch_scc1 .LBB73_150
.LBB73_151:                             ;   in Loop: Header=BB73_140 Depth=1
	s_wait_xcnt 0x0
	s_mov_b64 s[0:1], s[12:13]
	s_mov_b32 s17, 0
	s_cbranch_execz .LBB73_153
	s_branch .LBB73_154
.LBB73_152:                             ;   in Loop: Header=BB73_140 Depth=1
	s_add_nc_u64 s[0:1], s[12:13], 8
	s_wait_xcnt 0x0
                                        ; implicit-def: $vgpr12_vgpr13
	s_mov_b32 s17, 0
.LBB73_153:                             ;   in Loop: Header=BB73_140 Depth=1
	global_load_b64 v[12:13], v9, s[12:13]
	s_add_co_i32 s17, s16, -8
.LBB73_154:                             ;   in Loop: Header=BB73_140 Depth=1
	s_delay_alu instid0(SALU_CYCLE_1)
	s_cmp_gt_u32 s17, 7
	s_cbranch_scc1 .LBB73_159
; %bb.155:                              ;   in Loop: Header=BB73_140 Depth=1
	v_mov_b64_e32 v[14:15], 0
	s_cmp_eq_u32 s17, 0
	s_cbranch_scc1 .LBB73_158
; %bb.156:                              ;   in Loop: Header=BB73_140 Depth=1
	s_wait_xcnt 0x0
	s_mov_b64 s[12:13], 0
	s_mov_b64 s[14:15], 0
.LBB73_157:                             ;   Parent Loop BB73_140 Depth=1
                                        ; =>  This Inner Loop Header: Depth=2
	s_wait_xcnt 0x0
	s_add_nc_u64 s[18:19], s[0:1], s[14:15]
	s_add_nc_u64 s[14:15], s[14:15], 1
	global_load_u8 v1, v9, s[18:19]
	s_cmp_lg_u32 s17, s14
	s_wait_loadcnt 0x0
	v_and_b32_e32 v8, 0xffff, v1
	s_delay_alu instid0(VALU_DEP_1) | instskip(SKIP_1) | instid1(VALU_DEP_1)
	v_lshlrev_b64_e32 v[16:17], s12, v[8:9]
	s_add_nc_u64 s[12:13], s[12:13], 8
	v_or_b32_e32 v14, v16, v14
	s_delay_alu instid0(VALU_DEP_2)
	v_or_b32_e32 v15, v17, v15
	s_cbranch_scc1 .LBB73_157
.LBB73_158:                             ;   in Loop: Header=BB73_140 Depth=1
	s_wait_xcnt 0x0
	s_mov_b64 s[12:13], s[0:1]
	s_mov_b32 s16, 0
	s_cbranch_execz .LBB73_160
	s_branch .LBB73_161
.LBB73_159:                             ;   in Loop: Header=BB73_140 Depth=1
	s_wait_xcnt 0x0
	s_add_nc_u64 s[12:13], s[0:1], 8
	s_mov_b32 s16, 0
.LBB73_160:                             ;   in Loop: Header=BB73_140 Depth=1
	global_load_b64 v[14:15], v9, s[0:1]
	s_add_co_i32 s16, s17, -8
.LBB73_161:                             ;   in Loop: Header=BB73_140 Depth=1
	s_delay_alu instid0(SALU_CYCLE_1)
	s_cmp_gt_u32 s16, 7
	s_cbranch_scc1 .LBB73_166
; %bb.162:                              ;   in Loop: Header=BB73_140 Depth=1
	v_mov_b64_e32 v[16:17], 0
	s_cmp_eq_u32 s16, 0
	s_cbranch_scc1 .LBB73_165
; %bb.163:                              ;   in Loop: Header=BB73_140 Depth=1
	s_wait_xcnt 0x0
	s_mov_b64 s[0:1], 0
	s_mov_b64 s[14:15], 0
.LBB73_164:                             ;   Parent Loop BB73_140 Depth=1
                                        ; =>  This Inner Loop Header: Depth=2
	s_wait_xcnt 0x0
	s_add_nc_u64 s[18:19], s[12:13], s[14:15]
	s_add_nc_u64 s[14:15], s[14:15], 1
	global_load_u8 v1, v9, s[18:19]
	s_cmp_lg_u32 s16, s14
	s_wait_loadcnt 0x0
	v_and_b32_e32 v8, 0xffff, v1
	s_delay_alu instid0(VALU_DEP_1) | instskip(SKIP_1) | instid1(VALU_DEP_1)
	v_lshlrev_b64_e32 v[18:19], s0, v[8:9]
	s_add_nc_u64 s[0:1], s[0:1], 8
	v_or_b32_e32 v16, v18, v16
	s_delay_alu instid0(VALU_DEP_2)
	v_or_b32_e32 v17, v19, v17
	s_cbranch_scc1 .LBB73_164
.LBB73_165:                             ;   in Loop: Header=BB73_140 Depth=1
	s_wait_xcnt 0x0
	s_mov_b64 s[0:1], s[12:13]
	s_mov_b32 s17, 0
	s_cbranch_execz .LBB73_167
	s_branch .LBB73_168
.LBB73_166:                             ;   in Loop: Header=BB73_140 Depth=1
	s_wait_xcnt 0x0
	s_add_nc_u64 s[0:1], s[12:13], 8
                                        ; implicit-def: $vgpr16_vgpr17
	s_mov_b32 s17, 0
.LBB73_167:                             ;   in Loop: Header=BB73_140 Depth=1
	global_load_b64 v[16:17], v9, s[12:13]
	s_add_co_i32 s17, s16, -8
.LBB73_168:                             ;   in Loop: Header=BB73_140 Depth=1
	s_delay_alu instid0(SALU_CYCLE_1)
	s_cmp_gt_u32 s17, 7
	s_cbranch_scc1 .LBB73_173
; %bb.169:                              ;   in Loop: Header=BB73_140 Depth=1
	v_mov_b64_e32 v[18:19], 0
	s_cmp_eq_u32 s17, 0
	s_cbranch_scc1 .LBB73_172
; %bb.170:                              ;   in Loop: Header=BB73_140 Depth=1
	s_wait_xcnt 0x0
	s_mov_b64 s[12:13], 0
	s_mov_b64 s[14:15], 0
.LBB73_171:                             ;   Parent Loop BB73_140 Depth=1
                                        ; =>  This Inner Loop Header: Depth=2
	s_wait_xcnt 0x0
	s_add_nc_u64 s[18:19], s[0:1], s[14:15]
	s_add_nc_u64 s[14:15], s[14:15], 1
	global_load_u8 v1, v9, s[18:19]
	s_cmp_lg_u32 s17, s14
	s_wait_loadcnt 0x0
	v_and_b32_e32 v8, 0xffff, v1
	s_delay_alu instid0(VALU_DEP_1) | instskip(SKIP_1) | instid1(VALU_DEP_1)
	v_lshlrev_b64_e32 v[20:21], s12, v[8:9]
	s_add_nc_u64 s[12:13], s[12:13], 8
	v_or_b32_e32 v18, v20, v18
	s_delay_alu instid0(VALU_DEP_2)
	v_or_b32_e32 v19, v21, v19
	s_cbranch_scc1 .LBB73_171
.LBB73_172:                             ;   in Loop: Header=BB73_140 Depth=1
	s_wait_xcnt 0x0
	s_mov_b64 s[12:13], s[0:1]
	s_mov_b32 s16, 0
	s_cbranch_execz .LBB73_174
	s_branch .LBB73_175
.LBB73_173:                             ;   in Loop: Header=BB73_140 Depth=1
	s_wait_xcnt 0x0
	s_add_nc_u64 s[12:13], s[0:1], 8
	s_mov_b32 s16, 0
.LBB73_174:                             ;   in Loop: Header=BB73_140 Depth=1
	global_load_b64 v[18:19], v9, s[0:1]
	s_add_co_i32 s16, s17, -8
.LBB73_175:                             ;   in Loop: Header=BB73_140 Depth=1
	s_delay_alu instid0(SALU_CYCLE_1)
	s_cmp_gt_u32 s16, 7
	s_cbranch_scc1 .LBB73_180
; %bb.176:                              ;   in Loop: Header=BB73_140 Depth=1
	v_mov_b64_e32 v[20:21], 0
	s_cmp_eq_u32 s16, 0
	s_cbranch_scc1 .LBB73_179
; %bb.177:                              ;   in Loop: Header=BB73_140 Depth=1
	s_wait_xcnt 0x0
	s_mov_b64 s[0:1], 0
	s_mov_b64 s[14:15], 0
.LBB73_178:                             ;   Parent Loop BB73_140 Depth=1
                                        ; =>  This Inner Loop Header: Depth=2
	s_wait_xcnt 0x0
	s_add_nc_u64 s[18:19], s[12:13], s[14:15]
	s_add_nc_u64 s[14:15], s[14:15], 1
	global_load_u8 v1, v9, s[18:19]
	s_cmp_lg_u32 s16, s14
	s_wait_loadcnt 0x0
	v_and_b32_e32 v8, 0xffff, v1
	s_delay_alu instid0(VALU_DEP_1) | instskip(SKIP_1) | instid1(VALU_DEP_1)
	v_lshlrev_b64_e32 v[22:23], s0, v[8:9]
	s_add_nc_u64 s[0:1], s[0:1], 8
	v_or_b32_e32 v20, v22, v20
	s_delay_alu instid0(VALU_DEP_2)
	v_or_b32_e32 v21, v23, v21
	s_cbranch_scc1 .LBB73_178
.LBB73_179:                             ;   in Loop: Header=BB73_140 Depth=1
	s_wait_xcnt 0x0
	s_mov_b64 s[0:1], s[12:13]
	s_mov_b32 s17, 0
	s_cbranch_execz .LBB73_181
	s_branch .LBB73_182
.LBB73_180:                             ;   in Loop: Header=BB73_140 Depth=1
	s_wait_xcnt 0x0
	s_add_nc_u64 s[0:1], s[12:13], 8
                                        ; implicit-def: $vgpr20_vgpr21
	s_mov_b32 s17, 0
.LBB73_181:                             ;   in Loop: Header=BB73_140 Depth=1
	global_load_b64 v[20:21], v9, s[12:13]
	s_add_co_i32 s17, s16, -8
.LBB73_182:                             ;   in Loop: Header=BB73_140 Depth=1
	s_delay_alu instid0(SALU_CYCLE_1)
	s_cmp_gt_u32 s17, 7
	s_cbranch_scc1 .LBB73_187
; %bb.183:                              ;   in Loop: Header=BB73_140 Depth=1
	v_mov_b64_e32 v[22:23], 0
	s_cmp_eq_u32 s17, 0
	s_cbranch_scc1 .LBB73_186
; %bb.184:                              ;   in Loop: Header=BB73_140 Depth=1
	s_wait_xcnt 0x0
	s_mov_b64 s[12:13], 0
	s_mov_b64 s[14:15], s[0:1]
.LBB73_185:                             ;   Parent Loop BB73_140 Depth=1
                                        ; =>  This Inner Loop Header: Depth=2
	global_load_u8 v1, v9, s[14:15]
	s_add_co_i32 s17, s17, -1
	s_wait_xcnt 0x0
	s_add_nc_u64 s[14:15], s[14:15], 1
	s_cmp_lg_u32 s17, 0
	s_wait_loadcnt 0x0
	v_and_b32_e32 v8, 0xffff, v1
	s_delay_alu instid0(VALU_DEP_1) | instskip(SKIP_1) | instid1(VALU_DEP_1)
	v_lshlrev_b64_e32 v[24:25], s12, v[8:9]
	s_add_nc_u64 s[12:13], s[12:13], 8
	v_or_b32_e32 v22, v24, v22
	s_delay_alu instid0(VALU_DEP_2)
	v_or_b32_e32 v23, v25, v23
	s_cbranch_scc1 .LBB73_185
.LBB73_186:                             ;   in Loop: Header=BB73_140 Depth=1
	s_wait_xcnt 0x0
	s_cbranch_execz .LBB73_188
	s_branch .LBB73_189
.LBB73_187:                             ;   in Loop: Header=BB73_140 Depth=1
	s_wait_xcnt 0x0
.LBB73_188:                             ;   in Loop: Header=BB73_140 Depth=1
	global_load_b64 v[22:23], v9, s[0:1]
.LBB73_189:                             ;   in Loop: Header=BB73_140 Depth=1
	s_wait_xcnt 0x0
	v_readfirstlane_b32 s0, v29
	v_mov_b64_e32 v[30:31], 0
	s_delay_alu instid0(VALU_DEP_2)
	v_cmp_eq_u32_e64 s0, s0, v29
	s_and_saveexec_b32 s1, s0
	s_cbranch_execz .LBB73_195
; %bb.190:                              ;   in Loop: Header=BB73_140 Depth=1
	global_load_b64 v[26:27], v9, s[2:3] offset:24 scope:SCOPE_SYS
	s_wait_loadcnt 0x0
	global_inv scope:SCOPE_SYS
	s_clause 0x1
	global_load_b64 v[24:25], v9, s[2:3] offset:40
	global_load_b64 v[30:31], v9, s[2:3]
	s_mov_b32 s12, exec_lo
	s_wait_loadcnt 0x1
	v_and_b32_e32 v24, v24, v26
	v_and_b32_e32 v25, v25, v27
	s_delay_alu instid0(VALU_DEP_1) | instskip(SKIP_1) | instid1(VALU_DEP_1)
	v_mul_u64_e32 v[24:25], 24, v[24:25]
	s_wait_loadcnt 0x0
	v_add_nc_u64_e32 v[24:25], v[30:31], v[24:25]
	global_load_b64 v[24:25], v[24:25], off scope:SCOPE_SYS
	s_wait_xcnt 0x0
	s_wait_loadcnt 0x0
	global_atomic_cmpswap_b64 v[30:31], v9, v[24:27], s[2:3] offset:24 th:TH_ATOMIC_RETURN scope:SCOPE_SYS
	s_wait_loadcnt 0x0
	global_inv scope:SCOPE_SYS
	s_wait_xcnt 0x0
	v_cmpx_ne_u64_e64 v[30:31], v[26:27]
	s_cbranch_execz .LBB73_194
; %bb.191:                              ;   in Loop: Header=BB73_140 Depth=1
	s_mov_b32 s13, 0
.LBB73_192:                             ;   Parent Loop BB73_140 Depth=1
                                        ; =>  This Inner Loop Header: Depth=2
	s_sleep 1
	s_clause 0x1
	global_load_b64 v[24:25], v9, s[2:3] offset:40
	global_load_b64 v[32:33], v9, s[2:3]
	v_mov_b64_e32 v[26:27], v[30:31]
	s_wait_loadcnt 0x1
	s_delay_alu instid0(VALU_DEP_1) | instskip(SKIP_1) | instid1(VALU_DEP_1)
	v_and_b32_e32 v1, v24, v26
	s_wait_loadcnt 0x0
	v_mad_nc_u64_u32 v[30:31], v1, 24, v[32:33]
	s_delay_alu instid0(VALU_DEP_3) | instskip(NEXT) | instid1(VALU_DEP_1)
	v_and_b32_e32 v1, v25, v27
	v_mad_u32 v31, v1, 24, v31
	global_load_b64 v[24:25], v[30:31], off scope:SCOPE_SYS
	s_wait_xcnt 0x0
	s_wait_loadcnt 0x0
	global_atomic_cmpswap_b64 v[30:31], v9, v[24:27], s[2:3] offset:24 th:TH_ATOMIC_RETURN scope:SCOPE_SYS
	s_wait_loadcnt 0x0
	global_inv scope:SCOPE_SYS
	v_cmp_eq_u64_e32 vcc_lo, v[30:31], v[26:27]
	s_or_b32 s13, vcc_lo, s13
	s_wait_xcnt 0x0
	s_and_not1_b32 exec_lo, exec_lo, s13
	s_cbranch_execnz .LBB73_192
; %bb.193:                              ;   in Loop: Header=BB73_140 Depth=1
	s_or_b32 exec_lo, exec_lo, s13
.LBB73_194:                             ;   in Loop: Header=BB73_140 Depth=1
	s_delay_alu instid0(SALU_CYCLE_1)
	s_or_b32 exec_lo, exec_lo, s12
.LBB73_195:                             ;   in Loop: Header=BB73_140 Depth=1
	s_delay_alu instid0(SALU_CYCLE_1)
	s_or_b32 exec_lo, exec_lo, s1
	s_clause 0x1
	global_load_b64 v[32:33], v9, s[2:3] offset:40
	global_load_b128 v[24:27], v9, s[2:3]
	v_readfirstlane_b32 s12, v30
	v_readfirstlane_b32 s13, v31
	s_mov_b32 s1, exec_lo
	s_wait_loadcnt 0x1
	v_and_b32_e32 v32, s12, v32
	v_and_b32_e32 v33, s13, v33
	s_delay_alu instid0(VALU_DEP_1) | instskip(SKIP_1) | instid1(VALU_DEP_1)
	v_mul_u64_e32 v[30:31], 24, v[32:33]
	s_wait_loadcnt 0x0
	v_add_nc_u64_e32 v[30:31], v[24:25], v[30:31]
	s_wait_xcnt 0x0
	s_and_saveexec_b32 s14, s0
	s_cbranch_execz .LBB73_197
; %bb.196:                              ;   in Loop: Header=BB73_140 Depth=1
	v_mov_b32_e32 v8, s1
	global_store_b128 v[30:31], v[8:11], off offset:8
.LBB73_197:                             ;   in Loop: Header=BB73_140 Depth=1
	s_wait_xcnt 0x0
	s_or_b32 exec_lo, exec_lo, s14
	v_cmp_lt_u64_e64 vcc_lo, s[6:7], 57
	v_lshlrev_b64_e32 v[32:33], 12, v[32:33]
	v_and_b32_e32 v4, 0xffffff1f, v4
	s_lshl_b32 s1, s10, 2
	s_delay_alu instid0(SALU_CYCLE_1) | instskip(SKIP_1) | instid1(VALU_DEP_3)
	s_add_co_i32 s1, s1, 28
	v_cndmask_b32_e32 v1, 0, v28, vcc_lo
	v_add_nc_u64_e32 v[26:27], v[26:27], v[32:33]
	s_delay_alu instid0(VALU_DEP_2) | instskip(NEXT) | instid1(VALU_DEP_2)
	v_or_b32_e32 v1, v4, v1
	v_readfirstlane_b32 s14, v26
	s_delay_alu instid0(VALU_DEP_3) | instskip(NEXT) | instid1(VALU_DEP_3)
	v_readfirstlane_b32 s15, v27
	v_and_or_b32 v4, 0x1e0, s1, v1
	s_clause 0x3
	global_store_b128 v0, v[4:7], s[14:15]
	global_store_b128 v0, v[12:15], s[14:15] offset:16
	global_store_b128 v0, v[16:19], s[14:15] offset:32
	;; [unrolled: 1-line block ×3, first 2 shown]
	s_wait_xcnt 0x0
	s_and_saveexec_b32 s1, s0
	s_cbranch_execz .LBB73_205
; %bb.198:                              ;   in Loop: Header=BB73_140 Depth=1
	s_clause 0x1
	global_load_b64 v[16:17], v9, s[2:3] offset:32 scope:SCOPE_SYS
	global_load_b64 v[4:5], v9, s[2:3] offset:40
	s_mov_b32 s14, exec_lo
	v_dual_mov_b32 v14, s12 :: v_dual_mov_b32 v15, s13
	s_wait_loadcnt 0x0
	v_and_b32_e32 v5, s13, v5
	v_and_b32_e32 v4, s12, v4
	s_delay_alu instid0(VALU_DEP_1) | instskip(NEXT) | instid1(VALU_DEP_1)
	v_mul_u64_e32 v[4:5], 24, v[4:5]
	v_add_nc_u64_e32 v[12:13], v[24:25], v[4:5]
	global_store_b64 v[12:13], v[16:17], off
	global_wb scope:SCOPE_SYS
	s_wait_storecnt 0x0
	s_wait_xcnt 0x0
	global_atomic_cmpswap_b64 v[6:7], v9, v[14:17], s[2:3] offset:32 th:TH_ATOMIC_RETURN scope:SCOPE_SYS
	s_wait_loadcnt 0x0
	v_cmpx_ne_u64_e64 v[6:7], v[16:17]
	s_cbranch_execz .LBB73_201
; %bb.199:                              ;   in Loop: Header=BB73_140 Depth=1
	s_mov_b32 s15, 0
.LBB73_200:                             ;   Parent Loop BB73_140 Depth=1
                                        ; =>  This Inner Loop Header: Depth=2
	v_dual_mov_b32 v4, s12 :: v_dual_mov_b32 v5, s13
	s_sleep 1
	global_store_b64 v[12:13], v[6:7], off
	global_wb scope:SCOPE_SYS
	s_wait_storecnt 0x0
	s_wait_xcnt 0x0
	global_atomic_cmpswap_b64 v[4:5], v9, v[4:7], s[2:3] offset:32 th:TH_ATOMIC_RETURN scope:SCOPE_SYS
	s_wait_loadcnt 0x0
	v_cmp_eq_u64_e32 vcc_lo, v[4:5], v[6:7]
	v_mov_b64_e32 v[6:7], v[4:5]
	s_or_b32 s15, vcc_lo, s15
	s_delay_alu instid0(SALU_CYCLE_1)
	s_and_not1_b32 exec_lo, exec_lo, s15
	s_cbranch_execnz .LBB73_200
.LBB73_201:                             ;   in Loop: Header=BB73_140 Depth=1
	s_or_b32 exec_lo, exec_lo, s14
	global_load_b64 v[4:5], v9, s[2:3] offset:16
	s_mov_b32 s15, exec_lo
	s_mov_b32 s14, exec_lo
	v_mbcnt_lo_u32_b32 v1, s15, 0
	s_wait_xcnt 0x0
	s_delay_alu instid0(VALU_DEP_1)
	v_cmpx_eq_u32_e32 0, v1
	s_cbranch_execz .LBB73_203
; %bb.202:                              ;   in Loop: Header=BB73_140 Depth=1
	s_bcnt1_i32_b32 s15, s15
	s_delay_alu instid0(SALU_CYCLE_1)
	v_mov_b32_e32 v8, s15
	global_wb scope:SCOPE_SYS
	s_wait_loadcnt 0x0
	s_wait_storecnt 0x0
	global_atomic_add_u64 v[4:5], v[8:9], off offset:8 scope:SCOPE_SYS
.LBB73_203:                             ;   in Loop: Header=BB73_140 Depth=1
	s_wait_xcnt 0x0
	s_or_b32 exec_lo, exec_lo, s14
	s_wait_loadcnt 0x0
	global_load_b64 v[6:7], v[4:5], off offset:16
	s_wait_loadcnt 0x0
	v_cmp_eq_u64_e32 vcc_lo, 0, v[6:7]
	s_cbranch_vccnz .LBB73_205
; %bb.204:                              ;   in Loop: Header=BB73_140 Depth=1
	global_load_b32 v8, v[4:5], off offset:24
	s_wait_loadcnt 0x0
	v_readfirstlane_b32 s14, v8
	global_wb scope:SCOPE_SYS
	s_wait_storecnt 0x0
	s_wait_xcnt 0x0
	global_store_b64 v[6:7], v[8:9], off scope:SCOPE_SYS
	s_and_b32 m0, s14, 0xffffff
	s_sendmsg sendmsg(MSG_INTERRUPT)
.LBB73_205:                             ;   in Loop: Header=BB73_140 Depth=1
	s_wait_xcnt 0x0
	s_or_b32 exec_lo, exec_lo, s1
	v_mov_b32_e32 v1, v9
	s_delay_alu instid0(VALU_DEP_1)
	v_add_nc_u64_e32 v[4:5], v[26:27], v[0:1]
	s_branch .LBB73_209
.LBB73_206:                             ;   in Loop: Header=BB73_209 Depth=2
	s_wait_xcnt 0x0
	s_or_b32 exec_lo, exec_lo, s1
	s_delay_alu instid0(VALU_DEP_1)
	v_readfirstlane_b32 s1, v1
	s_cmp_eq_u32 s1, 0
	s_cbranch_scc1 .LBB73_208
; %bb.207:                              ;   in Loop: Header=BB73_209 Depth=2
	s_sleep 1
	s_cbranch_execnz .LBB73_209
	s_branch .LBB73_211
.LBB73_208:                             ;   in Loop: Header=BB73_140 Depth=1
	s_branch .LBB73_211
.LBB73_209:                             ;   Parent Loop BB73_140 Depth=1
                                        ; =>  This Inner Loop Header: Depth=2
	v_mov_b32_e32 v1, 1
	s_and_saveexec_b32 s1, s0
	s_cbranch_execz .LBB73_206
; %bb.210:                              ;   in Loop: Header=BB73_209 Depth=2
	global_load_b32 v1, v[30:31], off offset:20 scope:SCOPE_SYS
	s_wait_loadcnt 0x0
	global_inv scope:SCOPE_SYS
	v_and_b32_e32 v1, 1, v1
	s_branch .LBB73_206
.LBB73_211:                             ;   in Loop: Header=BB73_140 Depth=1
	global_load_b64 v[4:5], v[4:5], off
	s_wait_xcnt 0x0
	s_and_saveexec_b32 s14, s0
	s_cbranch_execz .LBB73_139
; %bb.212:                              ;   in Loop: Header=BB73_140 Depth=1
	s_clause 0x2
	global_load_b64 v[6:7], v9, s[2:3] offset:40
	global_load_b64 v[16:17], v9, s[2:3] offset:24 scope:SCOPE_SYS
	global_load_b64 v[12:13], v9, s[2:3]
	s_wait_loadcnt 0x2
	v_readfirstlane_b32 s16, v6
	v_readfirstlane_b32 s17, v7
	s_add_nc_u64 s[0:1], s[16:17], 1
	s_delay_alu instid0(SALU_CYCLE_1) | instskip(NEXT) | instid1(SALU_CYCLE_1)
	s_add_nc_u64 s[12:13], s[0:1], s[12:13]
	s_cmp_eq_u64 s[12:13], 0
	s_cselect_b32 s1, s1, s13
	s_cselect_b32 s0, s0, s12
	s_delay_alu instid0(SALU_CYCLE_1) | instskip(SKIP_1) | instid1(SALU_CYCLE_1)
	v_dual_mov_b32 v15, s1 :: v_dual_mov_b32 v14, s0
	s_and_b64 s[12:13], s[0:1], s[16:17]
	s_mul_u64 s[12:13], s[12:13], 24
	s_wait_loadcnt 0x0
	v_add_nc_u64_e32 v[6:7], s[12:13], v[12:13]
	global_store_b64 v[6:7], v[16:17], off
	global_wb scope:SCOPE_SYS
	s_wait_storecnt 0x0
	s_wait_xcnt 0x0
	global_atomic_cmpswap_b64 v[14:15], v9, v[14:17], s[2:3] offset:24 th:TH_ATOMIC_RETURN scope:SCOPE_SYS
	s_wait_loadcnt 0x0
	v_cmp_ne_u64_e32 vcc_lo, v[14:15], v[16:17]
	s_and_b32 exec_lo, exec_lo, vcc_lo
	s_cbranch_execz .LBB73_139
; %bb.213:                              ;   in Loop: Header=BB73_140 Depth=1
	s_mov_b32 s12, 0
.LBB73_214:                             ;   Parent Loop BB73_140 Depth=1
                                        ; =>  This Inner Loop Header: Depth=2
	v_dual_mov_b32 v12, s0 :: v_dual_mov_b32 v13, s1
	s_sleep 1
	global_store_b64 v[6:7], v[14:15], off
	global_wb scope:SCOPE_SYS
	s_wait_storecnt 0x0
	s_wait_xcnt 0x0
	global_atomic_cmpswap_b64 v[12:13], v9, v[12:15], s[2:3] offset:24 th:TH_ATOMIC_RETURN scope:SCOPE_SYS
	s_wait_loadcnt 0x0
	v_cmp_eq_u64_e32 vcc_lo, v[12:13], v[14:15]
	v_mov_b64_e32 v[14:15], v[12:13]
	s_or_b32 s12, vcc_lo, s12
	s_delay_alu instid0(SALU_CYCLE_1)
	s_and_not1_b32 exec_lo, exec_lo, s12
	s_cbranch_execnz .LBB73_214
	s_branch .LBB73_139
.LBB73_215:
                                        ; implicit-def: $vgpr4_vgpr5
	s_cbranch_execnz .LBB73_217
	s_branch .LBB73_244
.LBB73_216:
	s_branch .LBB73_244
.LBB73_217:
	v_readfirstlane_b32 s0, v29
	s_wait_loadcnt 0x0
	v_mov_b64_e32 v[4:5], 0
	s_delay_alu instid0(VALU_DEP_2)
	v_cmp_eq_u32_e64 s0, s0, v29
	s_and_saveexec_b32 s1, s0
	s_cbranch_execz .LBB73_223
; %bb.218:
	v_mov_b32_e32 v1, 0
	s_mov_b32 s4, exec_lo
	global_load_b64 v[6:7], v1, s[2:3] offset:24 scope:SCOPE_SYS
	s_wait_loadcnt 0x0
	global_inv scope:SCOPE_SYS
	s_clause 0x1
	global_load_b64 v[4:5], v1, s[2:3] offset:40
	global_load_b64 v[8:9], v1, s[2:3]
	s_wait_loadcnt 0x1
	v_and_b32_e32 v4, v4, v6
	v_and_b32_e32 v5, v5, v7
	s_delay_alu instid0(VALU_DEP_1) | instskip(SKIP_1) | instid1(VALU_DEP_1)
	v_mul_u64_e32 v[4:5], 24, v[4:5]
	s_wait_loadcnt 0x0
	v_add_nc_u64_e32 v[4:5], v[8:9], v[4:5]
	global_load_b64 v[4:5], v[4:5], off scope:SCOPE_SYS
	s_wait_xcnt 0x0
	s_wait_loadcnt 0x0
	global_atomic_cmpswap_b64 v[4:5], v1, v[4:7], s[2:3] offset:24 th:TH_ATOMIC_RETURN scope:SCOPE_SYS
	s_wait_loadcnt 0x0
	global_inv scope:SCOPE_SYS
	s_wait_xcnt 0x0
	v_cmpx_ne_u64_e64 v[4:5], v[6:7]
	s_cbranch_execz .LBB73_222
; %bb.219:
	s_mov_b32 s5, 0
.LBB73_220:                             ; =>This Inner Loop Header: Depth=1
	s_sleep 1
	s_clause 0x1
	global_load_b64 v[8:9], v1, s[2:3] offset:40
	global_load_b64 v[10:11], v1, s[2:3]
	v_mov_b64_e32 v[6:7], v[4:5]
	s_wait_loadcnt 0x1
	s_delay_alu instid0(VALU_DEP_1) | instskip(NEXT) | instid1(VALU_DEP_2)
	v_and_b32_e32 v4, v8, v6
	v_and_b32_e32 v8, v9, v7
	s_wait_loadcnt 0x0
	s_delay_alu instid0(VALU_DEP_2) | instskip(NEXT) | instid1(VALU_DEP_1)
	v_mad_nc_u64_u32 v[4:5], v4, 24, v[10:11]
	v_mad_u32 v5, v8, 24, v5
	global_load_b64 v[4:5], v[4:5], off scope:SCOPE_SYS
	s_wait_xcnt 0x0
	s_wait_loadcnt 0x0
	global_atomic_cmpswap_b64 v[4:5], v1, v[4:7], s[2:3] offset:24 th:TH_ATOMIC_RETURN scope:SCOPE_SYS
	s_wait_loadcnt 0x0
	global_inv scope:SCOPE_SYS
	v_cmp_eq_u64_e32 vcc_lo, v[4:5], v[6:7]
	s_or_b32 s5, vcc_lo, s5
	s_wait_xcnt 0x0
	s_and_not1_b32 exec_lo, exec_lo, s5
	s_cbranch_execnz .LBB73_220
; %bb.221:
	s_or_b32 exec_lo, exec_lo, s5
.LBB73_222:
	s_delay_alu instid0(SALU_CYCLE_1)
	s_or_b32 exec_lo, exec_lo, s4
.LBB73_223:
	s_delay_alu instid0(SALU_CYCLE_1)
	s_or_b32 exec_lo, exec_lo, s1
	v_readfirstlane_b32 s4, v4
	v_mov_b32_e32 v1, 0
	v_readfirstlane_b32 s5, v5
	s_mov_b32 s1, exec_lo
	s_clause 0x1
	global_load_b64 v[10:11], v1, s[2:3] offset:40
	global_load_b128 v[6:9], v1, s[2:3]
	s_wait_loadcnt 0x1
	v_and_b32_e32 v4, s4, v10
	v_and_b32_e32 v5, s5, v11
	s_delay_alu instid0(VALU_DEP_1) | instskip(SKIP_1) | instid1(VALU_DEP_1)
	v_mul_u64_e32 v[10:11], 24, v[4:5]
	s_wait_loadcnt 0x0
	v_add_nc_u64_e32 v[10:11], v[6:7], v[10:11]
	s_wait_xcnt 0x0
	s_and_saveexec_b32 s6, s0
	s_cbranch_execz .LBB73_225
; %bb.224:
	v_mov_b64_e32 v[14:15], 0x100000002
	v_dual_mov_b32 v12, s1 :: v_dual_mov_b32 v13, v1
	global_store_b128 v[10:11], v[12:15], off offset:8
.LBB73_225:
	s_wait_xcnt 0x0
	s_or_b32 exec_lo, exec_lo, s6
	v_lshlrev_b64_e32 v[4:5], 12, v[4:5]
	s_mov_b32 s12, 0
	v_and_or_b32 v2, 0xffffff1f, v2, 32
	s_mov_b32 s13, s12
	s_mov_b32 s14, s12
	;; [unrolled: 1-line block ×3, first 2 shown]
	v_mov_b64_e32 v[12:13], s[12:13]
	v_add_nc_u64_e32 v[8:9], v[8:9], v[4:5]
	v_mov_b64_e32 v[14:15], s[14:15]
	v_dual_mov_b32 v4, v1 :: v_dual_mov_b32 v5, v1
	s_delay_alu instid0(VALU_DEP_3) | instskip(NEXT) | instid1(VALU_DEP_4)
	v_readfirstlane_b32 s6, v8
	v_readfirstlane_b32 s7, v9
	s_clause 0x3
	global_store_b128 v0, v[2:5], s[6:7]
	global_store_b128 v0, v[12:15], s[6:7] offset:16
	global_store_b128 v0, v[12:15], s[6:7] offset:32
	;; [unrolled: 1-line block ×3, first 2 shown]
	s_wait_xcnt 0x0
	s_and_saveexec_b32 s1, s0
	s_cbranch_execz .LBB73_233
; %bb.226:
	v_dual_mov_b32 v12, 0 :: v_dual_mov_b32 v15, s5
	s_mov_b32 s6, exec_lo
	s_clause 0x1
	global_load_b64 v[16:17], v12, s[2:3] offset:32 scope:SCOPE_SYS
	global_load_b64 v[2:3], v12, s[2:3] offset:40
	s_wait_loadcnt 0x0
	v_dual_mov_b32 v14, s4 :: v_dual_bitop2_b32 v3, s5, v3 bitop3:0x40
	v_and_b32_e32 v2, s4, v2
	s_delay_alu instid0(VALU_DEP_1) | instskip(NEXT) | instid1(VALU_DEP_1)
	v_mul_u64_e32 v[2:3], 24, v[2:3]
	v_add_nc_u64_e32 v[6:7], v[6:7], v[2:3]
	global_store_b64 v[6:7], v[16:17], off
	global_wb scope:SCOPE_SYS
	s_wait_storecnt 0x0
	s_wait_xcnt 0x0
	global_atomic_cmpswap_b64 v[4:5], v12, v[14:17], s[2:3] offset:32 th:TH_ATOMIC_RETURN scope:SCOPE_SYS
	s_wait_loadcnt 0x0
	v_cmpx_ne_u64_e64 v[4:5], v[16:17]
	s_cbranch_execz .LBB73_229
; %bb.227:
	s_mov_b32 s7, 0
.LBB73_228:                             ; =>This Inner Loop Header: Depth=1
	v_dual_mov_b32 v2, s4 :: v_dual_mov_b32 v3, s5
	s_sleep 1
	global_store_b64 v[6:7], v[4:5], off
	global_wb scope:SCOPE_SYS
	s_wait_storecnt 0x0
	s_wait_xcnt 0x0
	global_atomic_cmpswap_b64 v[2:3], v12, v[2:5], s[2:3] offset:32 th:TH_ATOMIC_RETURN scope:SCOPE_SYS
	s_wait_loadcnt 0x0
	v_cmp_eq_u64_e32 vcc_lo, v[2:3], v[4:5]
	v_mov_b64_e32 v[4:5], v[2:3]
	s_or_b32 s7, vcc_lo, s7
	s_delay_alu instid0(SALU_CYCLE_1)
	s_and_not1_b32 exec_lo, exec_lo, s7
	s_cbranch_execnz .LBB73_228
.LBB73_229:
	s_or_b32 exec_lo, exec_lo, s6
	v_mov_b32_e32 v5, 0
	s_mov_b32 s7, exec_lo
	s_mov_b32 s6, exec_lo
	v_mbcnt_lo_u32_b32 v4, s7, 0
	global_load_b64 v[2:3], v5, s[2:3] offset:16
	s_wait_xcnt 0x0
	v_cmpx_eq_u32_e32 0, v4
	s_cbranch_execz .LBB73_231
; %bb.230:
	s_bcnt1_i32_b32 s7, s7
	s_delay_alu instid0(SALU_CYCLE_1)
	v_mov_b32_e32 v4, s7
	global_wb scope:SCOPE_SYS
	s_wait_loadcnt 0x0
	s_wait_storecnt 0x0
	global_atomic_add_u64 v[2:3], v[4:5], off offset:8 scope:SCOPE_SYS
.LBB73_231:
	s_wait_xcnt 0x0
	s_or_b32 exec_lo, exec_lo, s6
	s_wait_loadcnt 0x0
	global_load_b64 v[4:5], v[2:3], off offset:16
	s_wait_loadcnt 0x0
	v_cmp_eq_u64_e32 vcc_lo, 0, v[4:5]
	s_cbranch_vccnz .LBB73_233
; %bb.232:
	global_load_b32 v2, v[2:3], off offset:24
	s_wait_xcnt 0x0
	v_mov_b32_e32 v3, 0
	s_wait_loadcnt 0x0
	v_readfirstlane_b32 s6, v2
	global_wb scope:SCOPE_SYS
	s_wait_storecnt 0x0
	global_store_b64 v[4:5], v[2:3], off scope:SCOPE_SYS
	s_and_b32 m0, s6, 0xffffff
	s_sendmsg sendmsg(MSG_INTERRUPT)
.LBB73_233:
	s_wait_xcnt 0x0
	s_or_b32 exec_lo, exec_lo, s1
	v_add_nc_u64_e32 v[2:3], v[8:9], v[0:1]
	s_branch .LBB73_237
.LBB73_234:                             ;   in Loop: Header=BB73_237 Depth=1
	s_wait_xcnt 0x0
	s_or_b32 exec_lo, exec_lo, s1
	s_delay_alu instid0(VALU_DEP_1)
	v_readfirstlane_b32 s1, v1
	s_cmp_eq_u32 s1, 0
	s_cbranch_scc1 .LBB73_236
; %bb.235:                              ;   in Loop: Header=BB73_237 Depth=1
	s_sleep 1
	s_cbranch_execnz .LBB73_237
	s_branch .LBB73_239
.LBB73_236:
	s_branch .LBB73_239
.LBB73_237:                             ; =>This Inner Loop Header: Depth=1
	v_mov_b32_e32 v1, 1
	s_and_saveexec_b32 s1, s0
	s_cbranch_execz .LBB73_234
; %bb.238:                              ;   in Loop: Header=BB73_237 Depth=1
	global_load_b32 v1, v[10:11], off offset:20 scope:SCOPE_SYS
	s_wait_loadcnt 0x0
	global_inv scope:SCOPE_SYS
	v_and_b32_e32 v1, 1, v1
	s_branch .LBB73_234
.LBB73_239:
	global_load_b64 v[4:5], v[2:3], off
	s_wait_xcnt 0x0
	s_and_saveexec_b32 s6, s0
	s_cbranch_execz .LBB73_243
; %bb.240:
	v_mov_b32_e32 v1, 0
	s_clause 0x2
	global_load_b64 v[2:3], v1, s[2:3] offset:40
	global_load_b64 v[10:11], v1, s[2:3] offset:24 scope:SCOPE_SYS
	global_load_b64 v[6:7], v1, s[2:3]
	s_wait_loadcnt 0x2
	v_readfirstlane_b32 s10, v2
	v_readfirstlane_b32 s11, v3
	s_add_nc_u64 s[0:1], s[10:11], 1
	s_delay_alu instid0(SALU_CYCLE_1) | instskip(NEXT) | instid1(SALU_CYCLE_1)
	s_add_nc_u64 s[4:5], s[0:1], s[4:5]
	s_cmp_eq_u64 s[4:5], 0
	s_cselect_b32 s1, s1, s5
	s_cselect_b32 s0, s0, s4
	v_mov_b32_e32 v9, s1
	s_and_b64 s[4:5], s[0:1], s[10:11]
	v_mov_b32_e32 v8, s0
	s_mul_u64 s[4:5], s[4:5], 24
	s_wait_loadcnt 0x0
	v_add_nc_u64_e32 v[2:3], s[4:5], v[6:7]
	global_store_b64 v[2:3], v[10:11], off
	global_wb scope:SCOPE_SYS
	s_wait_storecnt 0x0
	s_wait_xcnt 0x0
	global_atomic_cmpswap_b64 v[8:9], v1, v[8:11], s[2:3] offset:24 th:TH_ATOMIC_RETURN scope:SCOPE_SYS
	s_wait_loadcnt 0x0
	v_cmp_ne_u64_e32 vcc_lo, v[8:9], v[10:11]
	s_and_b32 exec_lo, exec_lo, vcc_lo
	s_cbranch_execz .LBB73_243
; %bb.241:
	s_mov_b32 s4, 0
.LBB73_242:                             ; =>This Inner Loop Header: Depth=1
	v_dual_mov_b32 v6, s0 :: v_dual_mov_b32 v7, s1
	s_sleep 1
	global_store_b64 v[2:3], v[8:9], off
	global_wb scope:SCOPE_SYS
	s_wait_storecnt 0x0
	s_wait_xcnt 0x0
	global_atomic_cmpswap_b64 v[6:7], v1, v[6:9], s[2:3] offset:24 th:TH_ATOMIC_RETURN scope:SCOPE_SYS
	s_wait_loadcnt 0x0
	v_cmp_eq_u64_e32 vcc_lo, v[6:7], v[8:9]
	v_mov_b64_e32 v[8:9], v[6:7]
	s_or_b32 s4, vcc_lo, s4
	s_delay_alu instid0(SALU_CYCLE_1)
	s_and_not1_b32 exec_lo, exec_lo, s4
	s_cbranch_execnz .LBB73_242
.LBB73_243:
	s_or_b32 exec_lo, exec_lo, s6
.LBB73_244:
	v_readfirstlane_b32 s0, v29
	s_wait_loadcnt 0x0
	v_mov_b64_e32 v[2:3], 0
	s_delay_alu instid0(VALU_DEP_2)
	v_cmp_eq_u32_e64 s0, s0, v29
	s_and_saveexec_b32 s1, s0
	s_cbranch_execz .LBB73_250
; %bb.245:
	v_mov_b32_e32 v1, 0
	s_mov_b32 s4, exec_lo
	global_load_b64 v[8:9], v1, s[2:3] offset:24 scope:SCOPE_SYS
	s_wait_loadcnt 0x0
	global_inv scope:SCOPE_SYS
	s_clause 0x1
	global_load_b64 v[2:3], v1, s[2:3] offset:40
	global_load_b64 v[6:7], v1, s[2:3]
	s_wait_loadcnt 0x1
	v_and_b32_e32 v2, v2, v8
	v_and_b32_e32 v3, v3, v9
	s_delay_alu instid0(VALU_DEP_1) | instskip(SKIP_1) | instid1(VALU_DEP_1)
	v_mul_u64_e32 v[2:3], 24, v[2:3]
	s_wait_loadcnt 0x0
	v_add_nc_u64_e32 v[2:3], v[6:7], v[2:3]
	global_load_b64 v[6:7], v[2:3], off scope:SCOPE_SYS
	s_wait_xcnt 0x0
	s_wait_loadcnt 0x0
	global_atomic_cmpswap_b64 v[2:3], v1, v[6:9], s[2:3] offset:24 th:TH_ATOMIC_RETURN scope:SCOPE_SYS
	s_wait_loadcnt 0x0
	global_inv scope:SCOPE_SYS
	s_wait_xcnt 0x0
	v_cmpx_ne_u64_e64 v[2:3], v[8:9]
	s_cbranch_execz .LBB73_249
; %bb.246:
	s_mov_b32 s5, 0
.LBB73_247:                             ; =>This Inner Loop Header: Depth=1
	s_sleep 1
	s_clause 0x1
	global_load_b64 v[6:7], v1, s[2:3] offset:40
	global_load_b64 v[10:11], v1, s[2:3]
	v_mov_b64_e32 v[8:9], v[2:3]
	s_wait_loadcnt 0x1
	s_delay_alu instid0(VALU_DEP_1) | instskip(NEXT) | instid1(VALU_DEP_2)
	v_and_b32_e32 v2, v6, v8
	v_and_b32_e32 v6, v7, v9
	s_wait_loadcnt 0x0
	s_delay_alu instid0(VALU_DEP_2) | instskip(NEXT) | instid1(VALU_DEP_1)
	v_mad_nc_u64_u32 v[2:3], v2, 24, v[10:11]
	v_mad_u32 v3, v6, 24, v3
	global_load_b64 v[6:7], v[2:3], off scope:SCOPE_SYS
	s_wait_xcnt 0x0
	s_wait_loadcnt 0x0
	global_atomic_cmpswap_b64 v[2:3], v1, v[6:9], s[2:3] offset:24 th:TH_ATOMIC_RETURN scope:SCOPE_SYS
	s_wait_loadcnt 0x0
	global_inv scope:SCOPE_SYS
	v_cmp_eq_u64_e32 vcc_lo, v[2:3], v[8:9]
	s_or_b32 s5, vcc_lo, s5
	s_wait_xcnt 0x0
	s_and_not1_b32 exec_lo, exec_lo, s5
	s_cbranch_execnz .LBB73_247
; %bb.248:
	s_or_b32 exec_lo, exec_lo, s5
.LBB73_249:
	s_delay_alu instid0(SALU_CYCLE_1)
	s_or_b32 exec_lo, exec_lo, s4
.LBB73_250:
	s_delay_alu instid0(SALU_CYCLE_1)
	s_or_b32 exec_lo, exec_lo, s1
	v_readfirstlane_b32 s4, v2
	v_mov_b32_e32 v1, 0
	v_readfirstlane_b32 s5, v3
	s_mov_b32 s1, exec_lo
	s_clause 0x1
	global_load_b64 v[6:7], v1, s[2:3] offset:40
	global_load_b128 v[8:11], v1, s[2:3]
	s_wait_loadcnt 0x1
	v_and_b32_e32 v2, s4, v6
	v_and_b32_e32 v3, s5, v7
	s_delay_alu instid0(VALU_DEP_1) | instskip(SKIP_1) | instid1(VALU_DEP_1)
	v_mul_u64_e32 v[6:7], 24, v[2:3]
	s_wait_loadcnt 0x0
	v_add_nc_u64_e32 v[12:13], v[8:9], v[6:7]
	s_wait_xcnt 0x0
	s_and_saveexec_b32 s6, s0
	s_cbranch_execz .LBB73_252
; %bb.251:
	v_mov_b64_e32 v[16:17], 0x100000002
	v_dual_mov_b32 v14, s1 :: v_dual_mov_b32 v15, v1
	global_store_b128 v[12:13], v[14:17], off offset:8
.LBB73_252:
	s_wait_xcnt 0x0
	s_or_b32 exec_lo, exec_lo, s6
	v_lshlrev_b64_e32 v[2:3], 12, v[2:3]
	s_mov_b32 s12, 0
	v_and_or_b32 v4, 0xffffff1f, v4, 32
	s_mov_b32 s14, s12
	s_mov_b32 s15, s12
	;; [unrolled: 1-line block ×3, first 2 shown]
	v_mov_b64_e32 v[16:17], s[14:15]
	v_add_nc_u64_e32 v[10:11], v[10:11], v[2:3]
	v_mov_b64_e32 v[14:15], s[12:13]
	v_dual_mov_b32 v6, 0x347 :: v_dual_mov_b32 v7, v1
	s_delay_alu instid0(VALU_DEP_3) | instskip(NEXT) | instid1(VALU_DEP_4)
	v_readfirstlane_b32 s6, v10
	v_readfirstlane_b32 s7, v11
	s_clause 0x3
	global_store_b128 v0, v[4:7], s[6:7]
	global_store_b128 v0, v[14:17], s[6:7] offset:16
	global_store_b128 v0, v[14:17], s[6:7] offset:32
	;; [unrolled: 1-line block ×3, first 2 shown]
	s_wait_xcnt 0x0
	s_and_saveexec_b32 s1, s0
	s_cbranch_execz .LBB73_260
; %bb.253:
	v_dual_mov_b32 v14, 0 :: v_dual_mov_b32 v17, s5
	s_mov_b32 s6, exec_lo
	s_clause 0x1
	global_load_b64 v[18:19], v14, s[2:3] offset:32 scope:SCOPE_SYS
	global_load_b64 v[2:3], v14, s[2:3] offset:40
	s_wait_loadcnt 0x0
	v_dual_mov_b32 v16, s4 :: v_dual_bitop2_b32 v3, s5, v3 bitop3:0x40
	v_and_b32_e32 v2, s4, v2
	s_delay_alu instid0(VALU_DEP_1) | instskip(NEXT) | instid1(VALU_DEP_1)
	v_mul_u64_e32 v[2:3], 24, v[2:3]
	v_add_nc_u64_e32 v[6:7], v[8:9], v[2:3]
	global_store_b64 v[6:7], v[18:19], off
	global_wb scope:SCOPE_SYS
	s_wait_storecnt 0x0
	s_wait_xcnt 0x0
	global_atomic_cmpswap_b64 v[4:5], v14, v[16:19], s[2:3] offset:32 th:TH_ATOMIC_RETURN scope:SCOPE_SYS
	s_wait_loadcnt 0x0
	v_cmpx_ne_u64_e64 v[4:5], v[18:19]
	s_cbranch_execz .LBB73_256
; %bb.254:
	s_mov_b32 s7, 0
.LBB73_255:                             ; =>This Inner Loop Header: Depth=1
	v_dual_mov_b32 v2, s4 :: v_dual_mov_b32 v3, s5
	s_sleep 1
	global_store_b64 v[6:7], v[4:5], off
	global_wb scope:SCOPE_SYS
	s_wait_storecnt 0x0
	s_wait_xcnt 0x0
	global_atomic_cmpswap_b64 v[2:3], v14, v[2:5], s[2:3] offset:32 th:TH_ATOMIC_RETURN scope:SCOPE_SYS
	s_wait_loadcnt 0x0
	v_cmp_eq_u64_e32 vcc_lo, v[2:3], v[4:5]
	v_mov_b64_e32 v[4:5], v[2:3]
	s_or_b32 s7, vcc_lo, s7
	s_delay_alu instid0(SALU_CYCLE_1)
	s_and_not1_b32 exec_lo, exec_lo, s7
	s_cbranch_execnz .LBB73_255
.LBB73_256:
	s_or_b32 exec_lo, exec_lo, s6
	v_mov_b32_e32 v5, 0
	s_mov_b32 s7, exec_lo
	s_mov_b32 s6, exec_lo
	v_mbcnt_lo_u32_b32 v4, s7, 0
	global_load_b64 v[2:3], v5, s[2:3] offset:16
	s_wait_xcnt 0x0
	v_cmpx_eq_u32_e32 0, v4
	s_cbranch_execz .LBB73_258
; %bb.257:
	s_bcnt1_i32_b32 s7, s7
	s_delay_alu instid0(SALU_CYCLE_1)
	v_mov_b32_e32 v4, s7
	global_wb scope:SCOPE_SYS
	s_wait_loadcnt 0x0
	s_wait_storecnt 0x0
	global_atomic_add_u64 v[2:3], v[4:5], off offset:8 scope:SCOPE_SYS
.LBB73_258:
	s_wait_xcnt 0x0
	s_or_b32 exec_lo, exec_lo, s6
	s_wait_loadcnt 0x0
	global_load_b64 v[4:5], v[2:3], off offset:16
	s_wait_loadcnt 0x0
	v_cmp_eq_u64_e32 vcc_lo, 0, v[4:5]
	s_cbranch_vccnz .LBB73_260
; %bb.259:
	global_load_b32 v2, v[2:3], off offset:24
	s_wait_xcnt 0x0
	v_mov_b32_e32 v3, 0
	s_wait_loadcnt 0x0
	v_readfirstlane_b32 s6, v2
	global_wb scope:SCOPE_SYS
	s_wait_storecnt 0x0
	global_store_b64 v[4:5], v[2:3], off scope:SCOPE_SYS
	s_and_b32 m0, s6, 0xffffff
	s_sendmsg sendmsg(MSG_INTERRUPT)
.LBB73_260:
	s_wait_xcnt 0x0
	s_or_b32 exec_lo, exec_lo, s1
	v_add_nc_u64_e32 v[0:1], v[10:11], v[0:1]
	s_branch .LBB73_264
.LBB73_261:                             ;   in Loop: Header=BB73_264 Depth=1
	s_wait_xcnt 0x0
	s_or_b32 exec_lo, exec_lo, s1
	s_delay_alu instid0(VALU_DEP_1)
	v_readfirstlane_b32 s1, v2
	s_cmp_eq_u32 s1, 0
	s_cbranch_scc1 .LBB73_263
; %bb.262:                              ;   in Loop: Header=BB73_264 Depth=1
	s_sleep 1
	s_cbranch_execnz .LBB73_264
	s_branch .LBB73_266
.LBB73_263:
	s_branch .LBB73_266
.LBB73_264:                             ; =>This Inner Loop Header: Depth=1
	v_mov_b32_e32 v2, 1
	s_and_saveexec_b32 s1, s0
	s_cbranch_execz .LBB73_261
; %bb.265:                              ;   in Loop: Header=BB73_264 Depth=1
	global_load_b32 v2, v[12:13], off offset:20 scope:SCOPE_SYS
	s_wait_loadcnt 0x0
	global_inv scope:SCOPE_SYS
	v_and_b32_e32 v2, 1, v2
	s_branch .LBB73_261
.LBB73_266:
	global_load_b64 v[0:1], v[0:1], off
	s_wait_xcnt 0x0
	s_and_saveexec_b32 s6, s0
	s_cbranch_execz .LBB73_270
; %bb.267:
	v_mov_b32_e32 v8, 0
	s_clause 0x2
	global_load_b64 v[2:3], v8, s[2:3] offset:40
	global_load_b64 v[12:13], v8, s[2:3] offset:24 scope:SCOPE_SYS
	global_load_b64 v[4:5], v8, s[2:3]
	s_wait_loadcnt 0x2
	v_readfirstlane_b32 s10, v2
	v_readfirstlane_b32 s11, v3
	s_add_nc_u64 s[0:1], s[10:11], 1
	s_delay_alu instid0(SALU_CYCLE_1) | instskip(NEXT) | instid1(SALU_CYCLE_1)
	s_add_nc_u64 s[4:5], s[0:1], s[4:5]
	s_cmp_eq_u64 s[4:5], 0
	s_cselect_b32 s1, s1, s5
	s_cselect_b32 s0, s0, s4
	v_mov_b32_e32 v11, s1
	s_and_b64 s[4:5], s[0:1], s[10:11]
	v_mov_b32_e32 v10, s0
	s_mul_u64 s[4:5], s[4:5], 24
	s_wait_loadcnt 0x0
	v_add_nc_u64_e32 v[6:7], s[4:5], v[4:5]
	global_store_b64 v[6:7], v[12:13], off
	global_wb scope:SCOPE_SYS
	s_wait_storecnt 0x0
	s_wait_xcnt 0x0
	global_atomic_cmpswap_b64 v[4:5], v8, v[10:13], s[2:3] offset:24 th:TH_ATOMIC_RETURN scope:SCOPE_SYS
	s_wait_loadcnt 0x0
	v_cmp_ne_u64_e32 vcc_lo, v[4:5], v[12:13]
	s_and_b32 exec_lo, exec_lo, vcc_lo
	s_cbranch_execz .LBB73_270
; %bb.268:
	s_mov_b32 s4, 0
.LBB73_269:                             ; =>This Inner Loop Header: Depth=1
	v_dual_mov_b32 v2, s0 :: v_dual_mov_b32 v3, s1
	s_sleep 1
	global_store_b64 v[6:7], v[4:5], off
	global_wb scope:SCOPE_SYS
	s_wait_storecnt 0x0
	s_wait_xcnt 0x0
	global_atomic_cmpswap_b64 v[2:3], v8, v[2:5], s[2:3] offset:24 th:TH_ATOMIC_RETURN scope:SCOPE_SYS
	s_wait_loadcnt 0x0
	v_cmp_eq_u64_e32 vcc_lo, v[2:3], v[4:5]
	v_mov_b64_e32 v[4:5], v[2:3]
	s_or_b32 s4, vcc_lo, s4
	s_delay_alu instid0(SALU_CYCLE_1)
	s_and_not1_b32 exec_lo, exec_lo, s4
	s_cbranch_execnz .LBB73_269
.LBB73_270:
	s_or_b32 exec_lo, exec_lo, s6
	s_get_pc_i64 s[0:1]
	s_add_nc_u64 s[0:1], s[0:1], __FUNCTION__._ZL15flash_attn_tileILi72ELi72ELi8ELi8ELb1EEvPKcS1_S1_S1_S1_PKiPfP15HIP_vector_typeIfLj2EEffffjfiS5_IjLj3EEiiiiiiiiiiiliiliiiiil@rel64+4
	s_get_pc_i64 s[2:3]
	s_add_nc_u64 s[2:3], s[2:3], __ockl_printf_append_string_n@rel64+4
	s_cmp_lg_u64 s[0:1], 0
	v_dual_mov_b32 v2, s0 :: v_dual_mov_b32 v3, s1
	s_cselect_b32 s4, 16, 0
	s_delay_alu instid0(SALU_CYCLE_1)
	v_dual_mov_b32 v5, 0 :: v_dual_mov_b32 v4, s4
	s_mov_b64 s[14:15], s[8:9]
	s_swap_pc_i64 s[30:31], s[2:3]
	v_dual_mov_b32 v2, 0x514 :: v_dual_mov_b32 v3, 0
	v_mov_b32_e32 v4, 1
	s_get_pc_i64 s[0:1]
	s_add_nc_u64 s[0:1], s[0:1], __ockl_printf_append_args@rel64+4
	s_mov_b64 s[8:9], s[14:15]
	s_swap_pc_i64 s[30:31], s[0:1]
	s_trap 2
.Lfunc_end73:
	.size	_ZL14no_device_codePKciS0_iS0_, .Lfunc_end73-_ZL14no_device_codePKciS0_iS0_
                                        ; -- End function
	.set .L_ZL14no_device_codePKciS0_iS0_.num_vgpr, max(41, .L__ockl_printf_append_string_n.num_vgpr, .L__ockl_printf_append_args.num_vgpr)
	.set .L_ZL14no_device_codePKciS0_iS0_.num_agpr, max(0, .L__ockl_printf_append_string_n.num_agpr, .L__ockl_printf_append_args.num_agpr)
	.set .L_ZL14no_device_codePKciS0_iS0_.numbered_sgpr, max(34, .L__ockl_printf_append_string_n.numbered_sgpr, .L__ockl_printf_append_args.numbered_sgpr)
	.set .L_ZL14no_device_codePKciS0_iS0_.num_named_barrier, max(0, .L__ockl_printf_append_string_n.num_named_barrier, .L__ockl_printf_append_args.num_named_barrier)
	.set .L_ZL14no_device_codePKciS0_iS0_.private_seg_size, 16+max(.L__ockl_printf_append_string_n.private_seg_size, .L__ockl_printf_append_args.private_seg_size)
	.set .L_ZL14no_device_codePKciS0_iS0_.uses_vcc, or(1, .L__ockl_printf_append_string_n.uses_vcc, .L__ockl_printf_append_args.uses_vcc)
	.set .L_ZL14no_device_codePKciS0_iS0_.uses_flat_scratch, or(0, .L__ockl_printf_append_string_n.uses_flat_scratch, .L__ockl_printf_append_args.uses_flat_scratch)
	.set .L_ZL14no_device_codePKciS0_iS0_.has_dyn_sized_stack, or(0, .L__ockl_printf_append_string_n.has_dyn_sized_stack, .L__ockl_printf_append_args.has_dyn_sized_stack)
	.set .L_ZL14no_device_codePKciS0_iS0_.has_recursion, or(0, .L__ockl_printf_append_string_n.has_recursion, .L__ockl_printf_append_args.has_recursion)
	.set .L_ZL14no_device_codePKciS0_iS0_.has_indirect_call, or(0, .L__ockl_printf_append_string_n.has_indirect_call, .L__ockl_printf_append_args.has_indirect_call)
	.section	.AMDGPU.csdata,"",@progbits
; Function info:
; codeLenInByte = 11008
; TotalNumSgprs: 36
; NumVgprs: 50
; ScratchSize: 16
; MemoryBound: 0
	.section	.text._ZL15flash_attn_tileILi72ELi72ELi8ELi8ELb1EEvPKcS1_S1_S1_S1_PKiPfP15HIP_vector_typeIfLj2EEffffjfiS5_IjLj3EEiiiiiiiiiiiliiliiiiil,"axG",@progbits,_ZL15flash_attn_tileILi72ELi72ELi8ELi8ELb1EEvPKcS1_S1_S1_S1_PKiPfP15HIP_vector_typeIfLj2EEffffjfiS5_IjLj3EEiiiiiiiiiiiliiliiiiil,comdat
	.globl	_ZL15flash_attn_tileILi72ELi72ELi8ELi8ELb1EEvPKcS1_S1_S1_S1_PKiPfP15HIP_vector_typeIfLj2EEffffjfiS5_IjLj3EEiiiiiiiiiiiliiliiiiil ; -- Begin function _ZL15flash_attn_tileILi72ELi72ELi8ELi8ELb1EEvPKcS1_S1_S1_S1_PKiPfP15HIP_vector_typeIfLj2EEffffjfiS5_IjLj3EEiiiiiiiiiiiliiliiiiil
	.p2align	8
	.type	_ZL15flash_attn_tileILi72ELi72ELi8ELi8ELb1EEvPKcS1_S1_S1_S1_PKiPfP15HIP_vector_typeIfLj2EEffffjfiS5_IjLj3EEiiiiiiiiiiiliiliiiiil,@function
_ZL15flash_attn_tileILi72ELi72ELi8ELi8ELb1EEvPKcS1_S1_S1_S1_PKiPfP15HIP_vector_typeIfLj2EEffffjfiS5_IjLj3EEiiiiiiiiiiiliiliiiiil: ; @_ZL15flash_attn_tileILi72ELi72ELi8ELi8ELb1EEvPKcS1_S1_S1_S1_PKiPfP15HIP_vector_typeIfLj2EEffffjfiS5_IjLj3EEiiiiiiiiiiiliiliiiiil
; %bb.0:
	s_get_pc_i64 s[2:3]
	s_add_nc_u64 s[2:3], s[2:3], _ZL14no_device_codePKciS0_iS0_@rel64+4
	s_add_nc_u64 s[8:9], s[0:1], 0xd0
	s_mov_b32 s32, 0
	s_swap_pc_i64 s[30:31], s[2:3]
	.section	.rodata,"a",@progbits
	.p2align	6, 0x0
	.amdhsa_kernel _ZL15flash_attn_tileILi72ELi72ELi8ELi8ELb1EEvPKcS1_S1_S1_S1_PKiPfP15HIP_vector_typeIfLj2EEffffjfiS5_IjLj3EEiiiiiiiiiiiliiliiiiil
		.amdhsa_group_segment_fixed_size 0
		.amdhsa_private_segment_fixed_size 16
		.amdhsa_kernarg_size 464
		.amdhsa_user_sgpr_count 2
		.amdhsa_user_sgpr_dispatch_ptr 0
		.amdhsa_user_sgpr_queue_ptr 0
		.amdhsa_user_sgpr_kernarg_segment_ptr 1
		.amdhsa_user_sgpr_dispatch_id 0
		.amdhsa_user_sgpr_kernarg_preload_length 0
		.amdhsa_user_sgpr_kernarg_preload_offset 0
		.amdhsa_user_sgpr_private_segment_size 0
		.amdhsa_wavefront_size32 1
		.amdhsa_uses_dynamic_stack 0
		.amdhsa_enable_private_segment 1
		.amdhsa_system_sgpr_workgroup_id_x 1
		.amdhsa_system_sgpr_workgroup_id_y 0
		.amdhsa_system_sgpr_workgroup_id_z 0
		.amdhsa_system_sgpr_workgroup_info 0
		.amdhsa_system_vgpr_workitem_id 0
		.amdhsa_next_free_vgpr 50
		.amdhsa_next_free_sgpr 34
		.amdhsa_named_barrier_count 0
		.amdhsa_reserve_vcc 1
		.amdhsa_float_round_mode_32 0
		.amdhsa_float_round_mode_16_64 0
		.amdhsa_float_denorm_mode_32 3
		.amdhsa_float_denorm_mode_16_64 3
		.amdhsa_fp16_overflow 0
		.amdhsa_memory_ordered 1
		.amdhsa_forward_progress 1
		.amdhsa_inst_pref_size 1
		.amdhsa_round_robin_scheduling 0
		.amdhsa_exception_fp_ieee_invalid_op 0
		.amdhsa_exception_fp_denorm_src 0
		.amdhsa_exception_fp_ieee_div_zero 0
		.amdhsa_exception_fp_ieee_overflow 0
		.amdhsa_exception_fp_ieee_underflow 0
		.amdhsa_exception_fp_ieee_inexact 0
		.amdhsa_exception_int_div_zero 0
	.end_amdhsa_kernel
	.section	.text._ZL15flash_attn_tileILi72ELi72ELi8ELi8ELb1EEvPKcS1_S1_S1_S1_PKiPfP15HIP_vector_typeIfLj2EEffffjfiS5_IjLj3EEiiiiiiiiiiiliiliiiiil,"axG",@progbits,_ZL15flash_attn_tileILi72ELi72ELi8ELi8ELb1EEvPKcS1_S1_S1_S1_PKiPfP15HIP_vector_typeIfLj2EEffffjfiS5_IjLj3EEiiiiiiiiiiiliiliiiiil,comdat
.Lfunc_end74:
	.size	_ZL15flash_attn_tileILi72ELi72ELi8ELi8ELb1EEvPKcS1_S1_S1_S1_PKiPfP15HIP_vector_typeIfLj2EEffffjfiS5_IjLj3EEiiiiiiiiiiiliiliiiiil, .Lfunc_end74-_ZL15flash_attn_tileILi72ELi72ELi8ELi8ELb1EEvPKcS1_S1_S1_S1_PKiPfP15HIP_vector_typeIfLj2EEffffjfiS5_IjLj3EEiiiiiiiiiiiliiliiiiil
                                        ; -- End function
	.set _ZL15flash_attn_tileILi72ELi72ELi8ELi8ELb1EEvPKcS1_S1_S1_S1_PKiPfP15HIP_vector_typeIfLj2EEffffjfiS5_IjLj3EEiiiiiiiiiiiliiliiiiil.num_vgpr, max(0, .L_ZL14no_device_codePKciS0_iS0_.num_vgpr)
	.set _ZL15flash_attn_tileILi72ELi72ELi8ELi8ELb1EEvPKcS1_S1_S1_S1_PKiPfP15HIP_vector_typeIfLj2EEffffjfiS5_IjLj3EEiiiiiiiiiiiliiliiiiil.num_agpr, max(0, .L_ZL14no_device_codePKciS0_iS0_.num_agpr)
	.set _ZL15flash_attn_tileILi72ELi72ELi8ELi8ELb1EEvPKcS1_S1_S1_S1_PKiPfP15HIP_vector_typeIfLj2EEffffjfiS5_IjLj3EEiiiiiiiiiiiliiliiiiil.numbered_sgpr, max(33, .L_ZL14no_device_codePKciS0_iS0_.numbered_sgpr)
	.set _ZL15flash_attn_tileILi72ELi72ELi8ELi8ELb1EEvPKcS1_S1_S1_S1_PKiPfP15HIP_vector_typeIfLj2EEffffjfiS5_IjLj3EEiiiiiiiiiiiliiliiiiil.num_named_barrier, max(0, .L_ZL14no_device_codePKciS0_iS0_.num_named_barrier)
	.set _ZL15flash_attn_tileILi72ELi72ELi8ELi8ELb1EEvPKcS1_S1_S1_S1_PKiPfP15HIP_vector_typeIfLj2EEffffjfiS5_IjLj3EEiiiiiiiiiiiliiliiiiil.private_seg_size, 0+max(.L_ZL14no_device_codePKciS0_iS0_.private_seg_size)
	.set _ZL15flash_attn_tileILi72ELi72ELi8ELi8ELb1EEvPKcS1_S1_S1_S1_PKiPfP15HIP_vector_typeIfLj2EEffffjfiS5_IjLj3EEiiiiiiiiiiiliiliiiiil.uses_vcc, or(1, .L_ZL14no_device_codePKciS0_iS0_.uses_vcc)
	.set _ZL15flash_attn_tileILi72ELi72ELi8ELi8ELb1EEvPKcS1_S1_S1_S1_PKiPfP15HIP_vector_typeIfLj2EEffffjfiS5_IjLj3EEiiiiiiiiiiiliiliiiiil.uses_flat_scratch, or(0, .L_ZL14no_device_codePKciS0_iS0_.uses_flat_scratch)
	.set _ZL15flash_attn_tileILi72ELi72ELi8ELi8ELb1EEvPKcS1_S1_S1_S1_PKiPfP15HIP_vector_typeIfLj2EEffffjfiS5_IjLj3EEiiiiiiiiiiiliiliiiiil.has_dyn_sized_stack, or(0, .L_ZL14no_device_codePKciS0_iS0_.has_dyn_sized_stack)
	.set _ZL15flash_attn_tileILi72ELi72ELi8ELi8ELb1EEvPKcS1_S1_S1_S1_PKiPfP15HIP_vector_typeIfLj2EEffffjfiS5_IjLj3EEiiiiiiiiiiiliiliiiiil.has_recursion, or(0, .L_ZL14no_device_codePKciS0_iS0_.has_recursion)
	.set _ZL15flash_attn_tileILi72ELi72ELi8ELi8ELb1EEvPKcS1_S1_S1_S1_PKiPfP15HIP_vector_typeIfLj2EEffffjfiS5_IjLj3EEiiiiiiiiiiiliiliiiiil.has_indirect_call, or(0, .L_ZL14no_device_codePKciS0_iS0_.has_indirect_call)
	.section	.AMDGPU.csdata,"",@progbits
; Kernel info:
; codeLenInByte = 32
; TotalNumSgprs: 36
; NumVgprs: 50
; ScratchSize: 16
; MemoryBound: 0
; FloatMode: 240
; IeeeMode: 1
; LDSByteSize: 0 bytes/workgroup (compile time only)
; SGPRBlocks: 0
; VGPRBlocks: 3
; NumSGPRsForWavesPerEU: 36
; NumVGPRsForWavesPerEU: 50
; NamedBarCnt: 0
; Occupancy: 16
; WaveLimiterHint : 1
; COMPUTE_PGM_RSRC2:SCRATCH_EN: 1
; COMPUTE_PGM_RSRC2:USER_SGPR: 2
; COMPUTE_PGM_RSRC2:TRAP_HANDLER: 0
; COMPUTE_PGM_RSRC2:TGID_X_EN: 1
; COMPUTE_PGM_RSRC2:TGID_Y_EN: 0
; COMPUTE_PGM_RSRC2:TGID_Z_EN: 0
; COMPUTE_PGM_RSRC2:TIDIG_COMP_CNT: 0
	.section	.text._ZL15flash_attn_tileILi72ELi72ELi4ELi8ELb1EEvPKcS1_S1_S1_S1_PKiPfP15HIP_vector_typeIfLj2EEffffjfiS5_IjLj3EEiiiiiiiiiiiliiliiiiil,"axG",@progbits,_ZL15flash_attn_tileILi72ELi72ELi4ELi8ELb1EEvPKcS1_S1_S1_S1_PKiPfP15HIP_vector_typeIfLj2EEffffjfiS5_IjLj3EEiiiiiiiiiiiliiliiiiil,comdat
	.globl	_ZL15flash_attn_tileILi72ELi72ELi4ELi8ELb1EEvPKcS1_S1_S1_S1_PKiPfP15HIP_vector_typeIfLj2EEffffjfiS5_IjLj3EEiiiiiiiiiiiliiliiiiil ; -- Begin function _ZL15flash_attn_tileILi72ELi72ELi4ELi8ELb1EEvPKcS1_S1_S1_S1_PKiPfP15HIP_vector_typeIfLj2EEffffjfiS5_IjLj3EEiiiiiiiiiiiliiliiiiil
	.p2align	8
	.type	_ZL15flash_attn_tileILi72ELi72ELi4ELi8ELb1EEvPKcS1_S1_S1_S1_PKiPfP15HIP_vector_typeIfLj2EEffffjfiS5_IjLj3EEiiiiiiiiiiiliiliiiiil,@function
_ZL15flash_attn_tileILi72ELi72ELi4ELi8ELb1EEvPKcS1_S1_S1_S1_PKiPfP15HIP_vector_typeIfLj2EEffffjfiS5_IjLj3EEiiiiiiiiiiiliiliiiiil: ; @_ZL15flash_attn_tileILi72ELi72ELi4ELi8ELb1EEvPKcS1_S1_S1_S1_PKiPfP15HIP_vector_typeIfLj2EEffffjfiS5_IjLj3EEiiiiiiiiiiiliiliiiiil
; %bb.0:
	s_get_pc_i64 s[2:3]
	s_add_nc_u64 s[2:3], s[2:3], _ZL14no_device_codePKciS0_iS0_@rel64+4
	s_add_nc_u64 s[8:9], s[0:1], 0xd0
	s_mov_b32 s32, 0
	s_swap_pc_i64 s[30:31], s[2:3]
	.section	.rodata,"a",@progbits
	.p2align	6, 0x0
	.amdhsa_kernel _ZL15flash_attn_tileILi72ELi72ELi4ELi8ELb1EEvPKcS1_S1_S1_S1_PKiPfP15HIP_vector_typeIfLj2EEffffjfiS5_IjLj3EEiiiiiiiiiiiliiliiiiil
		.amdhsa_group_segment_fixed_size 0
		.amdhsa_private_segment_fixed_size 16
		.amdhsa_kernarg_size 464
		.amdhsa_user_sgpr_count 2
		.amdhsa_user_sgpr_dispatch_ptr 0
		.amdhsa_user_sgpr_queue_ptr 0
		.amdhsa_user_sgpr_kernarg_segment_ptr 1
		.amdhsa_user_sgpr_dispatch_id 0
		.amdhsa_user_sgpr_kernarg_preload_length 0
		.amdhsa_user_sgpr_kernarg_preload_offset 0
		.amdhsa_user_sgpr_private_segment_size 0
		.amdhsa_wavefront_size32 1
		.amdhsa_uses_dynamic_stack 0
		.amdhsa_enable_private_segment 1
		.amdhsa_system_sgpr_workgroup_id_x 1
		.amdhsa_system_sgpr_workgroup_id_y 0
		.amdhsa_system_sgpr_workgroup_id_z 0
		.amdhsa_system_sgpr_workgroup_info 0
		.amdhsa_system_vgpr_workitem_id 0
		.amdhsa_next_free_vgpr 50
		.amdhsa_next_free_sgpr 34
		.amdhsa_named_barrier_count 0
		.amdhsa_reserve_vcc 1
		.amdhsa_float_round_mode_32 0
		.amdhsa_float_round_mode_16_64 0
		.amdhsa_float_denorm_mode_32 3
		.amdhsa_float_denorm_mode_16_64 3
		.amdhsa_fp16_overflow 0
		.amdhsa_memory_ordered 1
		.amdhsa_forward_progress 1
		.amdhsa_inst_pref_size 1
		.amdhsa_round_robin_scheduling 0
		.amdhsa_exception_fp_ieee_invalid_op 0
		.amdhsa_exception_fp_denorm_src 0
		.amdhsa_exception_fp_ieee_div_zero 0
		.amdhsa_exception_fp_ieee_overflow 0
		.amdhsa_exception_fp_ieee_underflow 0
		.amdhsa_exception_fp_ieee_inexact 0
		.amdhsa_exception_int_div_zero 0
	.end_amdhsa_kernel
	.section	.text._ZL15flash_attn_tileILi72ELi72ELi4ELi8ELb1EEvPKcS1_S1_S1_S1_PKiPfP15HIP_vector_typeIfLj2EEffffjfiS5_IjLj3EEiiiiiiiiiiiliiliiiiil,"axG",@progbits,_ZL15flash_attn_tileILi72ELi72ELi4ELi8ELb1EEvPKcS1_S1_S1_S1_PKiPfP15HIP_vector_typeIfLj2EEffffjfiS5_IjLj3EEiiiiiiiiiiiliiliiiiil,comdat
.Lfunc_end75:
	.size	_ZL15flash_attn_tileILi72ELi72ELi4ELi8ELb1EEvPKcS1_S1_S1_S1_PKiPfP15HIP_vector_typeIfLj2EEffffjfiS5_IjLj3EEiiiiiiiiiiiliiliiiiil, .Lfunc_end75-_ZL15flash_attn_tileILi72ELi72ELi4ELi8ELb1EEvPKcS1_S1_S1_S1_PKiPfP15HIP_vector_typeIfLj2EEffffjfiS5_IjLj3EEiiiiiiiiiiiliiliiiiil
                                        ; -- End function
	.set _ZL15flash_attn_tileILi72ELi72ELi4ELi8ELb1EEvPKcS1_S1_S1_S1_PKiPfP15HIP_vector_typeIfLj2EEffffjfiS5_IjLj3EEiiiiiiiiiiiliiliiiiil.num_vgpr, max(0, .L_ZL14no_device_codePKciS0_iS0_.num_vgpr)
	.set _ZL15flash_attn_tileILi72ELi72ELi4ELi8ELb1EEvPKcS1_S1_S1_S1_PKiPfP15HIP_vector_typeIfLj2EEffffjfiS5_IjLj3EEiiiiiiiiiiiliiliiiiil.num_agpr, max(0, .L_ZL14no_device_codePKciS0_iS0_.num_agpr)
	.set _ZL15flash_attn_tileILi72ELi72ELi4ELi8ELb1EEvPKcS1_S1_S1_S1_PKiPfP15HIP_vector_typeIfLj2EEffffjfiS5_IjLj3EEiiiiiiiiiiiliiliiiiil.numbered_sgpr, max(33, .L_ZL14no_device_codePKciS0_iS0_.numbered_sgpr)
	.set _ZL15flash_attn_tileILi72ELi72ELi4ELi8ELb1EEvPKcS1_S1_S1_S1_PKiPfP15HIP_vector_typeIfLj2EEffffjfiS5_IjLj3EEiiiiiiiiiiiliiliiiiil.num_named_barrier, max(0, .L_ZL14no_device_codePKciS0_iS0_.num_named_barrier)
	.set _ZL15flash_attn_tileILi72ELi72ELi4ELi8ELb1EEvPKcS1_S1_S1_S1_PKiPfP15HIP_vector_typeIfLj2EEffffjfiS5_IjLj3EEiiiiiiiiiiiliiliiiiil.private_seg_size, 0+max(.L_ZL14no_device_codePKciS0_iS0_.private_seg_size)
	.set _ZL15flash_attn_tileILi72ELi72ELi4ELi8ELb1EEvPKcS1_S1_S1_S1_PKiPfP15HIP_vector_typeIfLj2EEffffjfiS5_IjLj3EEiiiiiiiiiiiliiliiiiil.uses_vcc, or(1, .L_ZL14no_device_codePKciS0_iS0_.uses_vcc)
	.set _ZL15flash_attn_tileILi72ELi72ELi4ELi8ELb1EEvPKcS1_S1_S1_S1_PKiPfP15HIP_vector_typeIfLj2EEffffjfiS5_IjLj3EEiiiiiiiiiiiliiliiiiil.uses_flat_scratch, or(0, .L_ZL14no_device_codePKciS0_iS0_.uses_flat_scratch)
	.set _ZL15flash_attn_tileILi72ELi72ELi4ELi8ELb1EEvPKcS1_S1_S1_S1_PKiPfP15HIP_vector_typeIfLj2EEffffjfiS5_IjLj3EEiiiiiiiiiiiliiliiiiil.has_dyn_sized_stack, or(0, .L_ZL14no_device_codePKciS0_iS0_.has_dyn_sized_stack)
	.set _ZL15flash_attn_tileILi72ELi72ELi4ELi8ELb1EEvPKcS1_S1_S1_S1_PKiPfP15HIP_vector_typeIfLj2EEffffjfiS5_IjLj3EEiiiiiiiiiiiliiliiiiil.has_recursion, or(0, .L_ZL14no_device_codePKciS0_iS0_.has_recursion)
	.set _ZL15flash_attn_tileILi72ELi72ELi4ELi8ELb1EEvPKcS1_S1_S1_S1_PKiPfP15HIP_vector_typeIfLj2EEffffjfiS5_IjLj3EEiiiiiiiiiiiliiliiiiil.has_indirect_call, or(0, .L_ZL14no_device_codePKciS0_iS0_.has_indirect_call)
	.section	.AMDGPU.csdata,"",@progbits
; Kernel info:
; codeLenInByte = 32
; TotalNumSgprs: 36
; NumVgprs: 50
; ScratchSize: 16
; MemoryBound: 0
; FloatMode: 240
; IeeeMode: 1
; LDSByteSize: 0 bytes/workgroup (compile time only)
; SGPRBlocks: 0
; VGPRBlocks: 3
; NumSGPRsForWavesPerEU: 36
; NumVGPRsForWavesPerEU: 50
; NamedBarCnt: 0
; Occupancy: 16
; WaveLimiterHint : 1
; COMPUTE_PGM_RSRC2:SCRATCH_EN: 1
; COMPUTE_PGM_RSRC2:USER_SGPR: 2
; COMPUTE_PGM_RSRC2:TRAP_HANDLER: 0
; COMPUTE_PGM_RSRC2:TGID_X_EN: 1
; COMPUTE_PGM_RSRC2:TGID_Y_EN: 0
; COMPUTE_PGM_RSRC2:TGID_Z_EN: 0
; COMPUTE_PGM_RSRC2:TIDIG_COMP_CNT: 0
	.section	.text._ZL15flash_attn_tileILi72ELi72ELi2ELi8ELb1EEvPKcS1_S1_S1_S1_PKiPfP15HIP_vector_typeIfLj2EEffffjfiS5_IjLj3EEiiiiiiiiiiiliiliiiiil,"axG",@progbits,_ZL15flash_attn_tileILi72ELi72ELi2ELi8ELb1EEvPKcS1_S1_S1_S1_PKiPfP15HIP_vector_typeIfLj2EEffffjfiS5_IjLj3EEiiiiiiiiiiiliiliiiiil,comdat
	.globl	_ZL15flash_attn_tileILi72ELi72ELi2ELi8ELb1EEvPKcS1_S1_S1_S1_PKiPfP15HIP_vector_typeIfLj2EEffffjfiS5_IjLj3EEiiiiiiiiiiiliiliiiiil ; -- Begin function _ZL15flash_attn_tileILi72ELi72ELi2ELi8ELb1EEvPKcS1_S1_S1_S1_PKiPfP15HIP_vector_typeIfLj2EEffffjfiS5_IjLj3EEiiiiiiiiiiiliiliiiiil
	.p2align	8
	.type	_ZL15flash_attn_tileILi72ELi72ELi2ELi8ELb1EEvPKcS1_S1_S1_S1_PKiPfP15HIP_vector_typeIfLj2EEffffjfiS5_IjLj3EEiiiiiiiiiiiliiliiiiil,@function
_ZL15flash_attn_tileILi72ELi72ELi2ELi8ELb1EEvPKcS1_S1_S1_S1_PKiPfP15HIP_vector_typeIfLj2EEffffjfiS5_IjLj3EEiiiiiiiiiiiliiliiiiil: ; @_ZL15flash_attn_tileILi72ELi72ELi2ELi8ELb1EEvPKcS1_S1_S1_S1_PKiPfP15HIP_vector_typeIfLj2EEffffjfiS5_IjLj3EEiiiiiiiiiiiliiliiiiil
; %bb.0:
	s_get_pc_i64 s[2:3]
	s_add_nc_u64 s[2:3], s[2:3], _ZL14no_device_codePKciS0_iS0_@rel64+4
	s_add_nc_u64 s[8:9], s[0:1], 0xd0
	s_mov_b32 s32, 0
	s_swap_pc_i64 s[30:31], s[2:3]
	.section	.rodata,"a",@progbits
	.p2align	6, 0x0
	.amdhsa_kernel _ZL15flash_attn_tileILi72ELi72ELi2ELi8ELb1EEvPKcS1_S1_S1_S1_PKiPfP15HIP_vector_typeIfLj2EEffffjfiS5_IjLj3EEiiiiiiiiiiiliiliiiiil
		.amdhsa_group_segment_fixed_size 0
		.amdhsa_private_segment_fixed_size 16
		.amdhsa_kernarg_size 464
		.amdhsa_user_sgpr_count 2
		.amdhsa_user_sgpr_dispatch_ptr 0
		.amdhsa_user_sgpr_queue_ptr 0
		.amdhsa_user_sgpr_kernarg_segment_ptr 1
		.amdhsa_user_sgpr_dispatch_id 0
		.amdhsa_user_sgpr_kernarg_preload_length 0
		.amdhsa_user_sgpr_kernarg_preload_offset 0
		.amdhsa_user_sgpr_private_segment_size 0
		.amdhsa_wavefront_size32 1
		.amdhsa_uses_dynamic_stack 0
		.amdhsa_enable_private_segment 1
		.amdhsa_system_sgpr_workgroup_id_x 1
		.amdhsa_system_sgpr_workgroup_id_y 0
		.amdhsa_system_sgpr_workgroup_id_z 0
		.amdhsa_system_sgpr_workgroup_info 0
		.amdhsa_system_vgpr_workitem_id 0
		.amdhsa_next_free_vgpr 50
		.amdhsa_next_free_sgpr 34
		.amdhsa_named_barrier_count 0
		.amdhsa_reserve_vcc 1
		.amdhsa_float_round_mode_32 0
		.amdhsa_float_round_mode_16_64 0
		.amdhsa_float_denorm_mode_32 3
		.amdhsa_float_denorm_mode_16_64 3
		.amdhsa_fp16_overflow 0
		.amdhsa_memory_ordered 1
		.amdhsa_forward_progress 1
		.amdhsa_inst_pref_size 1
		.amdhsa_round_robin_scheduling 0
		.amdhsa_exception_fp_ieee_invalid_op 0
		.amdhsa_exception_fp_denorm_src 0
		.amdhsa_exception_fp_ieee_div_zero 0
		.amdhsa_exception_fp_ieee_overflow 0
		.amdhsa_exception_fp_ieee_underflow 0
		.amdhsa_exception_fp_ieee_inexact 0
		.amdhsa_exception_int_div_zero 0
	.end_amdhsa_kernel
	.section	.text._ZL15flash_attn_tileILi72ELi72ELi2ELi8ELb1EEvPKcS1_S1_S1_S1_PKiPfP15HIP_vector_typeIfLj2EEffffjfiS5_IjLj3EEiiiiiiiiiiiliiliiiiil,"axG",@progbits,_ZL15flash_attn_tileILi72ELi72ELi2ELi8ELb1EEvPKcS1_S1_S1_S1_PKiPfP15HIP_vector_typeIfLj2EEffffjfiS5_IjLj3EEiiiiiiiiiiiliiliiiiil,comdat
.Lfunc_end76:
	.size	_ZL15flash_attn_tileILi72ELi72ELi2ELi8ELb1EEvPKcS1_S1_S1_S1_PKiPfP15HIP_vector_typeIfLj2EEffffjfiS5_IjLj3EEiiiiiiiiiiiliiliiiiil, .Lfunc_end76-_ZL15flash_attn_tileILi72ELi72ELi2ELi8ELb1EEvPKcS1_S1_S1_S1_PKiPfP15HIP_vector_typeIfLj2EEffffjfiS5_IjLj3EEiiiiiiiiiiiliiliiiiil
                                        ; -- End function
	.set _ZL15flash_attn_tileILi72ELi72ELi2ELi8ELb1EEvPKcS1_S1_S1_S1_PKiPfP15HIP_vector_typeIfLj2EEffffjfiS5_IjLj3EEiiiiiiiiiiiliiliiiiil.num_vgpr, max(0, .L_ZL14no_device_codePKciS0_iS0_.num_vgpr)
	.set _ZL15flash_attn_tileILi72ELi72ELi2ELi8ELb1EEvPKcS1_S1_S1_S1_PKiPfP15HIP_vector_typeIfLj2EEffffjfiS5_IjLj3EEiiiiiiiiiiiliiliiiiil.num_agpr, max(0, .L_ZL14no_device_codePKciS0_iS0_.num_agpr)
	.set _ZL15flash_attn_tileILi72ELi72ELi2ELi8ELb1EEvPKcS1_S1_S1_S1_PKiPfP15HIP_vector_typeIfLj2EEffffjfiS5_IjLj3EEiiiiiiiiiiiliiliiiiil.numbered_sgpr, max(33, .L_ZL14no_device_codePKciS0_iS0_.numbered_sgpr)
	.set _ZL15flash_attn_tileILi72ELi72ELi2ELi8ELb1EEvPKcS1_S1_S1_S1_PKiPfP15HIP_vector_typeIfLj2EEffffjfiS5_IjLj3EEiiiiiiiiiiiliiliiiiil.num_named_barrier, max(0, .L_ZL14no_device_codePKciS0_iS0_.num_named_barrier)
	.set _ZL15flash_attn_tileILi72ELi72ELi2ELi8ELb1EEvPKcS1_S1_S1_S1_PKiPfP15HIP_vector_typeIfLj2EEffffjfiS5_IjLj3EEiiiiiiiiiiiliiliiiiil.private_seg_size, 0+max(.L_ZL14no_device_codePKciS0_iS0_.private_seg_size)
	.set _ZL15flash_attn_tileILi72ELi72ELi2ELi8ELb1EEvPKcS1_S1_S1_S1_PKiPfP15HIP_vector_typeIfLj2EEffffjfiS5_IjLj3EEiiiiiiiiiiiliiliiiiil.uses_vcc, or(1, .L_ZL14no_device_codePKciS0_iS0_.uses_vcc)
	.set _ZL15flash_attn_tileILi72ELi72ELi2ELi8ELb1EEvPKcS1_S1_S1_S1_PKiPfP15HIP_vector_typeIfLj2EEffffjfiS5_IjLj3EEiiiiiiiiiiiliiliiiiil.uses_flat_scratch, or(0, .L_ZL14no_device_codePKciS0_iS0_.uses_flat_scratch)
	.set _ZL15flash_attn_tileILi72ELi72ELi2ELi8ELb1EEvPKcS1_S1_S1_S1_PKiPfP15HIP_vector_typeIfLj2EEffffjfiS5_IjLj3EEiiiiiiiiiiiliiliiiiil.has_dyn_sized_stack, or(0, .L_ZL14no_device_codePKciS0_iS0_.has_dyn_sized_stack)
	.set _ZL15flash_attn_tileILi72ELi72ELi2ELi8ELb1EEvPKcS1_S1_S1_S1_PKiPfP15HIP_vector_typeIfLj2EEffffjfiS5_IjLj3EEiiiiiiiiiiiliiliiiiil.has_recursion, or(0, .L_ZL14no_device_codePKciS0_iS0_.has_recursion)
	.set _ZL15flash_attn_tileILi72ELi72ELi2ELi8ELb1EEvPKcS1_S1_S1_S1_PKiPfP15HIP_vector_typeIfLj2EEffffjfiS5_IjLj3EEiiiiiiiiiiiliiliiiiil.has_indirect_call, or(0, .L_ZL14no_device_codePKciS0_iS0_.has_indirect_call)
	.section	.AMDGPU.csdata,"",@progbits
; Kernel info:
; codeLenInByte = 32
; TotalNumSgprs: 36
; NumVgprs: 50
; ScratchSize: 16
; MemoryBound: 0
; FloatMode: 240
; IeeeMode: 1
; LDSByteSize: 0 bytes/workgroup (compile time only)
; SGPRBlocks: 0
; VGPRBlocks: 3
; NumSGPRsForWavesPerEU: 36
; NumVGPRsForWavesPerEU: 50
; NamedBarCnt: 0
; Occupancy: 16
; WaveLimiterHint : 1
; COMPUTE_PGM_RSRC2:SCRATCH_EN: 1
; COMPUTE_PGM_RSRC2:USER_SGPR: 2
; COMPUTE_PGM_RSRC2:TRAP_HANDLER: 0
; COMPUTE_PGM_RSRC2:TGID_X_EN: 1
; COMPUTE_PGM_RSRC2:TGID_Y_EN: 0
; COMPUTE_PGM_RSRC2:TGID_Z_EN: 0
; COMPUTE_PGM_RSRC2:TIDIG_COMP_CNT: 0
	.section	.text._ZL15flash_attn_tileILi72ELi72ELi1ELi8ELb1EEvPKcS1_S1_S1_S1_PKiPfP15HIP_vector_typeIfLj2EEffffjfiS5_IjLj3EEiiiiiiiiiiiliiliiiiil,"axG",@progbits,_ZL15flash_attn_tileILi72ELi72ELi1ELi8ELb1EEvPKcS1_S1_S1_S1_PKiPfP15HIP_vector_typeIfLj2EEffffjfiS5_IjLj3EEiiiiiiiiiiiliiliiiiil,comdat
	.globl	_ZL15flash_attn_tileILi72ELi72ELi1ELi8ELb1EEvPKcS1_S1_S1_S1_PKiPfP15HIP_vector_typeIfLj2EEffffjfiS5_IjLj3EEiiiiiiiiiiiliiliiiiil ; -- Begin function _ZL15flash_attn_tileILi72ELi72ELi1ELi8ELb1EEvPKcS1_S1_S1_S1_PKiPfP15HIP_vector_typeIfLj2EEffffjfiS5_IjLj3EEiiiiiiiiiiiliiliiiiil
	.p2align	8
	.type	_ZL15flash_attn_tileILi72ELi72ELi1ELi8ELb1EEvPKcS1_S1_S1_S1_PKiPfP15HIP_vector_typeIfLj2EEffffjfiS5_IjLj3EEiiiiiiiiiiiliiliiiiil,@function
_ZL15flash_attn_tileILi72ELi72ELi1ELi8ELb1EEvPKcS1_S1_S1_S1_PKiPfP15HIP_vector_typeIfLj2EEffffjfiS5_IjLj3EEiiiiiiiiiiiliiliiiiil: ; @_ZL15flash_attn_tileILi72ELi72ELi1ELi8ELb1EEvPKcS1_S1_S1_S1_PKiPfP15HIP_vector_typeIfLj2EEffffjfiS5_IjLj3EEiiiiiiiiiiiliiliiiiil
; %bb.0:
	s_get_pc_i64 s[2:3]
	s_add_nc_u64 s[2:3], s[2:3], _ZL14no_device_codePKciS0_iS0_@rel64+4
	s_add_nc_u64 s[8:9], s[0:1], 0xd0
	s_mov_b32 s32, 0
	s_swap_pc_i64 s[30:31], s[2:3]
	.section	.rodata,"a",@progbits
	.p2align	6, 0x0
	.amdhsa_kernel _ZL15flash_attn_tileILi72ELi72ELi1ELi8ELb1EEvPKcS1_S1_S1_S1_PKiPfP15HIP_vector_typeIfLj2EEffffjfiS5_IjLj3EEiiiiiiiiiiiliiliiiiil
		.amdhsa_group_segment_fixed_size 0
		.amdhsa_private_segment_fixed_size 16
		.amdhsa_kernarg_size 464
		.amdhsa_user_sgpr_count 2
		.amdhsa_user_sgpr_dispatch_ptr 0
		.amdhsa_user_sgpr_queue_ptr 0
		.amdhsa_user_sgpr_kernarg_segment_ptr 1
		.amdhsa_user_sgpr_dispatch_id 0
		.amdhsa_user_sgpr_kernarg_preload_length 0
		.amdhsa_user_sgpr_kernarg_preload_offset 0
		.amdhsa_user_sgpr_private_segment_size 0
		.amdhsa_wavefront_size32 1
		.amdhsa_uses_dynamic_stack 0
		.amdhsa_enable_private_segment 1
		.amdhsa_system_sgpr_workgroup_id_x 1
		.amdhsa_system_sgpr_workgroup_id_y 0
		.amdhsa_system_sgpr_workgroup_id_z 0
		.amdhsa_system_sgpr_workgroup_info 0
		.amdhsa_system_vgpr_workitem_id 0
		.amdhsa_next_free_vgpr 50
		.amdhsa_next_free_sgpr 34
		.amdhsa_named_barrier_count 0
		.amdhsa_reserve_vcc 1
		.amdhsa_float_round_mode_32 0
		.amdhsa_float_round_mode_16_64 0
		.amdhsa_float_denorm_mode_32 3
		.amdhsa_float_denorm_mode_16_64 3
		.amdhsa_fp16_overflow 0
		.amdhsa_memory_ordered 1
		.amdhsa_forward_progress 1
		.amdhsa_inst_pref_size 1
		.amdhsa_round_robin_scheduling 0
		.amdhsa_exception_fp_ieee_invalid_op 0
		.amdhsa_exception_fp_denorm_src 0
		.amdhsa_exception_fp_ieee_div_zero 0
		.amdhsa_exception_fp_ieee_overflow 0
		.amdhsa_exception_fp_ieee_underflow 0
		.amdhsa_exception_fp_ieee_inexact 0
		.amdhsa_exception_int_div_zero 0
	.end_amdhsa_kernel
	.section	.text._ZL15flash_attn_tileILi72ELi72ELi1ELi8ELb1EEvPKcS1_S1_S1_S1_PKiPfP15HIP_vector_typeIfLj2EEffffjfiS5_IjLj3EEiiiiiiiiiiiliiliiiiil,"axG",@progbits,_ZL15flash_attn_tileILi72ELi72ELi1ELi8ELb1EEvPKcS1_S1_S1_S1_PKiPfP15HIP_vector_typeIfLj2EEffffjfiS5_IjLj3EEiiiiiiiiiiiliiliiiiil,comdat
.Lfunc_end77:
	.size	_ZL15flash_attn_tileILi72ELi72ELi1ELi8ELb1EEvPKcS1_S1_S1_S1_PKiPfP15HIP_vector_typeIfLj2EEffffjfiS5_IjLj3EEiiiiiiiiiiiliiliiiiil, .Lfunc_end77-_ZL15flash_attn_tileILi72ELi72ELi1ELi8ELb1EEvPKcS1_S1_S1_S1_PKiPfP15HIP_vector_typeIfLj2EEffffjfiS5_IjLj3EEiiiiiiiiiiiliiliiiiil
                                        ; -- End function
	.set _ZL15flash_attn_tileILi72ELi72ELi1ELi8ELb1EEvPKcS1_S1_S1_S1_PKiPfP15HIP_vector_typeIfLj2EEffffjfiS5_IjLj3EEiiiiiiiiiiiliiliiiiil.num_vgpr, max(0, .L_ZL14no_device_codePKciS0_iS0_.num_vgpr)
	.set _ZL15flash_attn_tileILi72ELi72ELi1ELi8ELb1EEvPKcS1_S1_S1_S1_PKiPfP15HIP_vector_typeIfLj2EEffffjfiS5_IjLj3EEiiiiiiiiiiiliiliiiiil.num_agpr, max(0, .L_ZL14no_device_codePKciS0_iS0_.num_agpr)
	.set _ZL15flash_attn_tileILi72ELi72ELi1ELi8ELb1EEvPKcS1_S1_S1_S1_PKiPfP15HIP_vector_typeIfLj2EEffffjfiS5_IjLj3EEiiiiiiiiiiiliiliiiiil.numbered_sgpr, max(33, .L_ZL14no_device_codePKciS0_iS0_.numbered_sgpr)
	.set _ZL15flash_attn_tileILi72ELi72ELi1ELi8ELb1EEvPKcS1_S1_S1_S1_PKiPfP15HIP_vector_typeIfLj2EEffffjfiS5_IjLj3EEiiiiiiiiiiiliiliiiiil.num_named_barrier, max(0, .L_ZL14no_device_codePKciS0_iS0_.num_named_barrier)
	.set _ZL15flash_attn_tileILi72ELi72ELi1ELi8ELb1EEvPKcS1_S1_S1_S1_PKiPfP15HIP_vector_typeIfLj2EEffffjfiS5_IjLj3EEiiiiiiiiiiiliiliiiiil.private_seg_size, 0+max(.L_ZL14no_device_codePKciS0_iS0_.private_seg_size)
	.set _ZL15flash_attn_tileILi72ELi72ELi1ELi8ELb1EEvPKcS1_S1_S1_S1_PKiPfP15HIP_vector_typeIfLj2EEffffjfiS5_IjLj3EEiiiiiiiiiiiliiliiiiil.uses_vcc, or(1, .L_ZL14no_device_codePKciS0_iS0_.uses_vcc)
	.set _ZL15flash_attn_tileILi72ELi72ELi1ELi8ELb1EEvPKcS1_S1_S1_S1_PKiPfP15HIP_vector_typeIfLj2EEffffjfiS5_IjLj3EEiiiiiiiiiiiliiliiiiil.uses_flat_scratch, or(0, .L_ZL14no_device_codePKciS0_iS0_.uses_flat_scratch)
	.set _ZL15flash_attn_tileILi72ELi72ELi1ELi8ELb1EEvPKcS1_S1_S1_S1_PKiPfP15HIP_vector_typeIfLj2EEffffjfiS5_IjLj3EEiiiiiiiiiiiliiliiiiil.has_dyn_sized_stack, or(0, .L_ZL14no_device_codePKciS0_iS0_.has_dyn_sized_stack)
	.set _ZL15flash_attn_tileILi72ELi72ELi1ELi8ELb1EEvPKcS1_S1_S1_S1_PKiPfP15HIP_vector_typeIfLj2EEffffjfiS5_IjLj3EEiiiiiiiiiiiliiliiiiil.has_recursion, or(0, .L_ZL14no_device_codePKciS0_iS0_.has_recursion)
	.set _ZL15flash_attn_tileILi72ELi72ELi1ELi8ELb1EEvPKcS1_S1_S1_S1_PKiPfP15HIP_vector_typeIfLj2EEffffjfiS5_IjLj3EEiiiiiiiiiiiliiliiiiil.has_indirect_call, or(0, .L_ZL14no_device_codePKciS0_iS0_.has_indirect_call)
	.section	.AMDGPU.csdata,"",@progbits
; Kernel info:
; codeLenInByte = 32
; TotalNumSgprs: 36
; NumVgprs: 50
; ScratchSize: 16
; MemoryBound: 0
; FloatMode: 240
; IeeeMode: 1
; LDSByteSize: 0 bytes/workgroup (compile time only)
; SGPRBlocks: 0
; VGPRBlocks: 3
; NumSGPRsForWavesPerEU: 36
; NumVGPRsForWavesPerEU: 50
; NamedBarCnt: 0
; Occupancy: 16
; WaveLimiterHint : 1
; COMPUTE_PGM_RSRC2:SCRATCH_EN: 1
; COMPUTE_PGM_RSRC2:USER_SGPR: 2
; COMPUTE_PGM_RSRC2:TRAP_HANDLER: 0
; COMPUTE_PGM_RSRC2:TGID_X_EN: 1
; COMPUTE_PGM_RSRC2:TGID_Y_EN: 0
; COMPUTE_PGM_RSRC2:TGID_Z_EN: 0
; COMPUTE_PGM_RSRC2:TIDIG_COMP_CNT: 0
	.section	.text._ZL15flash_attn_tileILi72ELi72ELi16ELi4ELb1EEvPKcS1_S1_S1_S1_PKiPfP15HIP_vector_typeIfLj2EEffffjfiS5_IjLj3EEiiiiiiiiiiiliiliiiiil,"axG",@progbits,_ZL15flash_attn_tileILi72ELi72ELi16ELi4ELb1EEvPKcS1_S1_S1_S1_PKiPfP15HIP_vector_typeIfLj2EEffffjfiS5_IjLj3EEiiiiiiiiiiiliiliiiiil,comdat
	.globl	_ZL15flash_attn_tileILi72ELi72ELi16ELi4ELb1EEvPKcS1_S1_S1_S1_PKiPfP15HIP_vector_typeIfLj2EEffffjfiS5_IjLj3EEiiiiiiiiiiiliiliiiiil ; -- Begin function _ZL15flash_attn_tileILi72ELi72ELi16ELi4ELb1EEvPKcS1_S1_S1_S1_PKiPfP15HIP_vector_typeIfLj2EEffffjfiS5_IjLj3EEiiiiiiiiiiiliiliiiiil
	.p2align	8
	.type	_ZL15flash_attn_tileILi72ELi72ELi16ELi4ELb1EEvPKcS1_S1_S1_S1_PKiPfP15HIP_vector_typeIfLj2EEffffjfiS5_IjLj3EEiiiiiiiiiiiliiliiiiil,@function
_ZL15flash_attn_tileILi72ELi72ELi16ELi4ELb1EEvPKcS1_S1_S1_S1_PKiPfP15HIP_vector_typeIfLj2EEffffjfiS5_IjLj3EEiiiiiiiiiiiliiliiiiil: ; @_ZL15flash_attn_tileILi72ELi72ELi16ELi4ELb1EEvPKcS1_S1_S1_S1_PKiPfP15HIP_vector_typeIfLj2EEffffjfiS5_IjLj3EEiiiiiiiiiiiliiliiiiil
; %bb.0:
	s_get_pc_i64 s[2:3]
	s_add_nc_u64 s[2:3], s[2:3], _ZL14no_device_codePKciS0_iS0_@rel64+4
	s_add_nc_u64 s[8:9], s[0:1], 0xd0
	s_mov_b32 s32, 0
	s_swap_pc_i64 s[30:31], s[2:3]
	.section	.rodata,"a",@progbits
	.p2align	6, 0x0
	.amdhsa_kernel _ZL15flash_attn_tileILi72ELi72ELi16ELi4ELb1EEvPKcS1_S1_S1_S1_PKiPfP15HIP_vector_typeIfLj2EEffffjfiS5_IjLj3EEiiiiiiiiiiiliiliiiiil
		.amdhsa_group_segment_fixed_size 0
		.amdhsa_private_segment_fixed_size 16
		.amdhsa_kernarg_size 464
		.amdhsa_user_sgpr_count 2
		.amdhsa_user_sgpr_dispatch_ptr 0
		.amdhsa_user_sgpr_queue_ptr 0
		.amdhsa_user_sgpr_kernarg_segment_ptr 1
		.amdhsa_user_sgpr_dispatch_id 0
		.amdhsa_user_sgpr_kernarg_preload_length 0
		.amdhsa_user_sgpr_kernarg_preload_offset 0
		.amdhsa_user_sgpr_private_segment_size 0
		.amdhsa_wavefront_size32 1
		.amdhsa_uses_dynamic_stack 0
		.amdhsa_enable_private_segment 1
		.amdhsa_system_sgpr_workgroup_id_x 1
		.amdhsa_system_sgpr_workgroup_id_y 0
		.amdhsa_system_sgpr_workgroup_id_z 0
		.amdhsa_system_sgpr_workgroup_info 0
		.amdhsa_system_vgpr_workitem_id 0
		.amdhsa_next_free_vgpr 50
		.amdhsa_next_free_sgpr 34
		.amdhsa_named_barrier_count 0
		.amdhsa_reserve_vcc 1
		.amdhsa_float_round_mode_32 0
		.amdhsa_float_round_mode_16_64 0
		.amdhsa_float_denorm_mode_32 3
		.amdhsa_float_denorm_mode_16_64 3
		.amdhsa_fp16_overflow 0
		.amdhsa_memory_ordered 1
		.amdhsa_forward_progress 1
		.amdhsa_inst_pref_size 1
		.amdhsa_round_robin_scheduling 0
		.amdhsa_exception_fp_ieee_invalid_op 0
		.amdhsa_exception_fp_denorm_src 0
		.amdhsa_exception_fp_ieee_div_zero 0
		.amdhsa_exception_fp_ieee_overflow 0
		.amdhsa_exception_fp_ieee_underflow 0
		.amdhsa_exception_fp_ieee_inexact 0
		.amdhsa_exception_int_div_zero 0
	.end_amdhsa_kernel
	.section	.text._ZL15flash_attn_tileILi72ELi72ELi16ELi4ELb1EEvPKcS1_S1_S1_S1_PKiPfP15HIP_vector_typeIfLj2EEffffjfiS5_IjLj3EEiiiiiiiiiiiliiliiiiil,"axG",@progbits,_ZL15flash_attn_tileILi72ELi72ELi16ELi4ELb1EEvPKcS1_S1_S1_S1_PKiPfP15HIP_vector_typeIfLj2EEffffjfiS5_IjLj3EEiiiiiiiiiiiliiliiiiil,comdat
.Lfunc_end78:
	.size	_ZL15flash_attn_tileILi72ELi72ELi16ELi4ELb1EEvPKcS1_S1_S1_S1_PKiPfP15HIP_vector_typeIfLj2EEffffjfiS5_IjLj3EEiiiiiiiiiiiliiliiiiil, .Lfunc_end78-_ZL15flash_attn_tileILi72ELi72ELi16ELi4ELb1EEvPKcS1_S1_S1_S1_PKiPfP15HIP_vector_typeIfLj2EEffffjfiS5_IjLj3EEiiiiiiiiiiiliiliiiiil
                                        ; -- End function
	.set _ZL15flash_attn_tileILi72ELi72ELi16ELi4ELb1EEvPKcS1_S1_S1_S1_PKiPfP15HIP_vector_typeIfLj2EEffffjfiS5_IjLj3EEiiiiiiiiiiiliiliiiiil.num_vgpr, max(0, .L_ZL14no_device_codePKciS0_iS0_.num_vgpr)
	.set _ZL15flash_attn_tileILi72ELi72ELi16ELi4ELb1EEvPKcS1_S1_S1_S1_PKiPfP15HIP_vector_typeIfLj2EEffffjfiS5_IjLj3EEiiiiiiiiiiiliiliiiiil.num_agpr, max(0, .L_ZL14no_device_codePKciS0_iS0_.num_agpr)
	.set _ZL15flash_attn_tileILi72ELi72ELi16ELi4ELb1EEvPKcS1_S1_S1_S1_PKiPfP15HIP_vector_typeIfLj2EEffffjfiS5_IjLj3EEiiiiiiiiiiiliiliiiiil.numbered_sgpr, max(33, .L_ZL14no_device_codePKciS0_iS0_.numbered_sgpr)
	.set _ZL15flash_attn_tileILi72ELi72ELi16ELi4ELb1EEvPKcS1_S1_S1_S1_PKiPfP15HIP_vector_typeIfLj2EEffffjfiS5_IjLj3EEiiiiiiiiiiiliiliiiiil.num_named_barrier, max(0, .L_ZL14no_device_codePKciS0_iS0_.num_named_barrier)
	.set _ZL15flash_attn_tileILi72ELi72ELi16ELi4ELb1EEvPKcS1_S1_S1_S1_PKiPfP15HIP_vector_typeIfLj2EEffffjfiS5_IjLj3EEiiiiiiiiiiiliiliiiiil.private_seg_size, 0+max(.L_ZL14no_device_codePKciS0_iS0_.private_seg_size)
	.set _ZL15flash_attn_tileILi72ELi72ELi16ELi4ELb1EEvPKcS1_S1_S1_S1_PKiPfP15HIP_vector_typeIfLj2EEffffjfiS5_IjLj3EEiiiiiiiiiiiliiliiiiil.uses_vcc, or(1, .L_ZL14no_device_codePKciS0_iS0_.uses_vcc)
	.set _ZL15flash_attn_tileILi72ELi72ELi16ELi4ELb1EEvPKcS1_S1_S1_S1_PKiPfP15HIP_vector_typeIfLj2EEffffjfiS5_IjLj3EEiiiiiiiiiiiliiliiiiil.uses_flat_scratch, or(0, .L_ZL14no_device_codePKciS0_iS0_.uses_flat_scratch)
	.set _ZL15flash_attn_tileILi72ELi72ELi16ELi4ELb1EEvPKcS1_S1_S1_S1_PKiPfP15HIP_vector_typeIfLj2EEffffjfiS5_IjLj3EEiiiiiiiiiiiliiliiiiil.has_dyn_sized_stack, or(0, .L_ZL14no_device_codePKciS0_iS0_.has_dyn_sized_stack)
	.set _ZL15flash_attn_tileILi72ELi72ELi16ELi4ELb1EEvPKcS1_S1_S1_S1_PKiPfP15HIP_vector_typeIfLj2EEffffjfiS5_IjLj3EEiiiiiiiiiiiliiliiiiil.has_recursion, or(0, .L_ZL14no_device_codePKciS0_iS0_.has_recursion)
	.set _ZL15flash_attn_tileILi72ELi72ELi16ELi4ELb1EEvPKcS1_S1_S1_S1_PKiPfP15HIP_vector_typeIfLj2EEffffjfiS5_IjLj3EEiiiiiiiiiiiliiliiiiil.has_indirect_call, or(0, .L_ZL14no_device_codePKciS0_iS0_.has_indirect_call)
	.section	.AMDGPU.csdata,"",@progbits
; Kernel info:
; codeLenInByte = 32
; TotalNumSgprs: 36
; NumVgprs: 50
; ScratchSize: 16
; MemoryBound: 0
; FloatMode: 240
; IeeeMode: 1
; LDSByteSize: 0 bytes/workgroup (compile time only)
; SGPRBlocks: 0
; VGPRBlocks: 3
; NumSGPRsForWavesPerEU: 36
; NumVGPRsForWavesPerEU: 50
; NamedBarCnt: 0
; Occupancy: 16
; WaveLimiterHint : 1
; COMPUTE_PGM_RSRC2:SCRATCH_EN: 1
; COMPUTE_PGM_RSRC2:USER_SGPR: 2
; COMPUTE_PGM_RSRC2:TRAP_HANDLER: 0
; COMPUTE_PGM_RSRC2:TGID_X_EN: 1
; COMPUTE_PGM_RSRC2:TGID_Y_EN: 0
; COMPUTE_PGM_RSRC2:TGID_Z_EN: 0
; COMPUTE_PGM_RSRC2:TIDIG_COMP_CNT: 0
	.section	.text._ZL15flash_attn_tileILi72ELi72ELi8ELi4ELb1EEvPKcS1_S1_S1_S1_PKiPfP15HIP_vector_typeIfLj2EEffffjfiS5_IjLj3EEiiiiiiiiiiiliiliiiiil,"axG",@progbits,_ZL15flash_attn_tileILi72ELi72ELi8ELi4ELb1EEvPKcS1_S1_S1_S1_PKiPfP15HIP_vector_typeIfLj2EEffffjfiS5_IjLj3EEiiiiiiiiiiiliiliiiiil,comdat
	.globl	_ZL15flash_attn_tileILi72ELi72ELi8ELi4ELb1EEvPKcS1_S1_S1_S1_PKiPfP15HIP_vector_typeIfLj2EEffffjfiS5_IjLj3EEiiiiiiiiiiiliiliiiiil ; -- Begin function _ZL15flash_attn_tileILi72ELi72ELi8ELi4ELb1EEvPKcS1_S1_S1_S1_PKiPfP15HIP_vector_typeIfLj2EEffffjfiS5_IjLj3EEiiiiiiiiiiiliiliiiiil
	.p2align	8
	.type	_ZL15flash_attn_tileILi72ELi72ELi8ELi4ELb1EEvPKcS1_S1_S1_S1_PKiPfP15HIP_vector_typeIfLj2EEffffjfiS5_IjLj3EEiiiiiiiiiiiliiliiiiil,@function
_ZL15flash_attn_tileILi72ELi72ELi8ELi4ELb1EEvPKcS1_S1_S1_S1_PKiPfP15HIP_vector_typeIfLj2EEffffjfiS5_IjLj3EEiiiiiiiiiiiliiliiiiil: ; @_ZL15flash_attn_tileILi72ELi72ELi8ELi4ELb1EEvPKcS1_S1_S1_S1_PKiPfP15HIP_vector_typeIfLj2EEffffjfiS5_IjLj3EEiiiiiiiiiiiliiliiiiil
; %bb.0:
	s_get_pc_i64 s[2:3]
	s_add_nc_u64 s[2:3], s[2:3], _ZL14no_device_codePKciS0_iS0_@rel64+4
	s_add_nc_u64 s[8:9], s[0:1], 0xd0
	s_mov_b32 s32, 0
	s_swap_pc_i64 s[30:31], s[2:3]
	.section	.rodata,"a",@progbits
	.p2align	6, 0x0
	.amdhsa_kernel _ZL15flash_attn_tileILi72ELi72ELi8ELi4ELb1EEvPKcS1_S1_S1_S1_PKiPfP15HIP_vector_typeIfLj2EEffffjfiS5_IjLj3EEiiiiiiiiiiiliiliiiiil
		.amdhsa_group_segment_fixed_size 0
		.amdhsa_private_segment_fixed_size 16
		.amdhsa_kernarg_size 464
		.amdhsa_user_sgpr_count 2
		.amdhsa_user_sgpr_dispatch_ptr 0
		.amdhsa_user_sgpr_queue_ptr 0
		.amdhsa_user_sgpr_kernarg_segment_ptr 1
		.amdhsa_user_sgpr_dispatch_id 0
		.amdhsa_user_sgpr_kernarg_preload_length 0
		.amdhsa_user_sgpr_kernarg_preload_offset 0
		.amdhsa_user_sgpr_private_segment_size 0
		.amdhsa_wavefront_size32 1
		.amdhsa_uses_dynamic_stack 0
		.amdhsa_enable_private_segment 1
		.amdhsa_system_sgpr_workgroup_id_x 1
		.amdhsa_system_sgpr_workgroup_id_y 0
		.amdhsa_system_sgpr_workgroup_id_z 0
		.amdhsa_system_sgpr_workgroup_info 0
		.amdhsa_system_vgpr_workitem_id 0
		.amdhsa_next_free_vgpr 50
		.amdhsa_next_free_sgpr 34
		.amdhsa_named_barrier_count 0
		.amdhsa_reserve_vcc 1
		.amdhsa_float_round_mode_32 0
		.amdhsa_float_round_mode_16_64 0
		.amdhsa_float_denorm_mode_32 3
		.amdhsa_float_denorm_mode_16_64 3
		.amdhsa_fp16_overflow 0
		.amdhsa_memory_ordered 1
		.amdhsa_forward_progress 1
		.amdhsa_inst_pref_size 1
		.amdhsa_round_robin_scheduling 0
		.amdhsa_exception_fp_ieee_invalid_op 0
		.amdhsa_exception_fp_denorm_src 0
		.amdhsa_exception_fp_ieee_div_zero 0
		.amdhsa_exception_fp_ieee_overflow 0
		.amdhsa_exception_fp_ieee_underflow 0
		.amdhsa_exception_fp_ieee_inexact 0
		.amdhsa_exception_int_div_zero 0
	.end_amdhsa_kernel
	.section	.text._ZL15flash_attn_tileILi72ELi72ELi8ELi4ELb1EEvPKcS1_S1_S1_S1_PKiPfP15HIP_vector_typeIfLj2EEffffjfiS5_IjLj3EEiiiiiiiiiiiliiliiiiil,"axG",@progbits,_ZL15flash_attn_tileILi72ELi72ELi8ELi4ELb1EEvPKcS1_S1_S1_S1_PKiPfP15HIP_vector_typeIfLj2EEffffjfiS5_IjLj3EEiiiiiiiiiiiliiliiiiil,comdat
.Lfunc_end79:
	.size	_ZL15flash_attn_tileILi72ELi72ELi8ELi4ELb1EEvPKcS1_S1_S1_S1_PKiPfP15HIP_vector_typeIfLj2EEffffjfiS5_IjLj3EEiiiiiiiiiiiliiliiiiil, .Lfunc_end79-_ZL15flash_attn_tileILi72ELi72ELi8ELi4ELb1EEvPKcS1_S1_S1_S1_PKiPfP15HIP_vector_typeIfLj2EEffffjfiS5_IjLj3EEiiiiiiiiiiiliiliiiiil
                                        ; -- End function
	.set _ZL15flash_attn_tileILi72ELi72ELi8ELi4ELb1EEvPKcS1_S1_S1_S1_PKiPfP15HIP_vector_typeIfLj2EEffffjfiS5_IjLj3EEiiiiiiiiiiiliiliiiiil.num_vgpr, max(0, .L_ZL14no_device_codePKciS0_iS0_.num_vgpr)
	.set _ZL15flash_attn_tileILi72ELi72ELi8ELi4ELb1EEvPKcS1_S1_S1_S1_PKiPfP15HIP_vector_typeIfLj2EEffffjfiS5_IjLj3EEiiiiiiiiiiiliiliiiiil.num_agpr, max(0, .L_ZL14no_device_codePKciS0_iS0_.num_agpr)
	.set _ZL15flash_attn_tileILi72ELi72ELi8ELi4ELb1EEvPKcS1_S1_S1_S1_PKiPfP15HIP_vector_typeIfLj2EEffffjfiS5_IjLj3EEiiiiiiiiiiiliiliiiiil.numbered_sgpr, max(33, .L_ZL14no_device_codePKciS0_iS0_.numbered_sgpr)
	.set _ZL15flash_attn_tileILi72ELi72ELi8ELi4ELb1EEvPKcS1_S1_S1_S1_PKiPfP15HIP_vector_typeIfLj2EEffffjfiS5_IjLj3EEiiiiiiiiiiiliiliiiiil.num_named_barrier, max(0, .L_ZL14no_device_codePKciS0_iS0_.num_named_barrier)
	.set _ZL15flash_attn_tileILi72ELi72ELi8ELi4ELb1EEvPKcS1_S1_S1_S1_PKiPfP15HIP_vector_typeIfLj2EEffffjfiS5_IjLj3EEiiiiiiiiiiiliiliiiiil.private_seg_size, 0+max(.L_ZL14no_device_codePKciS0_iS0_.private_seg_size)
	.set _ZL15flash_attn_tileILi72ELi72ELi8ELi4ELb1EEvPKcS1_S1_S1_S1_PKiPfP15HIP_vector_typeIfLj2EEffffjfiS5_IjLj3EEiiiiiiiiiiiliiliiiiil.uses_vcc, or(1, .L_ZL14no_device_codePKciS0_iS0_.uses_vcc)
	.set _ZL15flash_attn_tileILi72ELi72ELi8ELi4ELb1EEvPKcS1_S1_S1_S1_PKiPfP15HIP_vector_typeIfLj2EEffffjfiS5_IjLj3EEiiiiiiiiiiiliiliiiiil.uses_flat_scratch, or(0, .L_ZL14no_device_codePKciS0_iS0_.uses_flat_scratch)
	.set _ZL15flash_attn_tileILi72ELi72ELi8ELi4ELb1EEvPKcS1_S1_S1_S1_PKiPfP15HIP_vector_typeIfLj2EEffffjfiS5_IjLj3EEiiiiiiiiiiiliiliiiiil.has_dyn_sized_stack, or(0, .L_ZL14no_device_codePKciS0_iS0_.has_dyn_sized_stack)
	.set _ZL15flash_attn_tileILi72ELi72ELi8ELi4ELb1EEvPKcS1_S1_S1_S1_PKiPfP15HIP_vector_typeIfLj2EEffffjfiS5_IjLj3EEiiiiiiiiiiiliiliiiiil.has_recursion, or(0, .L_ZL14no_device_codePKciS0_iS0_.has_recursion)
	.set _ZL15flash_attn_tileILi72ELi72ELi8ELi4ELb1EEvPKcS1_S1_S1_S1_PKiPfP15HIP_vector_typeIfLj2EEffffjfiS5_IjLj3EEiiiiiiiiiiiliiliiiiil.has_indirect_call, or(0, .L_ZL14no_device_codePKciS0_iS0_.has_indirect_call)
	.section	.AMDGPU.csdata,"",@progbits
; Kernel info:
; codeLenInByte = 32
; TotalNumSgprs: 36
; NumVgprs: 50
; ScratchSize: 16
; MemoryBound: 0
; FloatMode: 240
; IeeeMode: 1
; LDSByteSize: 0 bytes/workgroup (compile time only)
; SGPRBlocks: 0
; VGPRBlocks: 3
; NumSGPRsForWavesPerEU: 36
; NumVGPRsForWavesPerEU: 50
; NamedBarCnt: 0
; Occupancy: 16
; WaveLimiterHint : 1
; COMPUTE_PGM_RSRC2:SCRATCH_EN: 1
; COMPUTE_PGM_RSRC2:USER_SGPR: 2
; COMPUTE_PGM_RSRC2:TRAP_HANDLER: 0
; COMPUTE_PGM_RSRC2:TGID_X_EN: 1
; COMPUTE_PGM_RSRC2:TGID_Y_EN: 0
; COMPUTE_PGM_RSRC2:TGID_Z_EN: 0
; COMPUTE_PGM_RSRC2:TIDIG_COMP_CNT: 0
	.section	.text._ZL15flash_attn_tileILi72ELi72ELi4ELi4ELb1EEvPKcS1_S1_S1_S1_PKiPfP15HIP_vector_typeIfLj2EEffffjfiS5_IjLj3EEiiiiiiiiiiiliiliiiiil,"axG",@progbits,_ZL15flash_attn_tileILi72ELi72ELi4ELi4ELb1EEvPKcS1_S1_S1_S1_PKiPfP15HIP_vector_typeIfLj2EEffffjfiS5_IjLj3EEiiiiiiiiiiiliiliiiiil,comdat
	.globl	_ZL15flash_attn_tileILi72ELi72ELi4ELi4ELb1EEvPKcS1_S1_S1_S1_PKiPfP15HIP_vector_typeIfLj2EEffffjfiS5_IjLj3EEiiiiiiiiiiiliiliiiiil ; -- Begin function _ZL15flash_attn_tileILi72ELi72ELi4ELi4ELb1EEvPKcS1_S1_S1_S1_PKiPfP15HIP_vector_typeIfLj2EEffffjfiS5_IjLj3EEiiiiiiiiiiiliiliiiiil
	.p2align	8
	.type	_ZL15flash_attn_tileILi72ELi72ELi4ELi4ELb1EEvPKcS1_S1_S1_S1_PKiPfP15HIP_vector_typeIfLj2EEffffjfiS5_IjLj3EEiiiiiiiiiiiliiliiiiil,@function
_ZL15flash_attn_tileILi72ELi72ELi4ELi4ELb1EEvPKcS1_S1_S1_S1_PKiPfP15HIP_vector_typeIfLj2EEffffjfiS5_IjLj3EEiiiiiiiiiiiliiliiiiil: ; @_ZL15flash_attn_tileILi72ELi72ELi4ELi4ELb1EEvPKcS1_S1_S1_S1_PKiPfP15HIP_vector_typeIfLj2EEffffjfiS5_IjLj3EEiiiiiiiiiiiliiliiiiil
; %bb.0:
	s_get_pc_i64 s[2:3]
	s_add_nc_u64 s[2:3], s[2:3], _ZL14no_device_codePKciS0_iS0_@rel64+4
	s_add_nc_u64 s[8:9], s[0:1], 0xd0
	s_mov_b32 s32, 0
	s_swap_pc_i64 s[30:31], s[2:3]
	.section	.rodata,"a",@progbits
	.p2align	6, 0x0
	.amdhsa_kernel _ZL15flash_attn_tileILi72ELi72ELi4ELi4ELb1EEvPKcS1_S1_S1_S1_PKiPfP15HIP_vector_typeIfLj2EEffffjfiS5_IjLj3EEiiiiiiiiiiiliiliiiiil
		.amdhsa_group_segment_fixed_size 0
		.amdhsa_private_segment_fixed_size 16
		.amdhsa_kernarg_size 464
		.amdhsa_user_sgpr_count 2
		.amdhsa_user_sgpr_dispatch_ptr 0
		.amdhsa_user_sgpr_queue_ptr 0
		.amdhsa_user_sgpr_kernarg_segment_ptr 1
		.amdhsa_user_sgpr_dispatch_id 0
		.amdhsa_user_sgpr_kernarg_preload_length 0
		.amdhsa_user_sgpr_kernarg_preload_offset 0
		.amdhsa_user_sgpr_private_segment_size 0
		.amdhsa_wavefront_size32 1
		.amdhsa_uses_dynamic_stack 0
		.amdhsa_enable_private_segment 1
		.amdhsa_system_sgpr_workgroup_id_x 1
		.amdhsa_system_sgpr_workgroup_id_y 0
		.amdhsa_system_sgpr_workgroup_id_z 0
		.amdhsa_system_sgpr_workgroup_info 0
		.amdhsa_system_vgpr_workitem_id 0
		.amdhsa_next_free_vgpr 50
		.amdhsa_next_free_sgpr 34
		.amdhsa_named_barrier_count 0
		.amdhsa_reserve_vcc 1
		.amdhsa_float_round_mode_32 0
		.amdhsa_float_round_mode_16_64 0
		.amdhsa_float_denorm_mode_32 3
		.amdhsa_float_denorm_mode_16_64 3
		.amdhsa_fp16_overflow 0
		.amdhsa_memory_ordered 1
		.amdhsa_forward_progress 1
		.amdhsa_inst_pref_size 1
		.amdhsa_round_robin_scheduling 0
		.amdhsa_exception_fp_ieee_invalid_op 0
		.amdhsa_exception_fp_denorm_src 0
		.amdhsa_exception_fp_ieee_div_zero 0
		.amdhsa_exception_fp_ieee_overflow 0
		.amdhsa_exception_fp_ieee_underflow 0
		.amdhsa_exception_fp_ieee_inexact 0
		.amdhsa_exception_int_div_zero 0
	.end_amdhsa_kernel
	.section	.text._ZL15flash_attn_tileILi72ELi72ELi4ELi4ELb1EEvPKcS1_S1_S1_S1_PKiPfP15HIP_vector_typeIfLj2EEffffjfiS5_IjLj3EEiiiiiiiiiiiliiliiiiil,"axG",@progbits,_ZL15flash_attn_tileILi72ELi72ELi4ELi4ELb1EEvPKcS1_S1_S1_S1_PKiPfP15HIP_vector_typeIfLj2EEffffjfiS5_IjLj3EEiiiiiiiiiiiliiliiiiil,comdat
.Lfunc_end80:
	.size	_ZL15flash_attn_tileILi72ELi72ELi4ELi4ELb1EEvPKcS1_S1_S1_S1_PKiPfP15HIP_vector_typeIfLj2EEffffjfiS5_IjLj3EEiiiiiiiiiiiliiliiiiil, .Lfunc_end80-_ZL15flash_attn_tileILi72ELi72ELi4ELi4ELb1EEvPKcS1_S1_S1_S1_PKiPfP15HIP_vector_typeIfLj2EEffffjfiS5_IjLj3EEiiiiiiiiiiiliiliiiiil
                                        ; -- End function
	.set _ZL15flash_attn_tileILi72ELi72ELi4ELi4ELb1EEvPKcS1_S1_S1_S1_PKiPfP15HIP_vector_typeIfLj2EEffffjfiS5_IjLj3EEiiiiiiiiiiiliiliiiiil.num_vgpr, max(0, .L_ZL14no_device_codePKciS0_iS0_.num_vgpr)
	.set _ZL15flash_attn_tileILi72ELi72ELi4ELi4ELb1EEvPKcS1_S1_S1_S1_PKiPfP15HIP_vector_typeIfLj2EEffffjfiS5_IjLj3EEiiiiiiiiiiiliiliiiiil.num_agpr, max(0, .L_ZL14no_device_codePKciS0_iS0_.num_agpr)
	.set _ZL15flash_attn_tileILi72ELi72ELi4ELi4ELb1EEvPKcS1_S1_S1_S1_PKiPfP15HIP_vector_typeIfLj2EEffffjfiS5_IjLj3EEiiiiiiiiiiiliiliiiiil.numbered_sgpr, max(33, .L_ZL14no_device_codePKciS0_iS0_.numbered_sgpr)
	.set _ZL15flash_attn_tileILi72ELi72ELi4ELi4ELb1EEvPKcS1_S1_S1_S1_PKiPfP15HIP_vector_typeIfLj2EEffffjfiS5_IjLj3EEiiiiiiiiiiiliiliiiiil.num_named_barrier, max(0, .L_ZL14no_device_codePKciS0_iS0_.num_named_barrier)
	.set _ZL15flash_attn_tileILi72ELi72ELi4ELi4ELb1EEvPKcS1_S1_S1_S1_PKiPfP15HIP_vector_typeIfLj2EEffffjfiS5_IjLj3EEiiiiiiiiiiiliiliiiiil.private_seg_size, 0+max(.L_ZL14no_device_codePKciS0_iS0_.private_seg_size)
	.set _ZL15flash_attn_tileILi72ELi72ELi4ELi4ELb1EEvPKcS1_S1_S1_S1_PKiPfP15HIP_vector_typeIfLj2EEffffjfiS5_IjLj3EEiiiiiiiiiiiliiliiiiil.uses_vcc, or(1, .L_ZL14no_device_codePKciS0_iS0_.uses_vcc)
	.set _ZL15flash_attn_tileILi72ELi72ELi4ELi4ELb1EEvPKcS1_S1_S1_S1_PKiPfP15HIP_vector_typeIfLj2EEffffjfiS5_IjLj3EEiiiiiiiiiiiliiliiiiil.uses_flat_scratch, or(0, .L_ZL14no_device_codePKciS0_iS0_.uses_flat_scratch)
	.set _ZL15flash_attn_tileILi72ELi72ELi4ELi4ELb1EEvPKcS1_S1_S1_S1_PKiPfP15HIP_vector_typeIfLj2EEffffjfiS5_IjLj3EEiiiiiiiiiiiliiliiiiil.has_dyn_sized_stack, or(0, .L_ZL14no_device_codePKciS0_iS0_.has_dyn_sized_stack)
	.set _ZL15flash_attn_tileILi72ELi72ELi4ELi4ELb1EEvPKcS1_S1_S1_S1_PKiPfP15HIP_vector_typeIfLj2EEffffjfiS5_IjLj3EEiiiiiiiiiiiliiliiiiil.has_recursion, or(0, .L_ZL14no_device_codePKciS0_iS0_.has_recursion)
	.set _ZL15flash_attn_tileILi72ELi72ELi4ELi4ELb1EEvPKcS1_S1_S1_S1_PKiPfP15HIP_vector_typeIfLj2EEffffjfiS5_IjLj3EEiiiiiiiiiiiliiliiiiil.has_indirect_call, or(0, .L_ZL14no_device_codePKciS0_iS0_.has_indirect_call)
	.section	.AMDGPU.csdata,"",@progbits
; Kernel info:
; codeLenInByte = 32
; TotalNumSgprs: 36
; NumVgprs: 50
; ScratchSize: 16
; MemoryBound: 0
; FloatMode: 240
; IeeeMode: 1
; LDSByteSize: 0 bytes/workgroup (compile time only)
; SGPRBlocks: 0
; VGPRBlocks: 3
; NumSGPRsForWavesPerEU: 36
; NumVGPRsForWavesPerEU: 50
; NamedBarCnt: 0
; Occupancy: 16
; WaveLimiterHint : 1
; COMPUTE_PGM_RSRC2:SCRATCH_EN: 1
; COMPUTE_PGM_RSRC2:USER_SGPR: 2
; COMPUTE_PGM_RSRC2:TRAP_HANDLER: 0
; COMPUTE_PGM_RSRC2:TGID_X_EN: 1
; COMPUTE_PGM_RSRC2:TGID_Y_EN: 0
; COMPUTE_PGM_RSRC2:TGID_Z_EN: 0
; COMPUTE_PGM_RSRC2:TIDIG_COMP_CNT: 0
	.section	.text._ZL15flash_attn_tileILi72ELi72ELi2ELi4ELb1EEvPKcS1_S1_S1_S1_PKiPfP15HIP_vector_typeIfLj2EEffffjfiS5_IjLj3EEiiiiiiiiiiiliiliiiiil,"axG",@progbits,_ZL15flash_attn_tileILi72ELi72ELi2ELi4ELb1EEvPKcS1_S1_S1_S1_PKiPfP15HIP_vector_typeIfLj2EEffffjfiS5_IjLj3EEiiiiiiiiiiiliiliiiiil,comdat
	.globl	_ZL15flash_attn_tileILi72ELi72ELi2ELi4ELb1EEvPKcS1_S1_S1_S1_PKiPfP15HIP_vector_typeIfLj2EEffffjfiS5_IjLj3EEiiiiiiiiiiiliiliiiiil ; -- Begin function _ZL15flash_attn_tileILi72ELi72ELi2ELi4ELb1EEvPKcS1_S1_S1_S1_PKiPfP15HIP_vector_typeIfLj2EEffffjfiS5_IjLj3EEiiiiiiiiiiiliiliiiiil
	.p2align	8
	.type	_ZL15flash_attn_tileILi72ELi72ELi2ELi4ELb1EEvPKcS1_S1_S1_S1_PKiPfP15HIP_vector_typeIfLj2EEffffjfiS5_IjLj3EEiiiiiiiiiiiliiliiiiil,@function
_ZL15flash_attn_tileILi72ELi72ELi2ELi4ELb1EEvPKcS1_S1_S1_S1_PKiPfP15HIP_vector_typeIfLj2EEffffjfiS5_IjLj3EEiiiiiiiiiiiliiliiiiil: ; @_ZL15flash_attn_tileILi72ELi72ELi2ELi4ELb1EEvPKcS1_S1_S1_S1_PKiPfP15HIP_vector_typeIfLj2EEffffjfiS5_IjLj3EEiiiiiiiiiiiliiliiiiil
; %bb.0:
	s_get_pc_i64 s[2:3]
	s_add_nc_u64 s[2:3], s[2:3], _ZL14no_device_codePKciS0_iS0_@rel64+4
	s_add_nc_u64 s[8:9], s[0:1], 0xd0
	s_mov_b32 s32, 0
	s_swap_pc_i64 s[30:31], s[2:3]
	.section	.rodata,"a",@progbits
	.p2align	6, 0x0
	.amdhsa_kernel _ZL15flash_attn_tileILi72ELi72ELi2ELi4ELb1EEvPKcS1_S1_S1_S1_PKiPfP15HIP_vector_typeIfLj2EEffffjfiS5_IjLj3EEiiiiiiiiiiiliiliiiiil
		.amdhsa_group_segment_fixed_size 0
		.amdhsa_private_segment_fixed_size 16
		.amdhsa_kernarg_size 464
		.amdhsa_user_sgpr_count 2
		.amdhsa_user_sgpr_dispatch_ptr 0
		.amdhsa_user_sgpr_queue_ptr 0
		.amdhsa_user_sgpr_kernarg_segment_ptr 1
		.amdhsa_user_sgpr_dispatch_id 0
		.amdhsa_user_sgpr_kernarg_preload_length 0
		.amdhsa_user_sgpr_kernarg_preload_offset 0
		.amdhsa_user_sgpr_private_segment_size 0
		.amdhsa_wavefront_size32 1
		.amdhsa_uses_dynamic_stack 0
		.amdhsa_enable_private_segment 1
		.amdhsa_system_sgpr_workgroup_id_x 1
		.amdhsa_system_sgpr_workgroup_id_y 0
		.amdhsa_system_sgpr_workgroup_id_z 0
		.amdhsa_system_sgpr_workgroup_info 0
		.amdhsa_system_vgpr_workitem_id 0
		.amdhsa_next_free_vgpr 50
		.amdhsa_next_free_sgpr 34
		.amdhsa_named_barrier_count 0
		.amdhsa_reserve_vcc 1
		.amdhsa_float_round_mode_32 0
		.amdhsa_float_round_mode_16_64 0
		.amdhsa_float_denorm_mode_32 3
		.amdhsa_float_denorm_mode_16_64 3
		.amdhsa_fp16_overflow 0
		.amdhsa_memory_ordered 1
		.amdhsa_forward_progress 1
		.amdhsa_inst_pref_size 1
		.amdhsa_round_robin_scheduling 0
		.amdhsa_exception_fp_ieee_invalid_op 0
		.amdhsa_exception_fp_denorm_src 0
		.amdhsa_exception_fp_ieee_div_zero 0
		.amdhsa_exception_fp_ieee_overflow 0
		.amdhsa_exception_fp_ieee_underflow 0
		.amdhsa_exception_fp_ieee_inexact 0
		.amdhsa_exception_int_div_zero 0
	.end_amdhsa_kernel
	.section	.text._ZL15flash_attn_tileILi72ELi72ELi2ELi4ELb1EEvPKcS1_S1_S1_S1_PKiPfP15HIP_vector_typeIfLj2EEffffjfiS5_IjLj3EEiiiiiiiiiiiliiliiiiil,"axG",@progbits,_ZL15flash_attn_tileILi72ELi72ELi2ELi4ELb1EEvPKcS1_S1_S1_S1_PKiPfP15HIP_vector_typeIfLj2EEffffjfiS5_IjLj3EEiiiiiiiiiiiliiliiiiil,comdat
.Lfunc_end81:
	.size	_ZL15flash_attn_tileILi72ELi72ELi2ELi4ELb1EEvPKcS1_S1_S1_S1_PKiPfP15HIP_vector_typeIfLj2EEffffjfiS5_IjLj3EEiiiiiiiiiiiliiliiiiil, .Lfunc_end81-_ZL15flash_attn_tileILi72ELi72ELi2ELi4ELb1EEvPKcS1_S1_S1_S1_PKiPfP15HIP_vector_typeIfLj2EEffffjfiS5_IjLj3EEiiiiiiiiiiiliiliiiiil
                                        ; -- End function
	.set _ZL15flash_attn_tileILi72ELi72ELi2ELi4ELb1EEvPKcS1_S1_S1_S1_PKiPfP15HIP_vector_typeIfLj2EEffffjfiS5_IjLj3EEiiiiiiiiiiiliiliiiiil.num_vgpr, max(0, .L_ZL14no_device_codePKciS0_iS0_.num_vgpr)
	.set _ZL15flash_attn_tileILi72ELi72ELi2ELi4ELb1EEvPKcS1_S1_S1_S1_PKiPfP15HIP_vector_typeIfLj2EEffffjfiS5_IjLj3EEiiiiiiiiiiiliiliiiiil.num_agpr, max(0, .L_ZL14no_device_codePKciS0_iS0_.num_agpr)
	.set _ZL15flash_attn_tileILi72ELi72ELi2ELi4ELb1EEvPKcS1_S1_S1_S1_PKiPfP15HIP_vector_typeIfLj2EEffffjfiS5_IjLj3EEiiiiiiiiiiiliiliiiiil.numbered_sgpr, max(33, .L_ZL14no_device_codePKciS0_iS0_.numbered_sgpr)
	.set _ZL15flash_attn_tileILi72ELi72ELi2ELi4ELb1EEvPKcS1_S1_S1_S1_PKiPfP15HIP_vector_typeIfLj2EEffffjfiS5_IjLj3EEiiiiiiiiiiiliiliiiiil.num_named_barrier, max(0, .L_ZL14no_device_codePKciS0_iS0_.num_named_barrier)
	.set _ZL15flash_attn_tileILi72ELi72ELi2ELi4ELb1EEvPKcS1_S1_S1_S1_PKiPfP15HIP_vector_typeIfLj2EEffffjfiS5_IjLj3EEiiiiiiiiiiiliiliiiiil.private_seg_size, 0+max(.L_ZL14no_device_codePKciS0_iS0_.private_seg_size)
	.set _ZL15flash_attn_tileILi72ELi72ELi2ELi4ELb1EEvPKcS1_S1_S1_S1_PKiPfP15HIP_vector_typeIfLj2EEffffjfiS5_IjLj3EEiiiiiiiiiiiliiliiiiil.uses_vcc, or(1, .L_ZL14no_device_codePKciS0_iS0_.uses_vcc)
	.set _ZL15flash_attn_tileILi72ELi72ELi2ELi4ELb1EEvPKcS1_S1_S1_S1_PKiPfP15HIP_vector_typeIfLj2EEffffjfiS5_IjLj3EEiiiiiiiiiiiliiliiiiil.uses_flat_scratch, or(0, .L_ZL14no_device_codePKciS0_iS0_.uses_flat_scratch)
	.set _ZL15flash_attn_tileILi72ELi72ELi2ELi4ELb1EEvPKcS1_S1_S1_S1_PKiPfP15HIP_vector_typeIfLj2EEffffjfiS5_IjLj3EEiiiiiiiiiiiliiliiiiil.has_dyn_sized_stack, or(0, .L_ZL14no_device_codePKciS0_iS0_.has_dyn_sized_stack)
	.set _ZL15flash_attn_tileILi72ELi72ELi2ELi4ELb1EEvPKcS1_S1_S1_S1_PKiPfP15HIP_vector_typeIfLj2EEffffjfiS5_IjLj3EEiiiiiiiiiiiliiliiiiil.has_recursion, or(0, .L_ZL14no_device_codePKciS0_iS0_.has_recursion)
	.set _ZL15flash_attn_tileILi72ELi72ELi2ELi4ELb1EEvPKcS1_S1_S1_S1_PKiPfP15HIP_vector_typeIfLj2EEffffjfiS5_IjLj3EEiiiiiiiiiiiliiliiiiil.has_indirect_call, or(0, .L_ZL14no_device_codePKciS0_iS0_.has_indirect_call)
	.section	.AMDGPU.csdata,"",@progbits
; Kernel info:
; codeLenInByte = 32
; TotalNumSgprs: 36
; NumVgprs: 50
; ScratchSize: 16
; MemoryBound: 0
; FloatMode: 240
; IeeeMode: 1
; LDSByteSize: 0 bytes/workgroup (compile time only)
; SGPRBlocks: 0
; VGPRBlocks: 3
; NumSGPRsForWavesPerEU: 36
; NumVGPRsForWavesPerEU: 50
; NamedBarCnt: 0
; Occupancy: 16
; WaveLimiterHint : 1
; COMPUTE_PGM_RSRC2:SCRATCH_EN: 1
; COMPUTE_PGM_RSRC2:USER_SGPR: 2
; COMPUTE_PGM_RSRC2:TRAP_HANDLER: 0
; COMPUTE_PGM_RSRC2:TGID_X_EN: 1
; COMPUTE_PGM_RSRC2:TGID_Y_EN: 0
; COMPUTE_PGM_RSRC2:TGID_Z_EN: 0
; COMPUTE_PGM_RSRC2:TIDIG_COMP_CNT: 0
	.section	.text._ZL15flash_attn_tileILi72ELi72ELi1ELi4ELb1EEvPKcS1_S1_S1_S1_PKiPfP15HIP_vector_typeIfLj2EEffffjfiS5_IjLj3EEiiiiiiiiiiiliiliiiiil,"axG",@progbits,_ZL15flash_attn_tileILi72ELi72ELi1ELi4ELb1EEvPKcS1_S1_S1_S1_PKiPfP15HIP_vector_typeIfLj2EEffffjfiS5_IjLj3EEiiiiiiiiiiiliiliiiiil,comdat
	.globl	_ZL15flash_attn_tileILi72ELi72ELi1ELi4ELb1EEvPKcS1_S1_S1_S1_PKiPfP15HIP_vector_typeIfLj2EEffffjfiS5_IjLj3EEiiiiiiiiiiiliiliiiiil ; -- Begin function _ZL15flash_attn_tileILi72ELi72ELi1ELi4ELb1EEvPKcS1_S1_S1_S1_PKiPfP15HIP_vector_typeIfLj2EEffffjfiS5_IjLj3EEiiiiiiiiiiiliiliiiiil
	.p2align	8
	.type	_ZL15flash_attn_tileILi72ELi72ELi1ELi4ELb1EEvPKcS1_S1_S1_S1_PKiPfP15HIP_vector_typeIfLj2EEffffjfiS5_IjLj3EEiiiiiiiiiiiliiliiiiil,@function
_ZL15flash_attn_tileILi72ELi72ELi1ELi4ELb1EEvPKcS1_S1_S1_S1_PKiPfP15HIP_vector_typeIfLj2EEffffjfiS5_IjLj3EEiiiiiiiiiiiliiliiiiil: ; @_ZL15flash_attn_tileILi72ELi72ELi1ELi4ELb1EEvPKcS1_S1_S1_S1_PKiPfP15HIP_vector_typeIfLj2EEffffjfiS5_IjLj3EEiiiiiiiiiiiliiliiiiil
; %bb.0:
	s_get_pc_i64 s[2:3]
	s_add_nc_u64 s[2:3], s[2:3], _ZL14no_device_codePKciS0_iS0_@rel64+4
	s_add_nc_u64 s[8:9], s[0:1], 0xd0
	s_mov_b32 s32, 0
	s_swap_pc_i64 s[30:31], s[2:3]
	.section	.rodata,"a",@progbits
	.p2align	6, 0x0
	.amdhsa_kernel _ZL15flash_attn_tileILi72ELi72ELi1ELi4ELb1EEvPKcS1_S1_S1_S1_PKiPfP15HIP_vector_typeIfLj2EEffffjfiS5_IjLj3EEiiiiiiiiiiiliiliiiiil
		.amdhsa_group_segment_fixed_size 0
		.amdhsa_private_segment_fixed_size 16
		.amdhsa_kernarg_size 464
		.amdhsa_user_sgpr_count 2
		.amdhsa_user_sgpr_dispatch_ptr 0
		.amdhsa_user_sgpr_queue_ptr 0
		.amdhsa_user_sgpr_kernarg_segment_ptr 1
		.amdhsa_user_sgpr_dispatch_id 0
		.amdhsa_user_sgpr_kernarg_preload_length 0
		.amdhsa_user_sgpr_kernarg_preload_offset 0
		.amdhsa_user_sgpr_private_segment_size 0
		.amdhsa_wavefront_size32 1
		.amdhsa_uses_dynamic_stack 0
		.amdhsa_enable_private_segment 1
		.amdhsa_system_sgpr_workgroup_id_x 1
		.amdhsa_system_sgpr_workgroup_id_y 0
		.amdhsa_system_sgpr_workgroup_id_z 0
		.amdhsa_system_sgpr_workgroup_info 0
		.amdhsa_system_vgpr_workitem_id 0
		.amdhsa_next_free_vgpr 50
		.amdhsa_next_free_sgpr 34
		.amdhsa_named_barrier_count 0
		.amdhsa_reserve_vcc 1
		.amdhsa_float_round_mode_32 0
		.amdhsa_float_round_mode_16_64 0
		.amdhsa_float_denorm_mode_32 3
		.amdhsa_float_denorm_mode_16_64 3
		.amdhsa_fp16_overflow 0
		.amdhsa_memory_ordered 1
		.amdhsa_forward_progress 1
		.amdhsa_inst_pref_size 1
		.amdhsa_round_robin_scheduling 0
		.amdhsa_exception_fp_ieee_invalid_op 0
		.amdhsa_exception_fp_denorm_src 0
		.amdhsa_exception_fp_ieee_div_zero 0
		.amdhsa_exception_fp_ieee_overflow 0
		.amdhsa_exception_fp_ieee_underflow 0
		.amdhsa_exception_fp_ieee_inexact 0
		.amdhsa_exception_int_div_zero 0
	.end_amdhsa_kernel
	.section	.text._ZL15flash_attn_tileILi72ELi72ELi1ELi4ELb1EEvPKcS1_S1_S1_S1_PKiPfP15HIP_vector_typeIfLj2EEffffjfiS5_IjLj3EEiiiiiiiiiiiliiliiiiil,"axG",@progbits,_ZL15flash_attn_tileILi72ELi72ELi1ELi4ELb1EEvPKcS1_S1_S1_S1_PKiPfP15HIP_vector_typeIfLj2EEffffjfiS5_IjLj3EEiiiiiiiiiiiliiliiiiil,comdat
.Lfunc_end82:
	.size	_ZL15flash_attn_tileILi72ELi72ELi1ELi4ELb1EEvPKcS1_S1_S1_S1_PKiPfP15HIP_vector_typeIfLj2EEffffjfiS5_IjLj3EEiiiiiiiiiiiliiliiiiil, .Lfunc_end82-_ZL15flash_attn_tileILi72ELi72ELi1ELi4ELb1EEvPKcS1_S1_S1_S1_PKiPfP15HIP_vector_typeIfLj2EEffffjfiS5_IjLj3EEiiiiiiiiiiiliiliiiiil
                                        ; -- End function
	.set _ZL15flash_attn_tileILi72ELi72ELi1ELi4ELb1EEvPKcS1_S1_S1_S1_PKiPfP15HIP_vector_typeIfLj2EEffffjfiS5_IjLj3EEiiiiiiiiiiiliiliiiiil.num_vgpr, max(0, .L_ZL14no_device_codePKciS0_iS0_.num_vgpr)
	.set _ZL15flash_attn_tileILi72ELi72ELi1ELi4ELb1EEvPKcS1_S1_S1_S1_PKiPfP15HIP_vector_typeIfLj2EEffffjfiS5_IjLj3EEiiiiiiiiiiiliiliiiiil.num_agpr, max(0, .L_ZL14no_device_codePKciS0_iS0_.num_agpr)
	.set _ZL15flash_attn_tileILi72ELi72ELi1ELi4ELb1EEvPKcS1_S1_S1_S1_PKiPfP15HIP_vector_typeIfLj2EEffffjfiS5_IjLj3EEiiiiiiiiiiiliiliiiiil.numbered_sgpr, max(33, .L_ZL14no_device_codePKciS0_iS0_.numbered_sgpr)
	.set _ZL15flash_attn_tileILi72ELi72ELi1ELi4ELb1EEvPKcS1_S1_S1_S1_PKiPfP15HIP_vector_typeIfLj2EEffffjfiS5_IjLj3EEiiiiiiiiiiiliiliiiiil.num_named_barrier, max(0, .L_ZL14no_device_codePKciS0_iS0_.num_named_barrier)
	.set _ZL15flash_attn_tileILi72ELi72ELi1ELi4ELb1EEvPKcS1_S1_S1_S1_PKiPfP15HIP_vector_typeIfLj2EEffffjfiS5_IjLj3EEiiiiiiiiiiiliiliiiiil.private_seg_size, 0+max(.L_ZL14no_device_codePKciS0_iS0_.private_seg_size)
	.set _ZL15flash_attn_tileILi72ELi72ELi1ELi4ELb1EEvPKcS1_S1_S1_S1_PKiPfP15HIP_vector_typeIfLj2EEffffjfiS5_IjLj3EEiiiiiiiiiiiliiliiiiil.uses_vcc, or(1, .L_ZL14no_device_codePKciS0_iS0_.uses_vcc)
	.set _ZL15flash_attn_tileILi72ELi72ELi1ELi4ELb1EEvPKcS1_S1_S1_S1_PKiPfP15HIP_vector_typeIfLj2EEffffjfiS5_IjLj3EEiiiiiiiiiiiliiliiiiil.uses_flat_scratch, or(0, .L_ZL14no_device_codePKciS0_iS0_.uses_flat_scratch)
	.set _ZL15flash_attn_tileILi72ELi72ELi1ELi4ELb1EEvPKcS1_S1_S1_S1_PKiPfP15HIP_vector_typeIfLj2EEffffjfiS5_IjLj3EEiiiiiiiiiiiliiliiiiil.has_dyn_sized_stack, or(0, .L_ZL14no_device_codePKciS0_iS0_.has_dyn_sized_stack)
	.set _ZL15flash_attn_tileILi72ELi72ELi1ELi4ELb1EEvPKcS1_S1_S1_S1_PKiPfP15HIP_vector_typeIfLj2EEffffjfiS5_IjLj3EEiiiiiiiiiiiliiliiiiil.has_recursion, or(0, .L_ZL14no_device_codePKciS0_iS0_.has_recursion)
	.set _ZL15flash_attn_tileILi72ELi72ELi1ELi4ELb1EEvPKcS1_S1_S1_S1_PKiPfP15HIP_vector_typeIfLj2EEffffjfiS5_IjLj3EEiiiiiiiiiiiliiliiiiil.has_indirect_call, or(0, .L_ZL14no_device_codePKciS0_iS0_.has_indirect_call)
	.section	.AMDGPU.csdata,"",@progbits
; Kernel info:
; codeLenInByte = 32
; TotalNumSgprs: 36
; NumVgprs: 50
; ScratchSize: 16
; MemoryBound: 0
; FloatMode: 240
; IeeeMode: 1
; LDSByteSize: 0 bytes/workgroup (compile time only)
; SGPRBlocks: 0
; VGPRBlocks: 3
; NumSGPRsForWavesPerEU: 36
; NumVGPRsForWavesPerEU: 50
; NamedBarCnt: 0
; Occupancy: 16
; WaveLimiterHint : 1
; COMPUTE_PGM_RSRC2:SCRATCH_EN: 1
; COMPUTE_PGM_RSRC2:USER_SGPR: 2
; COMPUTE_PGM_RSRC2:TRAP_HANDLER: 0
; COMPUTE_PGM_RSRC2:TGID_X_EN: 1
; COMPUTE_PGM_RSRC2:TGID_Y_EN: 0
; COMPUTE_PGM_RSRC2:TGID_Z_EN: 0
; COMPUTE_PGM_RSRC2:TIDIG_COMP_CNT: 0
	.section	.text._ZL15flash_attn_tileILi72ELi72ELi32ELi2ELb1EEvPKcS1_S1_S1_S1_PKiPfP15HIP_vector_typeIfLj2EEffffjfiS5_IjLj3EEiiiiiiiiiiiliiliiiiil,"axG",@progbits,_ZL15flash_attn_tileILi72ELi72ELi32ELi2ELb1EEvPKcS1_S1_S1_S1_PKiPfP15HIP_vector_typeIfLj2EEffffjfiS5_IjLj3EEiiiiiiiiiiiliiliiiiil,comdat
	.globl	_ZL15flash_attn_tileILi72ELi72ELi32ELi2ELb1EEvPKcS1_S1_S1_S1_PKiPfP15HIP_vector_typeIfLj2EEffffjfiS5_IjLj3EEiiiiiiiiiiiliiliiiiil ; -- Begin function _ZL15flash_attn_tileILi72ELi72ELi32ELi2ELb1EEvPKcS1_S1_S1_S1_PKiPfP15HIP_vector_typeIfLj2EEffffjfiS5_IjLj3EEiiiiiiiiiiiliiliiiiil
	.p2align	8
	.type	_ZL15flash_attn_tileILi72ELi72ELi32ELi2ELb1EEvPKcS1_S1_S1_S1_PKiPfP15HIP_vector_typeIfLj2EEffffjfiS5_IjLj3EEiiiiiiiiiiiliiliiiiil,@function
_ZL15flash_attn_tileILi72ELi72ELi32ELi2ELb1EEvPKcS1_S1_S1_S1_PKiPfP15HIP_vector_typeIfLj2EEffffjfiS5_IjLj3EEiiiiiiiiiiiliiliiiiil: ; @_ZL15flash_attn_tileILi72ELi72ELi32ELi2ELb1EEvPKcS1_S1_S1_S1_PKiPfP15HIP_vector_typeIfLj2EEffffjfiS5_IjLj3EEiiiiiiiiiiiliiliiiiil
; %bb.0:
	s_get_pc_i64 s[2:3]
	s_add_nc_u64 s[2:3], s[2:3], _ZL14no_device_codePKciS0_iS0_@rel64+4
	s_add_nc_u64 s[8:9], s[0:1], 0xd0
	s_mov_b32 s32, 0
	s_swap_pc_i64 s[30:31], s[2:3]
	.section	.rodata,"a",@progbits
	.p2align	6, 0x0
	.amdhsa_kernel _ZL15flash_attn_tileILi72ELi72ELi32ELi2ELb1EEvPKcS1_S1_S1_S1_PKiPfP15HIP_vector_typeIfLj2EEffffjfiS5_IjLj3EEiiiiiiiiiiiliiliiiiil
		.amdhsa_group_segment_fixed_size 0
		.amdhsa_private_segment_fixed_size 16
		.amdhsa_kernarg_size 464
		.amdhsa_user_sgpr_count 2
		.amdhsa_user_sgpr_dispatch_ptr 0
		.amdhsa_user_sgpr_queue_ptr 0
		.amdhsa_user_sgpr_kernarg_segment_ptr 1
		.amdhsa_user_sgpr_dispatch_id 0
		.amdhsa_user_sgpr_kernarg_preload_length 0
		.amdhsa_user_sgpr_kernarg_preload_offset 0
		.amdhsa_user_sgpr_private_segment_size 0
		.amdhsa_wavefront_size32 1
		.amdhsa_uses_dynamic_stack 0
		.amdhsa_enable_private_segment 1
		.amdhsa_system_sgpr_workgroup_id_x 1
		.amdhsa_system_sgpr_workgroup_id_y 0
		.amdhsa_system_sgpr_workgroup_id_z 0
		.amdhsa_system_sgpr_workgroup_info 0
		.amdhsa_system_vgpr_workitem_id 0
		.amdhsa_next_free_vgpr 50
		.amdhsa_next_free_sgpr 34
		.amdhsa_named_barrier_count 0
		.amdhsa_reserve_vcc 1
		.amdhsa_float_round_mode_32 0
		.amdhsa_float_round_mode_16_64 0
		.amdhsa_float_denorm_mode_32 3
		.amdhsa_float_denorm_mode_16_64 3
		.amdhsa_fp16_overflow 0
		.amdhsa_memory_ordered 1
		.amdhsa_forward_progress 1
		.amdhsa_inst_pref_size 1
		.amdhsa_round_robin_scheduling 0
		.amdhsa_exception_fp_ieee_invalid_op 0
		.amdhsa_exception_fp_denorm_src 0
		.amdhsa_exception_fp_ieee_div_zero 0
		.amdhsa_exception_fp_ieee_overflow 0
		.amdhsa_exception_fp_ieee_underflow 0
		.amdhsa_exception_fp_ieee_inexact 0
		.amdhsa_exception_int_div_zero 0
	.end_amdhsa_kernel
	.section	.text._ZL15flash_attn_tileILi72ELi72ELi32ELi2ELb1EEvPKcS1_S1_S1_S1_PKiPfP15HIP_vector_typeIfLj2EEffffjfiS5_IjLj3EEiiiiiiiiiiiliiliiiiil,"axG",@progbits,_ZL15flash_attn_tileILi72ELi72ELi32ELi2ELb1EEvPKcS1_S1_S1_S1_PKiPfP15HIP_vector_typeIfLj2EEffffjfiS5_IjLj3EEiiiiiiiiiiiliiliiiiil,comdat
.Lfunc_end83:
	.size	_ZL15flash_attn_tileILi72ELi72ELi32ELi2ELb1EEvPKcS1_S1_S1_S1_PKiPfP15HIP_vector_typeIfLj2EEffffjfiS5_IjLj3EEiiiiiiiiiiiliiliiiiil, .Lfunc_end83-_ZL15flash_attn_tileILi72ELi72ELi32ELi2ELb1EEvPKcS1_S1_S1_S1_PKiPfP15HIP_vector_typeIfLj2EEffffjfiS5_IjLj3EEiiiiiiiiiiiliiliiiiil
                                        ; -- End function
	.set _ZL15flash_attn_tileILi72ELi72ELi32ELi2ELb1EEvPKcS1_S1_S1_S1_PKiPfP15HIP_vector_typeIfLj2EEffffjfiS5_IjLj3EEiiiiiiiiiiiliiliiiiil.num_vgpr, max(0, .L_ZL14no_device_codePKciS0_iS0_.num_vgpr)
	.set _ZL15flash_attn_tileILi72ELi72ELi32ELi2ELb1EEvPKcS1_S1_S1_S1_PKiPfP15HIP_vector_typeIfLj2EEffffjfiS5_IjLj3EEiiiiiiiiiiiliiliiiiil.num_agpr, max(0, .L_ZL14no_device_codePKciS0_iS0_.num_agpr)
	.set _ZL15flash_attn_tileILi72ELi72ELi32ELi2ELb1EEvPKcS1_S1_S1_S1_PKiPfP15HIP_vector_typeIfLj2EEffffjfiS5_IjLj3EEiiiiiiiiiiiliiliiiiil.numbered_sgpr, max(33, .L_ZL14no_device_codePKciS0_iS0_.numbered_sgpr)
	.set _ZL15flash_attn_tileILi72ELi72ELi32ELi2ELb1EEvPKcS1_S1_S1_S1_PKiPfP15HIP_vector_typeIfLj2EEffffjfiS5_IjLj3EEiiiiiiiiiiiliiliiiiil.num_named_barrier, max(0, .L_ZL14no_device_codePKciS0_iS0_.num_named_barrier)
	.set _ZL15flash_attn_tileILi72ELi72ELi32ELi2ELb1EEvPKcS1_S1_S1_S1_PKiPfP15HIP_vector_typeIfLj2EEffffjfiS5_IjLj3EEiiiiiiiiiiiliiliiiiil.private_seg_size, 0+max(.L_ZL14no_device_codePKciS0_iS0_.private_seg_size)
	.set _ZL15flash_attn_tileILi72ELi72ELi32ELi2ELb1EEvPKcS1_S1_S1_S1_PKiPfP15HIP_vector_typeIfLj2EEffffjfiS5_IjLj3EEiiiiiiiiiiiliiliiiiil.uses_vcc, or(1, .L_ZL14no_device_codePKciS0_iS0_.uses_vcc)
	.set _ZL15flash_attn_tileILi72ELi72ELi32ELi2ELb1EEvPKcS1_S1_S1_S1_PKiPfP15HIP_vector_typeIfLj2EEffffjfiS5_IjLj3EEiiiiiiiiiiiliiliiiiil.uses_flat_scratch, or(0, .L_ZL14no_device_codePKciS0_iS0_.uses_flat_scratch)
	.set _ZL15flash_attn_tileILi72ELi72ELi32ELi2ELb1EEvPKcS1_S1_S1_S1_PKiPfP15HIP_vector_typeIfLj2EEffffjfiS5_IjLj3EEiiiiiiiiiiiliiliiiiil.has_dyn_sized_stack, or(0, .L_ZL14no_device_codePKciS0_iS0_.has_dyn_sized_stack)
	.set _ZL15flash_attn_tileILi72ELi72ELi32ELi2ELb1EEvPKcS1_S1_S1_S1_PKiPfP15HIP_vector_typeIfLj2EEffffjfiS5_IjLj3EEiiiiiiiiiiiliiliiiiil.has_recursion, or(0, .L_ZL14no_device_codePKciS0_iS0_.has_recursion)
	.set _ZL15flash_attn_tileILi72ELi72ELi32ELi2ELb1EEvPKcS1_S1_S1_S1_PKiPfP15HIP_vector_typeIfLj2EEffffjfiS5_IjLj3EEiiiiiiiiiiiliiliiiiil.has_indirect_call, or(0, .L_ZL14no_device_codePKciS0_iS0_.has_indirect_call)
	.section	.AMDGPU.csdata,"",@progbits
; Kernel info:
; codeLenInByte = 32
; TotalNumSgprs: 36
; NumVgprs: 50
; ScratchSize: 16
; MemoryBound: 0
; FloatMode: 240
; IeeeMode: 1
; LDSByteSize: 0 bytes/workgroup (compile time only)
; SGPRBlocks: 0
; VGPRBlocks: 3
; NumSGPRsForWavesPerEU: 36
; NumVGPRsForWavesPerEU: 50
; NamedBarCnt: 0
; Occupancy: 16
; WaveLimiterHint : 1
; COMPUTE_PGM_RSRC2:SCRATCH_EN: 1
; COMPUTE_PGM_RSRC2:USER_SGPR: 2
; COMPUTE_PGM_RSRC2:TRAP_HANDLER: 0
; COMPUTE_PGM_RSRC2:TGID_X_EN: 1
; COMPUTE_PGM_RSRC2:TGID_Y_EN: 0
; COMPUTE_PGM_RSRC2:TGID_Z_EN: 0
; COMPUTE_PGM_RSRC2:TIDIG_COMP_CNT: 0
	.section	.text._ZL15flash_attn_tileILi72ELi72ELi16ELi2ELb1EEvPKcS1_S1_S1_S1_PKiPfP15HIP_vector_typeIfLj2EEffffjfiS5_IjLj3EEiiiiiiiiiiiliiliiiiil,"axG",@progbits,_ZL15flash_attn_tileILi72ELi72ELi16ELi2ELb1EEvPKcS1_S1_S1_S1_PKiPfP15HIP_vector_typeIfLj2EEffffjfiS5_IjLj3EEiiiiiiiiiiiliiliiiiil,comdat
	.globl	_ZL15flash_attn_tileILi72ELi72ELi16ELi2ELb1EEvPKcS1_S1_S1_S1_PKiPfP15HIP_vector_typeIfLj2EEffffjfiS5_IjLj3EEiiiiiiiiiiiliiliiiiil ; -- Begin function _ZL15flash_attn_tileILi72ELi72ELi16ELi2ELb1EEvPKcS1_S1_S1_S1_PKiPfP15HIP_vector_typeIfLj2EEffffjfiS5_IjLj3EEiiiiiiiiiiiliiliiiiil
	.p2align	8
	.type	_ZL15flash_attn_tileILi72ELi72ELi16ELi2ELb1EEvPKcS1_S1_S1_S1_PKiPfP15HIP_vector_typeIfLj2EEffffjfiS5_IjLj3EEiiiiiiiiiiiliiliiiiil,@function
_ZL15flash_attn_tileILi72ELi72ELi16ELi2ELb1EEvPKcS1_S1_S1_S1_PKiPfP15HIP_vector_typeIfLj2EEffffjfiS5_IjLj3EEiiiiiiiiiiiliiliiiiil: ; @_ZL15flash_attn_tileILi72ELi72ELi16ELi2ELb1EEvPKcS1_S1_S1_S1_PKiPfP15HIP_vector_typeIfLj2EEffffjfiS5_IjLj3EEiiiiiiiiiiiliiliiiiil
; %bb.0:
	s_get_pc_i64 s[2:3]
	s_add_nc_u64 s[2:3], s[2:3], _ZL14no_device_codePKciS0_iS0_@rel64+4
	s_add_nc_u64 s[8:9], s[0:1], 0xd0
	s_mov_b32 s32, 0
	s_swap_pc_i64 s[30:31], s[2:3]
	.section	.rodata,"a",@progbits
	.p2align	6, 0x0
	.amdhsa_kernel _ZL15flash_attn_tileILi72ELi72ELi16ELi2ELb1EEvPKcS1_S1_S1_S1_PKiPfP15HIP_vector_typeIfLj2EEffffjfiS5_IjLj3EEiiiiiiiiiiiliiliiiiil
		.amdhsa_group_segment_fixed_size 0
		.amdhsa_private_segment_fixed_size 16
		.amdhsa_kernarg_size 464
		.amdhsa_user_sgpr_count 2
		.amdhsa_user_sgpr_dispatch_ptr 0
		.amdhsa_user_sgpr_queue_ptr 0
		.amdhsa_user_sgpr_kernarg_segment_ptr 1
		.amdhsa_user_sgpr_dispatch_id 0
		.amdhsa_user_sgpr_kernarg_preload_length 0
		.amdhsa_user_sgpr_kernarg_preload_offset 0
		.amdhsa_user_sgpr_private_segment_size 0
		.amdhsa_wavefront_size32 1
		.amdhsa_uses_dynamic_stack 0
		.amdhsa_enable_private_segment 1
		.amdhsa_system_sgpr_workgroup_id_x 1
		.amdhsa_system_sgpr_workgroup_id_y 0
		.amdhsa_system_sgpr_workgroup_id_z 0
		.amdhsa_system_sgpr_workgroup_info 0
		.amdhsa_system_vgpr_workitem_id 0
		.amdhsa_next_free_vgpr 50
		.amdhsa_next_free_sgpr 34
		.amdhsa_named_barrier_count 0
		.amdhsa_reserve_vcc 1
		.amdhsa_float_round_mode_32 0
		.amdhsa_float_round_mode_16_64 0
		.amdhsa_float_denorm_mode_32 3
		.amdhsa_float_denorm_mode_16_64 3
		.amdhsa_fp16_overflow 0
		.amdhsa_memory_ordered 1
		.amdhsa_forward_progress 1
		.amdhsa_inst_pref_size 1
		.amdhsa_round_robin_scheduling 0
		.amdhsa_exception_fp_ieee_invalid_op 0
		.amdhsa_exception_fp_denorm_src 0
		.amdhsa_exception_fp_ieee_div_zero 0
		.amdhsa_exception_fp_ieee_overflow 0
		.amdhsa_exception_fp_ieee_underflow 0
		.amdhsa_exception_fp_ieee_inexact 0
		.amdhsa_exception_int_div_zero 0
	.end_amdhsa_kernel
	.section	.text._ZL15flash_attn_tileILi72ELi72ELi16ELi2ELb1EEvPKcS1_S1_S1_S1_PKiPfP15HIP_vector_typeIfLj2EEffffjfiS5_IjLj3EEiiiiiiiiiiiliiliiiiil,"axG",@progbits,_ZL15flash_attn_tileILi72ELi72ELi16ELi2ELb1EEvPKcS1_S1_S1_S1_PKiPfP15HIP_vector_typeIfLj2EEffffjfiS5_IjLj3EEiiiiiiiiiiiliiliiiiil,comdat
.Lfunc_end84:
	.size	_ZL15flash_attn_tileILi72ELi72ELi16ELi2ELb1EEvPKcS1_S1_S1_S1_PKiPfP15HIP_vector_typeIfLj2EEffffjfiS5_IjLj3EEiiiiiiiiiiiliiliiiiil, .Lfunc_end84-_ZL15flash_attn_tileILi72ELi72ELi16ELi2ELb1EEvPKcS1_S1_S1_S1_PKiPfP15HIP_vector_typeIfLj2EEffffjfiS5_IjLj3EEiiiiiiiiiiiliiliiiiil
                                        ; -- End function
	.set _ZL15flash_attn_tileILi72ELi72ELi16ELi2ELb1EEvPKcS1_S1_S1_S1_PKiPfP15HIP_vector_typeIfLj2EEffffjfiS5_IjLj3EEiiiiiiiiiiiliiliiiiil.num_vgpr, max(0, .L_ZL14no_device_codePKciS0_iS0_.num_vgpr)
	.set _ZL15flash_attn_tileILi72ELi72ELi16ELi2ELb1EEvPKcS1_S1_S1_S1_PKiPfP15HIP_vector_typeIfLj2EEffffjfiS5_IjLj3EEiiiiiiiiiiiliiliiiiil.num_agpr, max(0, .L_ZL14no_device_codePKciS0_iS0_.num_agpr)
	.set _ZL15flash_attn_tileILi72ELi72ELi16ELi2ELb1EEvPKcS1_S1_S1_S1_PKiPfP15HIP_vector_typeIfLj2EEffffjfiS5_IjLj3EEiiiiiiiiiiiliiliiiiil.numbered_sgpr, max(33, .L_ZL14no_device_codePKciS0_iS0_.numbered_sgpr)
	.set _ZL15flash_attn_tileILi72ELi72ELi16ELi2ELb1EEvPKcS1_S1_S1_S1_PKiPfP15HIP_vector_typeIfLj2EEffffjfiS5_IjLj3EEiiiiiiiiiiiliiliiiiil.num_named_barrier, max(0, .L_ZL14no_device_codePKciS0_iS0_.num_named_barrier)
	.set _ZL15flash_attn_tileILi72ELi72ELi16ELi2ELb1EEvPKcS1_S1_S1_S1_PKiPfP15HIP_vector_typeIfLj2EEffffjfiS5_IjLj3EEiiiiiiiiiiiliiliiiiil.private_seg_size, 0+max(.L_ZL14no_device_codePKciS0_iS0_.private_seg_size)
	.set _ZL15flash_attn_tileILi72ELi72ELi16ELi2ELb1EEvPKcS1_S1_S1_S1_PKiPfP15HIP_vector_typeIfLj2EEffffjfiS5_IjLj3EEiiiiiiiiiiiliiliiiiil.uses_vcc, or(1, .L_ZL14no_device_codePKciS0_iS0_.uses_vcc)
	.set _ZL15flash_attn_tileILi72ELi72ELi16ELi2ELb1EEvPKcS1_S1_S1_S1_PKiPfP15HIP_vector_typeIfLj2EEffffjfiS5_IjLj3EEiiiiiiiiiiiliiliiiiil.uses_flat_scratch, or(0, .L_ZL14no_device_codePKciS0_iS0_.uses_flat_scratch)
	.set _ZL15flash_attn_tileILi72ELi72ELi16ELi2ELb1EEvPKcS1_S1_S1_S1_PKiPfP15HIP_vector_typeIfLj2EEffffjfiS5_IjLj3EEiiiiiiiiiiiliiliiiiil.has_dyn_sized_stack, or(0, .L_ZL14no_device_codePKciS0_iS0_.has_dyn_sized_stack)
	.set _ZL15flash_attn_tileILi72ELi72ELi16ELi2ELb1EEvPKcS1_S1_S1_S1_PKiPfP15HIP_vector_typeIfLj2EEffffjfiS5_IjLj3EEiiiiiiiiiiiliiliiiiil.has_recursion, or(0, .L_ZL14no_device_codePKciS0_iS0_.has_recursion)
	.set _ZL15flash_attn_tileILi72ELi72ELi16ELi2ELb1EEvPKcS1_S1_S1_S1_PKiPfP15HIP_vector_typeIfLj2EEffffjfiS5_IjLj3EEiiiiiiiiiiiliiliiiiil.has_indirect_call, or(0, .L_ZL14no_device_codePKciS0_iS0_.has_indirect_call)
	.section	.AMDGPU.csdata,"",@progbits
; Kernel info:
; codeLenInByte = 32
; TotalNumSgprs: 36
; NumVgprs: 50
; ScratchSize: 16
; MemoryBound: 0
; FloatMode: 240
; IeeeMode: 1
; LDSByteSize: 0 bytes/workgroup (compile time only)
; SGPRBlocks: 0
; VGPRBlocks: 3
; NumSGPRsForWavesPerEU: 36
; NumVGPRsForWavesPerEU: 50
; NamedBarCnt: 0
; Occupancy: 16
; WaveLimiterHint : 1
; COMPUTE_PGM_RSRC2:SCRATCH_EN: 1
; COMPUTE_PGM_RSRC2:USER_SGPR: 2
; COMPUTE_PGM_RSRC2:TRAP_HANDLER: 0
; COMPUTE_PGM_RSRC2:TGID_X_EN: 1
; COMPUTE_PGM_RSRC2:TGID_Y_EN: 0
; COMPUTE_PGM_RSRC2:TGID_Z_EN: 0
; COMPUTE_PGM_RSRC2:TIDIG_COMP_CNT: 0
	.section	.text._ZL15flash_attn_tileILi72ELi72ELi8ELi2ELb1EEvPKcS1_S1_S1_S1_PKiPfP15HIP_vector_typeIfLj2EEffffjfiS5_IjLj3EEiiiiiiiiiiiliiliiiiil,"axG",@progbits,_ZL15flash_attn_tileILi72ELi72ELi8ELi2ELb1EEvPKcS1_S1_S1_S1_PKiPfP15HIP_vector_typeIfLj2EEffffjfiS5_IjLj3EEiiiiiiiiiiiliiliiiiil,comdat
	.globl	_ZL15flash_attn_tileILi72ELi72ELi8ELi2ELb1EEvPKcS1_S1_S1_S1_PKiPfP15HIP_vector_typeIfLj2EEffffjfiS5_IjLj3EEiiiiiiiiiiiliiliiiiil ; -- Begin function _ZL15flash_attn_tileILi72ELi72ELi8ELi2ELb1EEvPKcS1_S1_S1_S1_PKiPfP15HIP_vector_typeIfLj2EEffffjfiS5_IjLj3EEiiiiiiiiiiiliiliiiiil
	.p2align	8
	.type	_ZL15flash_attn_tileILi72ELi72ELi8ELi2ELb1EEvPKcS1_S1_S1_S1_PKiPfP15HIP_vector_typeIfLj2EEffffjfiS5_IjLj3EEiiiiiiiiiiiliiliiiiil,@function
_ZL15flash_attn_tileILi72ELi72ELi8ELi2ELb1EEvPKcS1_S1_S1_S1_PKiPfP15HIP_vector_typeIfLj2EEffffjfiS5_IjLj3EEiiiiiiiiiiiliiliiiiil: ; @_ZL15flash_attn_tileILi72ELi72ELi8ELi2ELb1EEvPKcS1_S1_S1_S1_PKiPfP15HIP_vector_typeIfLj2EEffffjfiS5_IjLj3EEiiiiiiiiiiiliiliiiiil
; %bb.0:
	s_get_pc_i64 s[2:3]
	s_add_nc_u64 s[2:3], s[2:3], _ZL14no_device_codePKciS0_iS0_@rel64+4
	s_add_nc_u64 s[8:9], s[0:1], 0xd0
	s_mov_b32 s32, 0
	s_swap_pc_i64 s[30:31], s[2:3]
	.section	.rodata,"a",@progbits
	.p2align	6, 0x0
	.amdhsa_kernel _ZL15flash_attn_tileILi72ELi72ELi8ELi2ELb1EEvPKcS1_S1_S1_S1_PKiPfP15HIP_vector_typeIfLj2EEffffjfiS5_IjLj3EEiiiiiiiiiiiliiliiiiil
		.amdhsa_group_segment_fixed_size 0
		.amdhsa_private_segment_fixed_size 16
		.amdhsa_kernarg_size 464
		.amdhsa_user_sgpr_count 2
		.amdhsa_user_sgpr_dispatch_ptr 0
		.amdhsa_user_sgpr_queue_ptr 0
		.amdhsa_user_sgpr_kernarg_segment_ptr 1
		.amdhsa_user_sgpr_dispatch_id 0
		.amdhsa_user_sgpr_kernarg_preload_length 0
		.amdhsa_user_sgpr_kernarg_preload_offset 0
		.amdhsa_user_sgpr_private_segment_size 0
		.amdhsa_wavefront_size32 1
		.amdhsa_uses_dynamic_stack 0
		.amdhsa_enable_private_segment 1
		.amdhsa_system_sgpr_workgroup_id_x 1
		.amdhsa_system_sgpr_workgroup_id_y 0
		.amdhsa_system_sgpr_workgroup_id_z 0
		.amdhsa_system_sgpr_workgroup_info 0
		.amdhsa_system_vgpr_workitem_id 0
		.amdhsa_next_free_vgpr 50
		.amdhsa_next_free_sgpr 34
		.amdhsa_named_barrier_count 0
		.amdhsa_reserve_vcc 1
		.amdhsa_float_round_mode_32 0
		.amdhsa_float_round_mode_16_64 0
		.amdhsa_float_denorm_mode_32 3
		.amdhsa_float_denorm_mode_16_64 3
		.amdhsa_fp16_overflow 0
		.amdhsa_memory_ordered 1
		.amdhsa_forward_progress 1
		.amdhsa_inst_pref_size 1
		.amdhsa_round_robin_scheduling 0
		.amdhsa_exception_fp_ieee_invalid_op 0
		.amdhsa_exception_fp_denorm_src 0
		.amdhsa_exception_fp_ieee_div_zero 0
		.amdhsa_exception_fp_ieee_overflow 0
		.amdhsa_exception_fp_ieee_underflow 0
		.amdhsa_exception_fp_ieee_inexact 0
		.amdhsa_exception_int_div_zero 0
	.end_amdhsa_kernel
	.section	.text._ZL15flash_attn_tileILi72ELi72ELi8ELi2ELb1EEvPKcS1_S1_S1_S1_PKiPfP15HIP_vector_typeIfLj2EEffffjfiS5_IjLj3EEiiiiiiiiiiiliiliiiiil,"axG",@progbits,_ZL15flash_attn_tileILi72ELi72ELi8ELi2ELb1EEvPKcS1_S1_S1_S1_PKiPfP15HIP_vector_typeIfLj2EEffffjfiS5_IjLj3EEiiiiiiiiiiiliiliiiiil,comdat
.Lfunc_end85:
	.size	_ZL15flash_attn_tileILi72ELi72ELi8ELi2ELb1EEvPKcS1_S1_S1_S1_PKiPfP15HIP_vector_typeIfLj2EEffffjfiS5_IjLj3EEiiiiiiiiiiiliiliiiiil, .Lfunc_end85-_ZL15flash_attn_tileILi72ELi72ELi8ELi2ELb1EEvPKcS1_S1_S1_S1_PKiPfP15HIP_vector_typeIfLj2EEffffjfiS5_IjLj3EEiiiiiiiiiiiliiliiiiil
                                        ; -- End function
	.set _ZL15flash_attn_tileILi72ELi72ELi8ELi2ELb1EEvPKcS1_S1_S1_S1_PKiPfP15HIP_vector_typeIfLj2EEffffjfiS5_IjLj3EEiiiiiiiiiiiliiliiiiil.num_vgpr, max(0, .L_ZL14no_device_codePKciS0_iS0_.num_vgpr)
	.set _ZL15flash_attn_tileILi72ELi72ELi8ELi2ELb1EEvPKcS1_S1_S1_S1_PKiPfP15HIP_vector_typeIfLj2EEffffjfiS5_IjLj3EEiiiiiiiiiiiliiliiiiil.num_agpr, max(0, .L_ZL14no_device_codePKciS0_iS0_.num_agpr)
	.set _ZL15flash_attn_tileILi72ELi72ELi8ELi2ELb1EEvPKcS1_S1_S1_S1_PKiPfP15HIP_vector_typeIfLj2EEffffjfiS5_IjLj3EEiiiiiiiiiiiliiliiiiil.numbered_sgpr, max(33, .L_ZL14no_device_codePKciS0_iS0_.numbered_sgpr)
	.set _ZL15flash_attn_tileILi72ELi72ELi8ELi2ELb1EEvPKcS1_S1_S1_S1_PKiPfP15HIP_vector_typeIfLj2EEffffjfiS5_IjLj3EEiiiiiiiiiiiliiliiiiil.num_named_barrier, max(0, .L_ZL14no_device_codePKciS0_iS0_.num_named_barrier)
	.set _ZL15flash_attn_tileILi72ELi72ELi8ELi2ELb1EEvPKcS1_S1_S1_S1_PKiPfP15HIP_vector_typeIfLj2EEffffjfiS5_IjLj3EEiiiiiiiiiiiliiliiiiil.private_seg_size, 0+max(.L_ZL14no_device_codePKciS0_iS0_.private_seg_size)
	.set _ZL15flash_attn_tileILi72ELi72ELi8ELi2ELb1EEvPKcS1_S1_S1_S1_PKiPfP15HIP_vector_typeIfLj2EEffffjfiS5_IjLj3EEiiiiiiiiiiiliiliiiiil.uses_vcc, or(1, .L_ZL14no_device_codePKciS0_iS0_.uses_vcc)
	.set _ZL15flash_attn_tileILi72ELi72ELi8ELi2ELb1EEvPKcS1_S1_S1_S1_PKiPfP15HIP_vector_typeIfLj2EEffffjfiS5_IjLj3EEiiiiiiiiiiiliiliiiiil.uses_flat_scratch, or(0, .L_ZL14no_device_codePKciS0_iS0_.uses_flat_scratch)
	.set _ZL15flash_attn_tileILi72ELi72ELi8ELi2ELb1EEvPKcS1_S1_S1_S1_PKiPfP15HIP_vector_typeIfLj2EEffffjfiS5_IjLj3EEiiiiiiiiiiiliiliiiiil.has_dyn_sized_stack, or(0, .L_ZL14no_device_codePKciS0_iS0_.has_dyn_sized_stack)
	.set _ZL15flash_attn_tileILi72ELi72ELi8ELi2ELb1EEvPKcS1_S1_S1_S1_PKiPfP15HIP_vector_typeIfLj2EEffffjfiS5_IjLj3EEiiiiiiiiiiiliiliiiiil.has_recursion, or(0, .L_ZL14no_device_codePKciS0_iS0_.has_recursion)
	.set _ZL15flash_attn_tileILi72ELi72ELi8ELi2ELb1EEvPKcS1_S1_S1_S1_PKiPfP15HIP_vector_typeIfLj2EEffffjfiS5_IjLj3EEiiiiiiiiiiiliiliiiiil.has_indirect_call, or(0, .L_ZL14no_device_codePKciS0_iS0_.has_indirect_call)
	.section	.AMDGPU.csdata,"",@progbits
; Kernel info:
; codeLenInByte = 32
; TotalNumSgprs: 36
; NumVgprs: 50
; ScratchSize: 16
; MemoryBound: 0
; FloatMode: 240
; IeeeMode: 1
; LDSByteSize: 0 bytes/workgroup (compile time only)
; SGPRBlocks: 0
; VGPRBlocks: 3
; NumSGPRsForWavesPerEU: 36
; NumVGPRsForWavesPerEU: 50
; NamedBarCnt: 0
; Occupancy: 16
; WaveLimiterHint : 1
; COMPUTE_PGM_RSRC2:SCRATCH_EN: 1
; COMPUTE_PGM_RSRC2:USER_SGPR: 2
; COMPUTE_PGM_RSRC2:TRAP_HANDLER: 0
; COMPUTE_PGM_RSRC2:TGID_X_EN: 1
; COMPUTE_PGM_RSRC2:TGID_Y_EN: 0
; COMPUTE_PGM_RSRC2:TGID_Z_EN: 0
; COMPUTE_PGM_RSRC2:TIDIG_COMP_CNT: 0
	.section	.text._ZL15flash_attn_tileILi72ELi72ELi4ELi2ELb1EEvPKcS1_S1_S1_S1_PKiPfP15HIP_vector_typeIfLj2EEffffjfiS5_IjLj3EEiiiiiiiiiiiliiliiiiil,"axG",@progbits,_ZL15flash_attn_tileILi72ELi72ELi4ELi2ELb1EEvPKcS1_S1_S1_S1_PKiPfP15HIP_vector_typeIfLj2EEffffjfiS5_IjLj3EEiiiiiiiiiiiliiliiiiil,comdat
	.globl	_ZL15flash_attn_tileILi72ELi72ELi4ELi2ELb1EEvPKcS1_S1_S1_S1_PKiPfP15HIP_vector_typeIfLj2EEffffjfiS5_IjLj3EEiiiiiiiiiiiliiliiiiil ; -- Begin function _ZL15flash_attn_tileILi72ELi72ELi4ELi2ELb1EEvPKcS1_S1_S1_S1_PKiPfP15HIP_vector_typeIfLj2EEffffjfiS5_IjLj3EEiiiiiiiiiiiliiliiiiil
	.p2align	8
	.type	_ZL15flash_attn_tileILi72ELi72ELi4ELi2ELb1EEvPKcS1_S1_S1_S1_PKiPfP15HIP_vector_typeIfLj2EEffffjfiS5_IjLj3EEiiiiiiiiiiiliiliiiiil,@function
_ZL15flash_attn_tileILi72ELi72ELi4ELi2ELb1EEvPKcS1_S1_S1_S1_PKiPfP15HIP_vector_typeIfLj2EEffffjfiS5_IjLj3EEiiiiiiiiiiiliiliiiiil: ; @_ZL15flash_attn_tileILi72ELi72ELi4ELi2ELb1EEvPKcS1_S1_S1_S1_PKiPfP15HIP_vector_typeIfLj2EEffffjfiS5_IjLj3EEiiiiiiiiiiiliiliiiiil
; %bb.0:
	s_get_pc_i64 s[2:3]
	s_add_nc_u64 s[2:3], s[2:3], _ZL14no_device_codePKciS0_iS0_@rel64+4
	s_add_nc_u64 s[8:9], s[0:1], 0xd0
	s_mov_b32 s32, 0
	s_swap_pc_i64 s[30:31], s[2:3]
	.section	.rodata,"a",@progbits
	.p2align	6, 0x0
	.amdhsa_kernel _ZL15flash_attn_tileILi72ELi72ELi4ELi2ELb1EEvPKcS1_S1_S1_S1_PKiPfP15HIP_vector_typeIfLj2EEffffjfiS5_IjLj3EEiiiiiiiiiiiliiliiiiil
		.amdhsa_group_segment_fixed_size 0
		.amdhsa_private_segment_fixed_size 16
		.amdhsa_kernarg_size 464
		.amdhsa_user_sgpr_count 2
		.amdhsa_user_sgpr_dispatch_ptr 0
		.amdhsa_user_sgpr_queue_ptr 0
		.amdhsa_user_sgpr_kernarg_segment_ptr 1
		.amdhsa_user_sgpr_dispatch_id 0
		.amdhsa_user_sgpr_kernarg_preload_length 0
		.amdhsa_user_sgpr_kernarg_preload_offset 0
		.amdhsa_user_sgpr_private_segment_size 0
		.amdhsa_wavefront_size32 1
		.amdhsa_uses_dynamic_stack 0
		.amdhsa_enable_private_segment 1
		.amdhsa_system_sgpr_workgroup_id_x 1
		.amdhsa_system_sgpr_workgroup_id_y 0
		.amdhsa_system_sgpr_workgroup_id_z 0
		.amdhsa_system_sgpr_workgroup_info 0
		.amdhsa_system_vgpr_workitem_id 0
		.amdhsa_next_free_vgpr 50
		.amdhsa_next_free_sgpr 34
		.amdhsa_named_barrier_count 0
		.amdhsa_reserve_vcc 1
		.amdhsa_float_round_mode_32 0
		.amdhsa_float_round_mode_16_64 0
		.amdhsa_float_denorm_mode_32 3
		.amdhsa_float_denorm_mode_16_64 3
		.amdhsa_fp16_overflow 0
		.amdhsa_memory_ordered 1
		.amdhsa_forward_progress 1
		.amdhsa_inst_pref_size 1
		.amdhsa_round_robin_scheduling 0
		.amdhsa_exception_fp_ieee_invalid_op 0
		.amdhsa_exception_fp_denorm_src 0
		.amdhsa_exception_fp_ieee_div_zero 0
		.amdhsa_exception_fp_ieee_overflow 0
		.amdhsa_exception_fp_ieee_underflow 0
		.amdhsa_exception_fp_ieee_inexact 0
		.amdhsa_exception_int_div_zero 0
	.end_amdhsa_kernel
	.section	.text._ZL15flash_attn_tileILi72ELi72ELi4ELi2ELb1EEvPKcS1_S1_S1_S1_PKiPfP15HIP_vector_typeIfLj2EEffffjfiS5_IjLj3EEiiiiiiiiiiiliiliiiiil,"axG",@progbits,_ZL15flash_attn_tileILi72ELi72ELi4ELi2ELb1EEvPKcS1_S1_S1_S1_PKiPfP15HIP_vector_typeIfLj2EEffffjfiS5_IjLj3EEiiiiiiiiiiiliiliiiiil,comdat
.Lfunc_end86:
	.size	_ZL15flash_attn_tileILi72ELi72ELi4ELi2ELb1EEvPKcS1_S1_S1_S1_PKiPfP15HIP_vector_typeIfLj2EEffffjfiS5_IjLj3EEiiiiiiiiiiiliiliiiiil, .Lfunc_end86-_ZL15flash_attn_tileILi72ELi72ELi4ELi2ELb1EEvPKcS1_S1_S1_S1_PKiPfP15HIP_vector_typeIfLj2EEffffjfiS5_IjLj3EEiiiiiiiiiiiliiliiiiil
                                        ; -- End function
	.set _ZL15flash_attn_tileILi72ELi72ELi4ELi2ELb1EEvPKcS1_S1_S1_S1_PKiPfP15HIP_vector_typeIfLj2EEffffjfiS5_IjLj3EEiiiiiiiiiiiliiliiiiil.num_vgpr, max(0, .L_ZL14no_device_codePKciS0_iS0_.num_vgpr)
	.set _ZL15flash_attn_tileILi72ELi72ELi4ELi2ELb1EEvPKcS1_S1_S1_S1_PKiPfP15HIP_vector_typeIfLj2EEffffjfiS5_IjLj3EEiiiiiiiiiiiliiliiiiil.num_agpr, max(0, .L_ZL14no_device_codePKciS0_iS0_.num_agpr)
	.set _ZL15flash_attn_tileILi72ELi72ELi4ELi2ELb1EEvPKcS1_S1_S1_S1_PKiPfP15HIP_vector_typeIfLj2EEffffjfiS5_IjLj3EEiiiiiiiiiiiliiliiiiil.numbered_sgpr, max(33, .L_ZL14no_device_codePKciS0_iS0_.numbered_sgpr)
	.set _ZL15flash_attn_tileILi72ELi72ELi4ELi2ELb1EEvPKcS1_S1_S1_S1_PKiPfP15HIP_vector_typeIfLj2EEffffjfiS5_IjLj3EEiiiiiiiiiiiliiliiiiil.num_named_barrier, max(0, .L_ZL14no_device_codePKciS0_iS0_.num_named_barrier)
	.set _ZL15flash_attn_tileILi72ELi72ELi4ELi2ELb1EEvPKcS1_S1_S1_S1_PKiPfP15HIP_vector_typeIfLj2EEffffjfiS5_IjLj3EEiiiiiiiiiiiliiliiiiil.private_seg_size, 0+max(.L_ZL14no_device_codePKciS0_iS0_.private_seg_size)
	.set _ZL15flash_attn_tileILi72ELi72ELi4ELi2ELb1EEvPKcS1_S1_S1_S1_PKiPfP15HIP_vector_typeIfLj2EEffffjfiS5_IjLj3EEiiiiiiiiiiiliiliiiiil.uses_vcc, or(1, .L_ZL14no_device_codePKciS0_iS0_.uses_vcc)
	.set _ZL15flash_attn_tileILi72ELi72ELi4ELi2ELb1EEvPKcS1_S1_S1_S1_PKiPfP15HIP_vector_typeIfLj2EEffffjfiS5_IjLj3EEiiiiiiiiiiiliiliiiiil.uses_flat_scratch, or(0, .L_ZL14no_device_codePKciS0_iS0_.uses_flat_scratch)
	.set _ZL15flash_attn_tileILi72ELi72ELi4ELi2ELb1EEvPKcS1_S1_S1_S1_PKiPfP15HIP_vector_typeIfLj2EEffffjfiS5_IjLj3EEiiiiiiiiiiiliiliiiiil.has_dyn_sized_stack, or(0, .L_ZL14no_device_codePKciS0_iS0_.has_dyn_sized_stack)
	.set _ZL15flash_attn_tileILi72ELi72ELi4ELi2ELb1EEvPKcS1_S1_S1_S1_PKiPfP15HIP_vector_typeIfLj2EEffffjfiS5_IjLj3EEiiiiiiiiiiiliiliiiiil.has_recursion, or(0, .L_ZL14no_device_codePKciS0_iS0_.has_recursion)
	.set _ZL15flash_attn_tileILi72ELi72ELi4ELi2ELb1EEvPKcS1_S1_S1_S1_PKiPfP15HIP_vector_typeIfLj2EEffffjfiS5_IjLj3EEiiiiiiiiiiiliiliiiiil.has_indirect_call, or(0, .L_ZL14no_device_codePKciS0_iS0_.has_indirect_call)
	.section	.AMDGPU.csdata,"",@progbits
; Kernel info:
; codeLenInByte = 32
; TotalNumSgprs: 36
; NumVgprs: 50
; ScratchSize: 16
; MemoryBound: 0
; FloatMode: 240
; IeeeMode: 1
; LDSByteSize: 0 bytes/workgroup (compile time only)
; SGPRBlocks: 0
; VGPRBlocks: 3
; NumSGPRsForWavesPerEU: 36
; NumVGPRsForWavesPerEU: 50
; NamedBarCnt: 0
; Occupancy: 16
; WaveLimiterHint : 1
; COMPUTE_PGM_RSRC2:SCRATCH_EN: 1
; COMPUTE_PGM_RSRC2:USER_SGPR: 2
; COMPUTE_PGM_RSRC2:TRAP_HANDLER: 0
; COMPUTE_PGM_RSRC2:TGID_X_EN: 1
; COMPUTE_PGM_RSRC2:TGID_Y_EN: 0
; COMPUTE_PGM_RSRC2:TGID_Z_EN: 0
; COMPUTE_PGM_RSRC2:TIDIG_COMP_CNT: 0
	.section	.text._ZL15flash_attn_tileILi72ELi72ELi2ELi2ELb1EEvPKcS1_S1_S1_S1_PKiPfP15HIP_vector_typeIfLj2EEffffjfiS5_IjLj3EEiiiiiiiiiiiliiliiiiil,"axG",@progbits,_ZL15flash_attn_tileILi72ELi72ELi2ELi2ELb1EEvPKcS1_S1_S1_S1_PKiPfP15HIP_vector_typeIfLj2EEffffjfiS5_IjLj3EEiiiiiiiiiiiliiliiiiil,comdat
	.globl	_ZL15flash_attn_tileILi72ELi72ELi2ELi2ELb1EEvPKcS1_S1_S1_S1_PKiPfP15HIP_vector_typeIfLj2EEffffjfiS5_IjLj3EEiiiiiiiiiiiliiliiiiil ; -- Begin function _ZL15flash_attn_tileILi72ELi72ELi2ELi2ELb1EEvPKcS1_S1_S1_S1_PKiPfP15HIP_vector_typeIfLj2EEffffjfiS5_IjLj3EEiiiiiiiiiiiliiliiiiil
	.p2align	8
	.type	_ZL15flash_attn_tileILi72ELi72ELi2ELi2ELb1EEvPKcS1_S1_S1_S1_PKiPfP15HIP_vector_typeIfLj2EEffffjfiS5_IjLj3EEiiiiiiiiiiiliiliiiiil,@function
_ZL15flash_attn_tileILi72ELi72ELi2ELi2ELb1EEvPKcS1_S1_S1_S1_PKiPfP15HIP_vector_typeIfLj2EEffffjfiS5_IjLj3EEiiiiiiiiiiiliiliiiiil: ; @_ZL15flash_attn_tileILi72ELi72ELi2ELi2ELb1EEvPKcS1_S1_S1_S1_PKiPfP15HIP_vector_typeIfLj2EEffffjfiS5_IjLj3EEiiiiiiiiiiiliiliiiiil
; %bb.0:
	s_get_pc_i64 s[2:3]
	s_add_nc_u64 s[2:3], s[2:3], _ZL14no_device_codePKciS0_iS0_@rel64+4
	s_add_nc_u64 s[8:9], s[0:1], 0xd0
	s_mov_b32 s32, 0
	s_swap_pc_i64 s[30:31], s[2:3]
	.section	.rodata,"a",@progbits
	.p2align	6, 0x0
	.amdhsa_kernel _ZL15flash_attn_tileILi72ELi72ELi2ELi2ELb1EEvPKcS1_S1_S1_S1_PKiPfP15HIP_vector_typeIfLj2EEffffjfiS5_IjLj3EEiiiiiiiiiiiliiliiiiil
		.amdhsa_group_segment_fixed_size 0
		.amdhsa_private_segment_fixed_size 16
		.amdhsa_kernarg_size 464
		.amdhsa_user_sgpr_count 2
		.amdhsa_user_sgpr_dispatch_ptr 0
		.amdhsa_user_sgpr_queue_ptr 0
		.amdhsa_user_sgpr_kernarg_segment_ptr 1
		.amdhsa_user_sgpr_dispatch_id 0
		.amdhsa_user_sgpr_kernarg_preload_length 0
		.amdhsa_user_sgpr_kernarg_preload_offset 0
		.amdhsa_user_sgpr_private_segment_size 0
		.amdhsa_wavefront_size32 1
		.amdhsa_uses_dynamic_stack 0
		.amdhsa_enable_private_segment 1
		.amdhsa_system_sgpr_workgroup_id_x 1
		.amdhsa_system_sgpr_workgroup_id_y 0
		.amdhsa_system_sgpr_workgroup_id_z 0
		.amdhsa_system_sgpr_workgroup_info 0
		.amdhsa_system_vgpr_workitem_id 0
		.amdhsa_next_free_vgpr 50
		.amdhsa_next_free_sgpr 34
		.amdhsa_named_barrier_count 0
		.amdhsa_reserve_vcc 1
		.amdhsa_float_round_mode_32 0
		.amdhsa_float_round_mode_16_64 0
		.amdhsa_float_denorm_mode_32 3
		.amdhsa_float_denorm_mode_16_64 3
		.amdhsa_fp16_overflow 0
		.amdhsa_memory_ordered 1
		.amdhsa_forward_progress 1
		.amdhsa_inst_pref_size 1
		.amdhsa_round_robin_scheduling 0
		.amdhsa_exception_fp_ieee_invalid_op 0
		.amdhsa_exception_fp_denorm_src 0
		.amdhsa_exception_fp_ieee_div_zero 0
		.amdhsa_exception_fp_ieee_overflow 0
		.amdhsa_exception_fp_ieee_underflow 0
		.amdhsa_exception_fp_ieee_inexact 0
		.amdhsa_exception_int_div_zero 0
	.end_amdhsa_kernel
	.section	.text._ZL15flash_attn_tileILi72ELi72ELi2ELi2ELb1EEvPKcS1_S1_S1_S1_PKiPfP15HIP_vector_typeIfLj2EEffffjfiS5_IjLj3EEiiiiiiiiiiiliiliiiiil,"axG",@progbits,_ZL15flash_attn_tileILi72ELi72ELi2ELi2ELb1EEvPKcS1_S1_S1_S1_PKiPfP15HIP_vector_typeIfLj2EEffffjfiS5_IjLj3EEiiiiiiiiiiiliiliiiiil,comdat
.Lfunc_end87:
	.size	_ZL15flash_attn_tileILi72ELi72ELi2ELi2ELb1EEvPKcS1_S1_S1_S1_PKiPfP15HIP_vector_typeIfLj2EEffffjfiS5_IjLj3EEiiiiiiiiiiiliiliiiiil, .Lfunc_end87-_ZL15flash_attn_tileILi72ELi72ELi2ELi2ELb1EEvPKcS1_S1_S1_S1_PKiPfP15HIP_vector_typeIfLj2EEffffjfiS5_IjLj3EEiiiiiiiiiiiliiliiiiil
                                        ; -- End function
	.set _ZL15flash_attn_tileILi72ELi72ELi2ELi2ELb1EEvPKcS1_S1_S1_S1_PKiPfP15HIP_vector_typeIfLj2EEffffjfiS5_IjLj3EEiiiiiiiiiiiliiliiiiil.num_vgpr, max(0, .L_ZL14no_device_codePKciS0_iS0_.num_vgpr)
	.set _ZL15flash_attn_tileILi72ELi72ELi2ELi2ELb1EEvPKcS1_S1_S1_S1_PKiPfP15HIP_vector_typeIfLj2EEffffjfiS5_IjLj3EEiiiiiiiiiiiliiliiiiil.num_agpr, max(0, .L_ZL14no_device_codePKciS0_iS0_.num_agpr)
	.set _ZL15flash_attn_tileILi72ELi72ELi2ELi2ELb1EEvPKcS1_S1_S1_S1_PKiPfP15HIP_vector_typeIfLj2EEffffjfiS5_IjLj3EEiiiiiiiiiiiliiliiiiil.numbered_sgpr, max(33, .L_ZL14no_device_codePKciS0_iS0_.numbered_sgpr)
	.set _ZL15flash_attn_tileILi72ELi72ELi2ELi2ELb1EEvPKcS1_S1_S1_S1_PKiPfP15HIP_vector_typeIfLj2EEffffjfiS5_IjLj3EEiiiiiiiiiiiliiliiiiil.num_named_barrier, max(0, .L_ZL14no_device_codePKciS0_iS0_.num_named_barrier)
	.set _ZL15flash_attn_tileILi72ELi72ELi2ELi2ELb1EEvPKcS1_S1_S1_S1_PKiPfP15HIP_vector_typeIfLj2EEffffjfiS5_IjLj3EEiiiiiiiiiiiliiliiiiil.private_seg_size, 0+max(.L_ZL14no_device_codePKciS0_iS0_.private_seg_size)
	.set _ZL15flash_attn_tileILi72ELi72ELi2ELi2ELb1EEvPKcS1_S1_S1_S1_PKiPfP15HIP_vector_typeIfLj2EEffffjfiS5_IjLj3EEiiiiiiiiiiiliiliiiiil.uses_vcc, or(1, .L_ZL14no_device_codePKciS0_iS0_.uses_vcc)
	.set _ZL15flash_attn_tileILi72ELi72ELi2ELi2ELb1EEvPKcS1_S1_S1_S1_PKiPfP15HIP_vector_typeIfLj2EEffffjfiS5_IjLj3EEiiiiiiiiiiiliiliiiiil.uses_flat_scratch, or(0, .L_ZL14no_device_codePKciS0_iS0_.uses_flat_scratch)
	.set _ZL15flash_attn_tileILi72ELi72ELi2ELi2ELb1EEvPKcS1_S1_S1_S1_PKiPfP15HIP_vector_typeIfLj2EEffffjfiS5_IjLj3EEiiiiiiiiiiiliiliiiiil.has_dyn_sized_stack, or(0, .L_ZL14no_device_codePKciS0_iS0_.has_dyn_sized_stack)
	.set _ZL15flash_attn_tileILi72ELi72ELi2ELi2ELb1EEvPKcS1_S1_S1_S1_PKiPfP15HIP_vector_typeIfLj2EEffffjfiS5_IjLj3EEiiiiiiiiiiiliiliiiiil.has_recursion, or(0, .L_ZL14no_device_codePKciS0_iS0_.has_recursion)
	.set _ZL15flash_attn_tileILi72ELi72ELi2ELi2ELb1EEvPKcS1_S1_S1_S1_PKiPfP15HIP_vector_typeIfLj2EEffffjfiS5_IjLj3EEiiiiiiiiiiiliiliiiiil.has_indirect_call, or(0, .L_ZL14no_device_codePKciS0_iS0_.has_indirect_call)
	.section	.AMDGPU.csdata,"",@progbits
; Kernel info:
; codeLenInByte = 32
; TotalNumSgprs: 36
; NumVgprs: 50
; ScratchSize: 16
; MemoryBound: 0
; FloatMode: 240
; IeeeMode: 1
; LDSByteSize: 0 bytes/workgroup (compile time only)
; SGPRBlocks: 0
; VGPRBlocks: 3
; NumSGPRsForWavesPerEU: 36
; NumVGPRsForWavesPerEU: 50
; NamedBarCnt: 0
; Occupancy: 16
; WaveLimiterHint : 1
; COMPUTE_PGM_RSRC2:SCRATCH_EN: 1
; COMPUTE_PGM_RSRC2:USER_SGPR: 2
; COMPUTE_PGM_RSRC2:TRAP_HANDLER: 0
; COMPUTE_PGM_RSRC2:TGID_X_EN: 1
; COMPUTE_PGM_RSRC2:TGID_Y_EN: 0
; COMPUTE_PGM_RSRC2:TGID_Z_EN: 0
; COMPUTE_PGM_RSRC2:TIDIG_COMP_CNT: 0
	.section	.text._ZL15flash_attn_tileILi72ELi72ELi1ELi2ELb1EEvPKcS1_S1_S1_S1_PKiPfP15HIP_vector_typeIfLj2EEffffjfiS5_IjLj3EEiiiiiiiiiiiliiliiiiil,"axG",@progbits,_ZL15flash_attn_tileILi72ELi72ELi1ELi2ELb1EEvPKcS1_S1_S1_S1_PKiPfP15HIP_vector_typeIfLj2EEffffjfiS5_IjLj3EEiiiiiiiiiiiliiliiiiil,comdat
	.globl	_ZL15flash_attn_tileILi72ELi72ELi1ELi2ELb1EEvPKcS1_S1_S1_S1_PKiPfP15HIP_vector_typeIfLj2EEffffjfiS5_IjLj3EEiiiiiiiiiiiliiliiiiil ; -- Begin function _ZL15flash_attn_tileILi72ELi72ELi1ELi2ELb1EEvPKcS1_S1_S1_S1_PKiPfP15HIP_vector_typeIfLj2EEffffjfiS5_IjLj3EEiiiiiiiiiiiliiliiiiil
	.p2align	8
	.type	_ZL15flash_attn_tileILi72ELi72ELi1ELi2ELb1EEvPKcS1_S1_S1_S1_PKiPfP15HIP_vector_typeIfLj2EEffffjfiS5_IjLj3EEiiiiiiiiiiiliiliiiiil,@function
_ZL15flash_attn_tileILi72ELi72ELi1ELi2ELb1EEvPKcS1_S1_S1_S1_PKiPfP15HIP_vector_typeIfLj2EEffffjfiS5_IjLj3EEiiiiiiiiiiiliiliiiiil: ; @_ZL15flash_attn_tileILi72ELi72ELi1ELi2ELb1EEvPKcS1_S1_S1_S1_PKiPfP15HIP_vector_typeIfLj2EEffffjfiS5_IjLj3EEiiiiiiiiiiiliiliiiiil
; %bb.0:
	s_get_pc_i64 s[2:3]
	s_add_nc_u64 s[2:3], s[2:3], _ZL14no_device_codePKciS0_iS0_@rel64+4
	s_add_nc_u64 s[8:9], s[0:1], 0xd0
	s_mov_b32 s32, 0
	s_swap_pc_i64 s[30:31], s[2:3]
	.section	.rodata,"a",@progbits
	.p2align	6, 0x0
	.amdhsa_kernel _ZL15flash_attn_tileILi72ELi72ELi1ELi2ELb1EEvPKcS1_S1_S1_S1_PKiPfP15HIP_vector_typeIfLj2EEffffjfiS5_IjLj3EEiiiiiiiiiiiliiliiiiil
		.amdhsa_group_segment_fixed_size 0
		.amdhsa_private_segment_fixed_size 16
		.amdhsa_kernarg_size 464
		.amdhsa_user_sgpr_count 2
		.amdhsa_user_sgpr_dispatch_ptr 0
		.amdhsa_user_sgpr_queue_ptr 0
		.amdhsa_user_sgpr_kernarg_segment_ptr 1
		.amdhsa_user_sgpr_dispatch_id 0
		.amdhsa_user_sgpr_kernarg_preload_length 0
		.amdhsa_user_sgpr_kernarg_preload_offset 0
		.amdhsa_user_sgpr_private_segment_size 0
		.amdhsa_wavefront_size32 1
		.amdhsa_uses_dynamic_stack 0
		.amdhsa_enable_private_segment 1
		.amdhsa_system_sgpr_workgroup_id_x 1
		.amdhsa_system_sgpr_workgroup_id_y 0
		.amdhsa_system_sgpr_workgroup_id_z 0
		.amdhsa_system_sgpr_workgroup_info 0
		.amdhsa_system_vgpr_workitem_id 0
		.amdhsa_next_free_vgpr 50
		.amdhsa_next_free_sgpr 34
		.amdhsa_named_barrier_count 0
		.amdhsa_reserve_vcc 1
		.amdhsa_float_round_mode_32 0
		.amdhsa_float_round_mode_16_64 0
		.amdhsa_float_denorm_mode_32 3
		.amdhsa_float_denorm_mode_16_64 3
		.amdhsa_fp16_overflow 0
		.amdhsa_memory_ordered 1
		.amdhsa_forward_progress 1
		.amdhsa_inst_pref_size 1
		.amdhsa_round_robin_scheduling 0
		.amdhsa_exception_fp_ieee_invalid_op 0
		.amdhsa_exception_fp_denorm_src 0
		.amdhsa_exception_fp_ieee_div_zero 0
		.amdhsa_exception_fp_ieee_overflow 0
		.amdhsa_exception_fp_ieee_underflow 0
		.amdhsa_exception_fp_ieee_inexact 0
		.amdhsa_exception_int_div_zero 0
	.end_amdhsa_kernel
	.section	.text._ZL15flash_attn_tileILi72ELi72ELi1ELi2ELb1EEvPKcS1_S1_S1_S1_PKiPfP15HIP_vector_typeIfLj2EEffffjfiS5_IjLj3EEiiiiiiiiiiiliiliiiiil,"axG",@progbits,_ZL15flash_attn_tileILi72ELi72ELi1ELi2ELb1EEvPKcS1_S1_S1_S1_PKiPfP15HIP_vector_typeIfLj2EEffffjfiS5_IjLj3EEiiiiiiiiiiiliiliiiiil,comdat
.Lfunc_end88:
	.size	_ZL15flash_attn_tileILi72ELi72ELi1ELi2ELb1EEvPKcS1_S1_S1_S1_PKiPfP15HIP_vector_typeIfLj2EEffffjfiS5_IjLj3EEiiiiiiiiiiiliiliiiiil, .Lfunc_end88-_ZL15flash_attn_tileILi72ELi72ELi1ELi2ELb1EEvPKcS1_S1_S1_S1_PKiPfP15HIP_vector_typeIfLj2EEffffjfiS5_IjLj3EEiiiiiiiiiiiliiliiiiil
                                        ; -- End function
	.set _ZL15flash_attn_tileILi72ELi72ELi1ELi2ELb1EEvPKcS1_S1_S1_S1_PKiPfP15HIP_vector_typeIfLj2EEffffjfiS5_IjLj3EEiiiiiiiiiiiliiliiiiil.num_vgpr, max(0, .L_ZL14no_device_codePKciS0_iS0_.num_vgpr)
	.set _ZL15flash_attn_tileILi72ELi72ELi1ELi2ELb1EEvPKcS1_S1_S1_S1_PKiPfP15HIP_vector_typeIfLj2EEffffjfiS5_IjLj3EEiiiiiiiiiiiliiliiiiil.num_agpr, max(0, .L_ZL14no_device_codePKciS0_iS0_.num_agpr)
	.set _ZL15flash_attn_tileILi72ELi72ELi1ELi2ELb1EEvPKcS1_S1_S1_S1_PKiPfP15HIP_vector_typeIfLj2EEffffjfiS5_IjLj3EEiiiiiiiiiiiliiliiiiil.numbered_sgpr, max(33, .L_ZL14no_device_codePKciS0_iS0_.numbered_sgpr)
	.set _ZL15flash_attn_tileILi72ELi72ELi1ELi2ELb1EEvPKcS1_S1_S1_S1_PKiPfP15HIP_vector_typeIfLj2EEffffjfiS5_IjLj3EEiiiiiiiiiiiliiliiiiil.num_named_barrier, max(0, .L_ZL14no_device_codePKciS0_iS0_.num_named_barrier)
	.set _ZL15flash_attn_tileILi72ELi72ELi1ELi2ELb1EEvPKcS1_S1_S1_S1_PKiPfP15HIP_vector_typeIfLj2EEffffjfiS5_IjLj3EEiiiiiiiiiiiliiliiiiil.private_seg_size, 0+max(.L_ZL14no_device_codePKciS0_iS0_.private_seg_size)
	.set _ZL15flash_attn_tileILi72ELi72ELi1ELi2ELb1EEvPKcS1_S1_S1_S1_PKiPfP15HIP_vector_typeIfLj2EEffffjfiS5_IjLj3EEiiiiiiiiiiiliiliiiiil.uses_vcc, or(1, .L_ZL14no_device_codePKciS0_iS0_.uses_vcc)
	.set _ZL15flash_attn_tileILi72ELi72ELi1ELi2ELb1EEvPKcS1_S1_S1_S1_PKiPfP15HIP_vector_typeIfLj2EEffffjfiS5_IjLj3EEiiiiiiiiiiiliiliiiiil.uses_flat_scratch, or(0, .L_ZL14no_device_codePKciS0_iS0_.uses_flat_scratch)
	.set _ZL15flash_attn_tileILi72ELi72ELi1ELi2ELb1EEvPKcS1_S1_S1_S1_PKiPfP15HIP_vector_typeIfLj2EEffffjfiS5_IjLj3EEiiiiiiiiiiiliiliiiiil.has_dyn_sized_stack, or(0, .L_ZL14no_device_codePKciS0_iS0_.has_dyn_sized_stack)
	.set _ZL15flash_attn_tileILi72ELi72ELi1ELi2ELb1EEvPKcS1_S1_S1_S1_PKiPfP15HIP_vector_typeIfLj2EEffffjfiS5_IjLj3EEiiiiiiiiiiiliiliiiiil.has_recursion, or(0, .L_ZL14no_device_codePKciS0_iS0_.has_recursion)
	.set _ZL15flash_attn_tileILi72ELi72ELi1ELi2ELb1EEvPKcS1_S1_S1_S1_PKiPfP15HIP_vector_typeIfLj2EEffffjfiS5_IjLj3EEiiiiiiiiiiiliiliiiiil.has_indirect_call, or(0, .L_ZL14no_device_codePKciS0_iS0_.has_indirect_call)
	.section	.AMDGPU.csdata,"",@progbits
; Kernel info:
; codeLenInByte = 32
; TotalNumSgprs: 36
; NumVgprs: 50
; ScratchSize: 16
; MemoryBound: 0
; FloatMode: 240
; IeeeMode: 1
; LDSByteSize: 0 bytes/workgroup (compile time only)
; SGPRBlocks: 0
; VGPRBlocks: 3
; NumSGPRsForWavesPerEU: 36
; NumVGPRsForWavesPerEU: 50
; NamedBarCnt: 0
; Occupancy: 16
; WaveLimiterHint : 1
; COMPUTE_PGM_RSRC2:SCRATCH_EN: 1
; COMPUTE_PGM_RSRC2:USER_SGPR: 2
; COMPUTE_PGM_RSRC2:TRAP_HANDLER: 0
; COMPUTE_PGM_RSRC2:TGID_X_EN: 1
; COMPUTE_PGM_RSRC2:TGID_Y_EN: 0
; COMPUTE_PGM_RSRC2:TGID_Z_EN: 0
; COMPUTE_PGM_RSRC2:TIDIG_COMP_CNT: 0
	.section	.text._ZL15flash_attn_tileILi72ELi72ELi64ELi1ELb1EEvPKcS1_S1_S1_S1_PKiPfP15HIP_vector_typeIfLj2EEffffjfiS5_IjLj3EEiiiiiiiiiiiliiliiiiil,"axG",@progbits,_ZL15flash_attn_tileILi72ELi72ELi64ELi1ELb1EEvPKcS1_S1_S1_S1_PKiPfP15HIP_vector_typeIfLj2EEffffjfiS5_IjLj3EEiiiiiiiiiiiliiliiiiil,comdat
	.globl	_ZL15flash_attn_tileILi72ELi72ELi64ELi1ELb1EEvPKcS1_S1_S1_S1_PKiPfP15HIP_vector_typeIfLj2EEffffjfiS5_IjLj3EEiiiiiiiiiiiliiliiiiil ; -- Begin function _ZL15flash_attn_tileILi72ELi72ELi64ELi1ELb1EEvPKcS1_S1_S1_S1_PKiPfP15HIP_vector_typeIfLj2EEffffjfiS5_IjLj3EEiiiiiiiiiiiliiliiiiil
	.p2align	8
	.type	_ZL15flash_attn_tileILi72ELi72ELi64ELi1ELb1EEvPKcS1_S1_S1_S1_PKiPfP15HIP_vector_typeIfLj2EEffffjfiS5_IjLj3EEiiiiiiiiiiiliiliiiiil,@function
_ZL15flash_attn_tileILi72ELi72ELi64ELi1ELb1EEvPKcS1_S1_S1_S1_PKiPfP15HIP_vector_typeIfLj2EEffffjfiS5_IjLj3EEiiiiiiiiiiiliiliiiiil: ; @_ZL15flash_attn_tileILi72ELi72ELi64ELi1ELb1EEvPKcS1_S1_S1_S1_PKiPfP15HIP_vector_typeIfLj2EEffffjfiS5_IjLj3EEiiiiiiiiiiiliiliiiiil
; %bb.0:
	s_get_pc_i64 s[2:3]
	s_add_nc_u64 s[2:3], s[2:3], _ZL14no_device_codePKciS0_iS0_@rel64+4
	s_add_nc_u64 s[8:9], s[0:1], 0xd0
	s_mov_b32 s32, 0
	s_swap_pc_i64 s[30:31], s[2:3]
	.section	.rodata,"a",@progbits
	.p2align	6, 0x0
	.amdhsa_kernel _ZL15flash_attn_tileILi72ELi72ELi64ELi1ELb1EEvPKcS1_S1_S1_S1_PKiPfP15HIP_vector_typeIfLj2EEffffjfiS5_IjLj3EEiiiiiiiiiiiliiliiiiil
		.amdhsa_group_segment_fixed_size 0
		.amdhsa_private_segment_fixed_size 16
		.amdhsa_kernarg_size 464
		.amdhsa_user_sgpr_count 2
		.amdhsa_user_sgpr_dispatch_ptr 0
		.amdhsa_user_sgpr_queue_ptr 0
		.amdhsa_user_sgpr_kernarg_segment_ptr 1
		.amdhsa_user_sgpr_dispatch_id 0
		.amdhsa_user_sgpr_kernarg_preload_length 0
		.amdhsa_user_sgpr_kernarg_preload_offset 0
		.amdhsa_user_sgpr_private_segment_size 0
		.amdhsa_wavefront_size32 1
		.amdhsa_uses_dynamic_stack 0
		.amdhsa_enable_private_segment 1
		.amdhsa_system_sgpr_workgroup_id_x 1
		.amdhsa_system_sgpr_workgroup_id_y 0
		.amdhsa_system_sgpr_workgroup_id_z 0
		.amdhsa_system_sgpr_workgroup_info 0
		.amdhsa_system_vgpr_workitem_id 0
		.amdhsa_next_free_vgpr 50
		.amdhsa_next_free_sgpr 34
		.amdhsa_named_barrier_count 0
		.amdhsa_reserve_vcc 1
		.amdhsa_float_round_mode_32 0
		.amdhsa_float_round_mode_16_64 0
		.amdhsa_float_denorm_mode_32 3
		.amdhsa_float_denorm_mode_16_64 3
		.amdhsa_fp16_overflow 0
		.amdhsa_memory_ordered 1
		.amdhsa_forward_progress 1
		.amdhsa_inst_pref_size 1
		.amdhsa_round_robin_scheduling 0
		.amdhsa_exception_fp_ieee_invalid_op 0
		.amdhsa_exception_fp_denorm_src 0
		.amdhsa_exception_fp_ieee_div_zero 0
		.amdhsa_exception_fp_ieee_overflow 0
		.amdhsa_exception_fp_ieee_underflow 0
		.amdhsa_exception_fp_ieee_inexact 0
		.amdhsa_exception_int_div_zero 0
	.end_amdhsa_kernel
	.section	.text._ZL15flash_attn_tileILi72ELi72ELi64ELi1ELb1EEvPKcS1_S1_S1_S1_PKiPfP15HIP_vector_typeIfLj2EEffffjfiS5_IjLj3EEiiiiiiiiiiiliiliiiiil,"axG",@progbits,_ZL15flash_attn_tileILi72ELi72ELi64ELi1ELb1EEvPKcS1_S1_S1_S1_PKiPfP15HIP_vector_typeIfLj2EEffffjfiS5_IjLj3EEiiiiiiiiiiiliiliiiiil,comdat
.Lfunc_end89:
	.size	_ZL15flash_attn_tileILi72ELi72ELi64ELi1ELb1EEvPKcS1_S1_S1_S1_PKiPfP15HIP_vector_typeIfLj2EEffffjfiS5_IjLj3EEiiiiiiiiiiiliiliiiiil, .Lfunc_end89-_ZL15flash_attn_tileILi72ELi72ELi64ELi1ELb1EEvPKcS1_S1_S1_S1_PKiPfP15HIP_vector_typeIfLj2EEffffjfiS5_IjLj3EEiiiiiiiiiiiliiliiiiil
                                        ; -- End function
	.set _ZL15flash_attn_tileILi72ELi72ELi64ELi1ELb1EEvPKcS1_S1_S1_S1_PKiPfP15HIP_vector_typeIfLj2EEffffjfiS5_IjLj3EEiiiiiiiiiiiliiliiiiil.num_vgpr, max(0, .L_ZL14no_device_codePKciS0_iS0_.num_vgpr)
	.set _ZL15flash_attn_tileILi72ELi72ELi64ELi1ELb1EEvPKcS1_S1_S1_S1_PKiPfP15HIP_vector_typeIfLj2EEffffjfiS5_IjLj3EEiiiiiiiiiiiliiliiiiil.num_agpr, max(0, .L_ZL14no_device_codePKciS0_iS0_.num_agpr)
	.set _ZL15flash_attn_tileILi72ELi72ELi64ELi1ELb1EEvPKcS1_S1_S1_S1_PKiPfP15HIP_vector_typeIfLj2EEffffjfiS5_IjLj3EEiiiiiiiiiiiliiliiiiil.numbered_sgpr, max(33, .L_ZL14no_device_codePKciS0_iS0_.numbered_sgpr)
	.set _ZL15flash_attn_tileILi72ELi72ELi64ELi1ELb1EEvPKcS1_S1_S1_S1_PKiPfP15HIP_vector_typeIfLj2EEffffjfiS5_IjLj3EEiiiiiiiiiiiliiliiiiil.num_named_barrier, max(0, .L_ZL14no_device_codePKciS0_iS0_.num_named_barrier)
	.set _ZL15flash_attn_tileILi72ELi72ELi64ELi1ELb1EEvPKcS1_S1_S1_S1_PKiPfP15HIP_vector_typeIfLj2EEffffjfiS5_IjLj3EEiiiiiiiiiiiliiliiiiil.private_seg_size, 0+max(.L_ZL14no_device_codePKciS0_iS0_.private_seg_size)
	.set _ZL15flash_attn_tileILi72ELi72ELi64ELi1ELb1EEvPKcS1_S1_S1_S1_PKiPfP15HIP_vector_typeIfLj2EEffffjfiS5_IjLj3EEiiiiiiiiiiiliiliiiiil.uses_vcc, or(1, .L_ZL14no_device_codePKciS0_iS0_.uses_vcc)
	.set _ZL15flash_attn_tileILi72ELi72ELi64ELi1ELb1EEvPKcS1_S1_S1_S1_PKiPfP15HIP_vector_typeIfLj2EEffffjfiS5_IjLj3EEiiiiiiiiiiiliiliiiiil.uses_flat_scratch, or(0, .L_ZL14no_device_codePKciS0_iS0_.uses_flat_scratch)
	.set _ZL15flash_attn_tileILi72ELi72ELi64ELi1ELb1EEvPKcS1_S1_S1_S1_PKiPfP15HIP_vector_typeIfLj2EEffffjfiS5_IjLj3EEiiiiiiiiiiiliiliiiiil.has_dyn_sized_stack, or(0, .L_ZL14no_device_codePKciS0_iS0_.has_dyn_sized_stack)
	.set _ZL15flash_attn_tileILi72ELi72ELi64ELi1ELb1EEvPKcS1_S1_S1_S1_PKiPfP15HIP_vector_typeIfLj2EEffffjfiS5_IjLj3EEiiiiiiiiiiiliiliiiiil.has_recursion, or(0, .L_ZL14no_device_codePKciS0_iS0_.has_recursion)
	.set _ZL15flash_attn_tileILi72ELi72ELi64ELi1ELb1EEvPKcS1_S1_S1_S1_PKiPfP15HIP_vector_typeIfLj2EEffffjfiS5_IjLj3EEiiiiiiiiiiiliiliiiiil.has_indirect_call, or(0, .L_ZL14no_device_codePKciS0_iS0_.has_indirect_call)
	.section	.AMDGPU.csdata,"",@progbits
; Kernel info:
; codeLenInByte = 32
; TotalNumSgprs: 36
; NumVgprs: 50
; ScratchSize: 16
; MemoryBound: 0
; FloatMode: 240
; IeeeMode: 1
; LDSByteSize: 0 bytes/workgroup (compile time only)
; SGPRBlocks: 0
; VGPRBlocks: 3
; NumSGPRsForWavesPerEU: 36
; NumVGPRsForWavesPerEU: 50
; NamedBarCnt: 0
; Occupancy: 16
; WaveLimiterHint : 1
; COMPUTE_PGM_RSRC2:SCRATCH_EN: 1
; COMPUTE_PGM_RSRC2:USER_SGPR: 2
; COMPUTE_PGM_RSRC2:TRAP_HANDLER: 0
; COMPUTE_PGM_RSRC2:TGID_X_EN: 1
; COMPUTE_PGM_RSRC2:TGID_Y_EN: 0
; COMPUTE_PGM_RSRC2:TGID_Z_EN: 0
; COMPUTE_PGM_RSRC2:TIDIG_COMP_CNT: 0
	.section	.text._ZL15flash_attn_tileILi72ELi72ELi32ELi1ELb1EEvPKcS1_S1_S1_S1_PKiPfP15HIP_vector_typeIfLj2EEffffjfiS5_IjLj3EEiiiiiiiiiiiliiliiiiil,"axG",@progbits,_ZL15flash_attn_tileILi72ELi72ELi32ELi1ELb1EEvPKcS1_S1_S1_S1_PKiPfP15HIP_vector_typeIfLj2EEffffjfiS5_IjLj3EEiiiiiiiiiiiliiliiiiil,comdat
	.globl	_ZL15flash_attn_tileILi72ELi72ELi32ELi1ELb1EEvPKcS1_S1_S1_S1_PKiPfP15HIP_vector_typeIfLj2EEffffjfiS5_IjLj3EEiiiiiiiiiiiliiliiiiil ; -- Begin function _ZL15flash_attn_tileILi72ELi72ELi32ELi1ELb1EEvPKcS1_S1_S1_S1_PKiPfP15HIP_vector_typeIfLj2EEffffjfiS5_IjLj3EEiiiiiiiiiiiliiliiiiil
	.p2align	8
	.type	_ZL15flash_attn_tileILi72ELi72ELi32ELi1ELb1EEvPKcS1_S1_S1_S1_PKiPfP15HIP_vector_typeIfLj2EEffffjfiS5_IjLj3EEiiiiiiiiiiiliiliiiiil,@function
_ZL15flash_attn_tileILi72ELi72ELi32ELi1ELb1EEvPKcS1_S1_S1_S1_PKiPfP15HIP_vector_typeIfLj2EEffffjfiS5_IjLj3EEiiiiiiiiiiiliiliiiiil: ; @_ZL15flash_attn_tileILi72ELi72ELi32ELi1ELb1EEvPKcS1_S1_S1_S1_PKiPfP15HIP_vector_typeIfLj2EEffffjfiS5_IjLj3EEiiiiiiiiiiiliiliiiiil
; %bb.0:
	s_get_pc_i64 s[2:3]
	s_add_nc_u64 s[2:3], s[2:3], _ZL14no_device_codePKciS0_iS0_@rel64+4
	s_add_nc_u64 s[8:9], s[0:1], 0xd0
	s_mov_b32 s32, 0
	s_swap_pc_i64 s[30:31], s[2:3]
	.section	.rodata,"a",@progbits
	.p2align	6, 0x0
	.amdhsa_kernel _ZL15flash_attn_tileILi72ELi72ELi32ELi1ELb1EEvPKcS1_S1_S1_S1_PKiPfP15HIP_vector_typeIfLj2EEffffjfiS5_IjLj3EEiiiiiiiiiiiliiliiiiil
		.amdhsa_group_segment_fixed_size 0
		.amdhsa_private_segment_fixed_size 16
		.amdhsa_kernarg_size 464
		.amdhsa_user_sgpr_count 2
		.amdhsa_user_sgpr_dispatch_ptr 0
		.amdhsa_user_sgpr_queue_ptr 0
		.amdhsa_user_sgpr_kernarg_segment_ptr 1
		.amdhsa_user_sgpr_dispatch_id 0
		.amdhsa_user_sgpr_kernarg_preload_length 0
		.amdhsa_user_sgpr_kernarg_preload_offset 0
		.amdhsa_user_sgpr_private_segment_size 0
		.amdhsa_wavefront_size32 1
		.amdhsa_uses_dynamic_stack 0
		.amdhsa_enable_private_segment 1
		.amdhsa_system_sgpr_workgroup_id_x 1
		.amdhsa_system_sgpr_workgroup_id_y 0
		.amdhsa_system_sgpr_workgroup_id_z 0
		.amdhsa_system_sgpr_workgroup_info 0
		.amdhsa_system_vgpr_workitem_id 0
		.amdhsa_next_free_vgpr 50
		.amdhsa_next_free_sgpr 34
		.amdhsa_named_barrier_count 0
		.amdhsa_reserve_vcc 1
		.amdhsa_float_round_mode_32 0
		.amdhsa_float_round_mode_16_64 0
		.amdhsa_float_denorm_mode_32 3
		.amdhsa_float_denorm_mode_16_64 3
		.amdhsa_fp16_overflow 0
		.amdhsa_memory_ordered 1
		.amdhsa_forward_progress 1
		.amdhsa_inst_pref_size 1
		.amdhsa_round_robin_scheduling 0
		.amdhsa_exception_fp_ieee_invalid_op 0
		.amdhsa_exception_fp_denorm_src 0
		.amdhsa_exception_fp_ieee_div_zero 0
		.amdhsa_exception_fp_ieee_overflow 0
		.amdhsa_exception_fp_ieee_underflow 0
		.amdhsa_exception_fp_ieee_inexact 0
		.amdhsa_exception_int_div_zero 0
	.end_amdhsa_kernel
	.section	.text._ZL15flash_attn_tileILi72ELi72ELi32ELi1ELb1EEvPKcS1_S1_S1_S1_PKiPfP15HIP_vector_typeIfLj2EEffffjfiS5_IjLj3EEiiiiiiiiiiiliiliiiiil,"axG",@progbits,_ZL15flash_attn_tileILi72ELi72ELi32ELi1ELb1EEvPKcS1_S1_S1_S1_PKiPfP15HIP_vector_typeIfLj2EEffffjfiS5_IjLj3EEiiiiiiiiiiiliiliiiiil,comdat
.Lfunc_end90:
	.size	_ZL15flash_attn_tileILi72ELi72ELi32ELi1ELb1EEvPKcS1_S1_S1_S1_PKiPfP15HIP_vector_typeIfLj2EEffffjfiS5_IjLj3EEiiiiiiiiiiiliiliiiiil, .Lfunc_end90-_ZL15flash_attn_tileILi72ELi72ELi32ELi1ELb1EEvPKcS1_S1_S1_S1_PKiPfP15HIP_vector_typeIfLj2EEffffjfiS5_IjLj3EEiiiiiiiiiiiliiliiiiil
                                        ; -- End function
	.set _ZL15flash_attn_tileILi72ELi72ELi32ELi1ELb1EEvPKcS1_S1_S1_S1_PKiPfP15HIP_vector_typeIfLj2EEffffjfiS5_IjLj3EEiiiiiiiiiiiliiliiiiil.num_vgpr, max(0, .L_ZL14no_device_codePKciS0_iS0_.num_vgpr)
	.set _ZL15flash_attn_tileILi72ELi72ELi32ELi1ELb1EEvPKcS1_S1_S1_S1_PKiPfP15HIP_vector_typeIfLj2EEffffjfiS5_IjLj3EEiiiiiiiiiiiliiliiiiil.num_agpr, max(0, .L_ZL14no_device_codePKciS0_iS0_.num_agpr)
	.set _ZL15flash_attn_tileILi72ELi72ELi32ELi1ELb1EEvPKcS1_S1_S1_S1_PKiPfP15HIP_vector_typeIfLj2EEffffjfiS5_IjLj3EEiiiiiiiiiiiliiliiiiil.numbered_sgpr, max(33, .L_ZL14no_device_codePKciS0_iS0_.numbered_sgpr)
	.set _ZL15flash_attn_tileILi72ELi72ELi32ELi1ELb1EEvPKcS1_S1_S1_S1_PKiPfP15HIP_vector_typeIfLj2EEffffjfiS5_IjLj3EEiiiiiiiiiiiliiliiiiil.num_named_barrier, max(0, .L_ZL14no_device_codePKciS0_iS0_.num_named_barrier)
	.set _ZL15flash_attn_tileILi72ELi72ELi32ELi1ELb1EEvPKcS1_S1_S1_S1_PKiPfP15HIP_vector_typeIfLj2EEffffjfiS5_IjLj3EEiiiiiiiiiiiliiliiiiil.private_seg_size, 0+max(.L_ZL14no_device_codePKciS0_iS0_.private_seg_size)
	.set _ZL15flash_attn_tileILi72ELi72ELi32ELi1ELb1EEvPKcS1_S1_S1_S1_PKiPfP15HIP_vector_typeIfLj2EEffffjfiS5_IjLj3EEiiiiiiiiiiiliiliiiiil.uses_vcc, or(1, .L_ZL14no_device_codePKciS0_iS0_.uses_vcc)
	.set _ZL15flash_attn_tileILi72ELi72ELi32ELi1ELb1EEvPKcS1_S1_S1_S1_PKiPfP15HIP_vector_typeIfLj2EEffffjfiS5_IjLj3EEiiiiiiiiiiiliiliiiiil.uses_flat_scratch, or(0, .L_ZL14no_device_codePKciS0_iS0_.uses_flat_scratch)
	.set _ZL15flash_attn_tileILi72ELi72ELi32ELi1ELb1EEvPKcS1_S1_S1_S1_PKiPfP15HIP_vector_typeIfLj2EEffffjfiS5_IjLj3EEiiiiiiiiiiiliiliiiiil.has_dyn_sized_stack, or(0, .L_ZL14no_device_codePKciS0_iS0_.has_dyn_sized_stack)
	.set _ZL15flash_attn_tileILi72ELi72ELi32ELi1ELb1EEvPKcS1_S1_S1_S1_PKiPfP15HIP_vector_typeIfLj2EEffffjfiS5_IjLj3EEiiiiiiiiiiiliiliiiiil.has_recursion, or(0, .L_ZL14no_device_codePKciS0_iS0_.has_recursion)
	.set _ZL15flash_attn_tileILi72ELi72ELi32ELi1ELb1EEvPKcS1_S1_S1_S1_PKiPfP15HIP_vector_typeIfLj2EEffffjfiS5_IjLj3EEiiiiiiiiiiiliiliiiiil.has_indirect_call, or(0, .L_ZL14no_device_codePKciS0_iS0_.has_indirect_call)
	.section	.AMDGPU.csdata,"",@progbits
; Kernel info:
; codeLenInByte = 32
; TotalNumSgprs: 36
; NumVgprs: 50
; ScratchSize: 16
; MemoryBound: 0
; FloatMode: 240
; IeeeMode: 1
; LDSByteSize: 0 bytes/workgroup (compile time only)
; SGPRBlocks: 0
; VGPRBlocks: 3
; NumSGPRsForWavesPerEU: 36
; NumVGPRsForWavesPerEU: 50
; NamedBarCnt: 0
; Occupancy: 16
; WaveLimiterHint : 1
; COMPUTE_PGM_RSRC2:SCRATCH_EN: 1
; COMPUTE_PGM_RSRC2:USER_SGPR: 2
; COMPUTE_PGM_RSRC2:TRAP_HANDLER: 0
; COMPUTE_PGM_RSRC2:TGID_X_EN: 1
; COMPUTE_PGM_RSRC2:TGID_Y_EN: 0
; COMPUTE_PGM_RSRC2:TGID_Z_EN: 0
; COMPUTE_PGM_RSRC2:TIDIG_COMP_CNT: 0
	.section	.text._ZL15flash_attn_tileILi72ELi72ELi16ELi1ELb1EEvPKcS1_S1_S1_S1_PKiPfP15HIP_vector_typeIfLj2EEffffjfiS5_IjLj3EEiiiiiiiiiiiliiliiiiil,"axG",@progbits,_ZL15flash_attn_tileILi72ELi72ELi16ELi1ELb1EEvPKcS1_S1_S1_S1_PKiPfP15HIP_vector_typeIfLj2EEffffjfiS5_IjLj3EEiiiiiiiiiiiliiliiiiil,comdat
	.globl	_ZL15flash_attn_tileILi72ELi72ELi16ELi1ELb1EEvPKcS1_S1_S1_S1_PKiPfP15HIP_vector_typeIfLj2EEffffjfiS5_IjLj3EEiiiiiiiiiiiliiliiiiil ; -- Begin function _ZL15flash_attn_tileILi72ELi72ELi16ELi1ELb1EEvPKcS1_S1_S1_S1_PKiPfP15HIP_vector_typeIfLj2EEffffjfiS5_IjLj3EEiiiiiiiiiiiliiliiiiil
	.p2align	8
	.type	_ZL15flash_attn_tileILi72ELi72ELi16ELi1ELb1EEvPKcS1_S1_S1_S1_PKiPfP15HIP_vector_typeIfLj2EEffffjfiS5_IjLj3EEiiiiiiiiiiiliiliiiiil,@function
_ZL15flash_attn_tileILi72ELi72ELi16ELi1ELb1EEvPKcS1_S1_S1_S1_PKiPfP15HIP_vector_typeIfLj2EEffffjfiS5_IjLj3EEiiiiiiiiiiiliiliiiiil: ; @_ZL15flash_attn_tileILi72ELi72ELi16ELi1ELb1EEvPKcS1_S1_S1_S1_PKiPfP15HIP_vector_typeIfLj2EEffffjfiS5_IjLj3EEiiiiiiiiiiiliiliiiiil
; %bb.0:
	s_get_pc_i64 s[2:3]
	s_add_nc_u64 s[2:3], s[2:3], _ZL14no_device_codePKciS0_iS0_@rel64+4
	s_add_nc_u64 s[8:9], s[0:1], 0xd0
	s_mov_b32 s32, 0
	s_swap_pc_i64 s[30:31], s[2:3]
	.section	.rodata,"a",@progbits
	.p2align	6, 0x0
	.amdhsa_kernel _ZL15flash_attn_tileILi72ELi72ELi16ELi1ELb1EEvPKcS1_S1_S1_S1_PKiPfP15HIP_vector_typeIfLj2EEffffjfiS5_IjLj3EEiiiiiiiiiiiliiliiiiil
		.amdhsa_group_segment_fixed_size 0
		.amdhsa_private_segment_fixed_size 16
		.amdhsa_kernarg_size 464
		.amdhsa_user_sgpr_count 2
		.amdhsa_user_sgpr_dispatch_ptr 0
		.amdhsa_user_sgpr_queue_ptr 0
		.amdhsa_user_sgpr_kernarg_segment_ptr 1
		.amdhsa_user_sgpr_dispatch_id 0
		.amdhsa_user_sgpr_kernarg_preload_length 0
		.amdhsa_user_sgpr_kernarg_preload_offset 0
		.amdhsa_user_sgpr_private_segment_size 0
		.amdhsa_wavefront_size32 1
		.amdhsa_uses_dynamic_stack 0
		.amdhsa_enable_private_segment 1
		.amdhsa_system_sgpr_workgroup_id_x 1
		.amdhsa_system_sgpr_workgroup_id_y 0
		.amdhsa_system_sgpr_workgroup_id_z 0
		.amdhsa_system_sgpr_workgroup_info 0
		.amdhsa_system_vgpr_workitem_id 0
		.amdhsa_next_free_vgpr 50
		.amdhsa_next_free_sgpr 34
		.amdhsa_named_barrier_count 0
		.amdhsa_reserve_vcc 1
		.amdhsa_float_round_mode_32 0
		.amdhsa_float_round_mode_16_64 0
		.amdhsa_float_denorm_mode_32 3
		.amdhsa_float_denorm_mode_16_64 3
		.amdhsa_fp16_overflow 0
		.amdhsa_memory_ordered 1
		.amdhsa_forward_progress 1
		.amdhsa_inst_pref_size 1
		.amdhsa_round_robin_scheduling 0
		.amdhsa_exception_fp_ieee_invalid_op 0
		.amdhsa_exception_fp_denorm_src 0
		.amdhsa_exception_fp_ieee_div_zero 0
		.amdhsa_exception_fp_ieee_overflow 0
		.amdhsa_exception_fp_ieee_underflow 0
		.amdhsa_exception_fp_ieee_inexact 0
		.amdhsa_exception_int_div_zero 0
	.end_amdhsa_kernel
	.section	.text._ZL15flash_attn_tileILi72ELi72ELi16ELi1ELb1EEvPKcS1_S1_S1_S1_PKiPfP15HIP_vector_typeIfLj2EEffffjfiS5_IjLj3EEiiiiiiiiiiiliiliiiiil,"axG",@progbits,_ZL15flash_attn_tileILi72ELi72ELi16ELi1ELb1EEvPKcS1_S1_S1_S1_PKiPfP15HIP_vector_typeIfLj2EEffffjfiS5_IjLj3EEiiiiiiiiiiiliiliiiiil,comdat
.Lfunc_end91:
	.size	_ZL15flash_attn_tileILi72ELi72ELi16ELi1ELb1EEvPKcS1_S1_S1_S1_PKiPfP15HIP_vector_typeIfLj2EEffffjfiS5_IjLj3EEiiiiiiiiiiiliiliiiiil, .Lfunc_end91-_ZL15flash_attn_tileILi72ELi72ELi16ELi1ELb1EEvPKcS1_S1_S1_S1_PKiPfP15HIP_vector_typeIfLj2EEffffjfiS5_IjLj3EEiiiiiiiiiiiliiliiiiil
                                        ; -- End function
	.set _ZL15flash_attn_tileILi72ELi72ELi16ELi1ELb1EEvPKcS1_S1_S1_S1_PKiPfP15HIP_vector_typeIfLj2EEffffjfiS5_IjLj3EEiiiiiiiiiiiliiliiiiil.num_vgpr, max(0, .L_ZL14no_device_codePKciS0_iS0_.num_vgpr)
	.set _ZL15flash_attn_tileILi72ELi72ELi16ELi1ELb1EEvPKcS1_S1_S1_S1_PKiPfP15HIP_vector_typeIfLj2EEffffjfiS5_IjLj3EEiiiiiiiiiiiliiliiiiil.num_agpr, max(0, .L_ZL14no_device_codePKciS0_iS0_.num_agpr)
	.set _ZL15flash_attn_tileILi72ELi72ELi16ELi1ELb1EEvPKcS1_S1_S1_S1_PKiPfP15HIP_vector_typeIfLj2EEffffjfiS5_IjLj3EEiiiiiiiiiiiliiliiiiil.numbered_sgpr, max(33, .L_ZL14no_device_codePKciS0_iS0_.numbered_sgpr)
	.set _ZL15flash_attn_tileILi72ELi72ELi16ELi1ELb1EEvPKcS1_S1_S1_S1_PKiPfP15HIP_vector_typeIfLj2EEffffjfiS5_IjLj3EEiiiiiiiiiiiliiliiiiil.num_named_barrier, max(0, .L_ZL14no_device_codePKciS0_iS0_.num_named_barrier)
	.set _ZL15flash_attn_tileILi72ELi72ELi16ELi1ELb1EEvPKcS1_S1_S1_S1_PKiPfP15HIP_vector_typeIfLj2EEffffjfiS5_IjLj3EEiiiiiiiiiiiliiliiiiil.private_seg_size, 0+max(.L_ZL14no_device_codePKciS0_iS0_.private_seg_size)
	.set _ZL15flash_attn_tileILi72ELi72ELi16ELi1ELb1EEvPKcS1_S1_S1_S1_PKiPfP15HIP_vector_typeIfLj2EEffffjfiS5_IjLj3EEiiiiiiiiiiiliiliiiiil.uses_vcc, or(1, .L_ZL14no_device_codePKciS0_iS0_.uses_vcc)
	.set _ZL15flash_attn_tileILi72ELi72ELi16ELi1ELb1EEvPKcS1_S1_S1_S1_PKiPfP15HIP_vector_typeIfLj2EEffffjfiS5_IjLj3EEiiiiiiiiiiiliiliiiiil.uses_flat_scratch, or(0, .L_ZL14no_device_codePKciS0_iS0_.uses_flat_scratch)
	.set _ZL15flash_attn_tileILi72ELi72ELi16ELi1ELb1EEvPKcS1_S1_S1_S1_PKiPfP15HIP_vector_typeIfLj2EEffffjfiS5_IjLj3EEiiiiiiiiiiiliiliiiiil.has_dyn_sized_stack, or(0, .L_ZL14no_device_codePKciS0_iS0_.has_dyn_sized_stack)
	.set _ZL15flash_attn_tileILi72ELi72ELi16ELi1ELb1EEvPKcS1_S1_S1_S1_PKiPfP15HIP_vector_typeIfLj2EEffffjfiS5_IjLj3EEiiiiiiiiiiiliiliiiiil.has_recursion, or(0, .L_ZL14no_device_codePKciS0_iS0_.has_recursion)
	.set _ZL15flash_attn_tileILi72ELi72ELi16ELi1ELb1EEvPKcS1_S1_S1_S1_PKiPfP15HIP_vector_typeIfLj2EEffffjfiS5_IjLj3EEiiiiiiiiiiiliiliiiiil.has_indirect_call, or(0, .L_ZL14no_device_codePKciS0_iS0_.has_indirect_call)
	.section	.AMDGPU.csdata,"",@progbits
; Kernel info:
; codeLenInByte = 32
; TotalNumSgprs: 36
; NumVgprs: 50
; ScratchSize: 16
; MemoryBound: 0
; FloatMode: 240
; IeeeMode: 1
; LDSByteSize: 0 bytes/workgroup (compile time only)
; SGPRBlocks: 0
; VGPRBlocks: 3
; NumSGPRsForWavesPerEU: 36
; NumVGPRsForWavesPerEU: 50
; NamedBarCnt: 0
; Occupancy: 16
; WaveLimiterHint : 1
; COMPUTE_PGM_RSRC2:SCRATCH_EN: 1
; COMPUTE_PGM_RSRC2:USER_SGPR: 2
; COMPUTE_PGM_RSRC2:TRAP_HANDLER: 0
; COMPUTE_PGM_RSRC2:TGID_X_EN: 1
; COMPUTE_PGM_RSRC2:TGID_Y_EN: 0
; COMPUTE_PGM_RSRC2:TGID_Z_EN: 0
; COMPUTE_PGM_RSRC2:TIDIG_COMP_CNT: 0
	.section	.text._ZL15flash_attn_tileILi72ELi72ELi8ELi1ELb1EEvPKcS1_S1_S1_S1_PKiPfP15HIP_vector_typeIfLj2EEffffjfiS5_IjLj3EEiiiiiiiiiiiliiliiiiil,"axG",@progbits,_ZL15flash_attn_tileILi72ELi72ELi8ELi1ELb1EEvPKcS1_S1_S1_S1_PKiPfP15HIP_vector_typeIfLj2EEffffjfiS5_IjLj3EEiiiiiiiiiiiliiliiiiil,comdat
	.globl	_ZL15flash_attn_tileILi72ELi72ELi8ELi1ELb1EEvPKcS1_S1_S1_S1_PKiPfP15HIP_vector_typeIfLj2EEffffjfiS5_IjLj3EEiiiiiiiiiiiliiliiiiil ; -- Begin function _ZL15flash_attn_tileILi72ELi72ELi8ELi1ELb1EEvPKcS1_S1_S1_S1_PKiPfP15HIP_vector_typeIfLj2EEffffjfiS5_IjLj3EEiiiiiiiiiiiliiliiiiil
	.p2align	8
	.type	_ZL15flash_attn_tileILi72ELi72ELi8ELi1ELb1EEvPKcS1_S1_S1_S1_PKiPfP15HIP_vector_typeIfLj2EEffffjfiS5_IjLj3EEiiiiiiiiiiiliiliiiiil,@function
_ZL15flash_attn_tileILi72ELi72ELi8ELi1ELb1EEvPKcS1_S1_S1_S1_PKiPfP15HIP_vector_typeIfLj2EEffffjfiS5_IjLj3EEiiiiiiiiiiiliiliiiiil: ; @_ZL15flash_attn_tileILi72ELi72ELi8ELi1ELb1EEvPKcS1_S1_S1_S1_PKiPfP15HIP_vector_typeIfLj2EEffffjfiS5_IjLj3EEiiiiiiiiiiiliiliiiiil
; %bb.0:
	s_get_pc_i64 s[2:3]
	s_add_nc_u64 s[2:3], s[2:3], _ZL14no_device_codePKciS0_iS0_@rel64+4
	s_add_nc_u64 s[8:9], s[0:1], 0xd0
	s_mov_b32 s32, 0
	s_swap_pc_i64 s[30:31], s[2:3]
	.section	.rodata,"a",@progbits
	.p2align	6, 0x0
	.amdhsa_kernel _ZL15flash_attn_tileILi72ELi72ELi8ELi1ELb1EEvPKcS1_S1_S1_S1_PKiPfP15HIP_vector_typeIfLj2EEffffjfiS5_IjLj3EEiiiiiiiiiiiliiliiiiil
		.amdhsa_group_segment_fixed_size 0
		.amdhsa_private_segment_fixed_size 16
		.amdhsa_kernarg_size 464
		.amdhsa_user_sgpr_count 2
		.amdhsa_user_sgpr_dispatch_ptr 0
		.amdhsa_user_sgpr_queue_ptr 0
		.amdhsa_user_sgpr_kernarg_segment_ptr 1
		.amdhsa_user_sgpr_dispatch_id 0
		.amdhsa_user_sgpr_kernarg_preload_length 0
		.amdhsa_user_sgpr_kernarg_preload_offset 0
		.amdhsa_user_sgpr_private_segment_size 0
		.amdhsa_wavefront_size32 1
		.amdhsa_uses_dynamic_stack 0
		.amdhsa_enable_private_segment 1
		.amdhsa_system_sgpr_workgroup_id_x 1
		.amdhsa_system_sgpr_workgroup_id_y 0
		.amdhsa_system_sgpr_workgroup_id_z 0
		.amdhsa_system_sgpr_workgroup_info 0
		.amdhsa_system_vgpr_workitem_id 0
		.amdhsa_next_free_vgpr 50
		.amdhsa_next_free_sgpr 34
		.amdhsa_named_barrier_count 0
		.amdhsa_reserve_vcc 1
		.amdhsa_float_round_mode_32 0
		.amdhsa_float_round_mode_16_64 0
		.amdhsa_float_denorm_mode_32 3
		.amdhsa_float_denorm_mode_16_64 3
		.amdhsa_fp16_overflow 0
		.amdhsa_memory_ordered 1
		.amdhsa_forward_progress 1
		.amdhsa_inst_pref_size 1
		.amdhsa_round_robin_scheduling 0
		.amdhsa_exception_fp_ieee_invalid_op 0
		.amdhsa_exception_fp_denorm_src 0
		.amdhsa_exception_fp_ieee_div_zero 0
		.amdhsa_exception_fp_ieee_overflow 0
		.amdhsa_exception_fp_ieee_underflow 0
		.amdhsa_exception_fp_ieee_inexact 0
		.amdhsa_exception_int_div_zero 0
	.end_amdhsa_kernel
	.section	.text._ZL15flash_attn_tileILi72ELi72ELi8ELi1ELb1EEvPKcS1_S1_S1_S1_PKiPfP15HIP_vector_typeIfLj2EEffffjfiS5_IjLj3EEiiiiiiiiiiiliiliiiiil,"axG",@progbits,_ZL15flash_attn_tileILi72ELi72ELi8ELi1ELb1EEvPKcS1_S1_S1_S1_PKiPfP15HIP_vector_typeIfLj2EEffffjfiS5_IjLj3EEiiiiiiiiiiiliiliiiiil,comdat
.Lfunc_end92:
	.size	_ZL15flash_attn_tileILi72ELi72ELi8ELi1ELb1EEvPKcS1_S1_S1_S1_PKiPfP15HIP_vector_typeIfLj2EEffffjfiS5_IjLj3EEiiiiiiiiiiiliiliiiiil, .Lfunc_end92-_ZL15flash_attn_tileILi72ELi72ELi8ELi1ELb1EEvPKcS1_S1_S1_S1_PKiPfP15HIP_vector_typeIfLj2EEffffjfiS5_IjLj3EEiiiiiiiiiiiliiliiiiil
                                        ; -- End function
	.set _ZL15flash_attn_tileILi72ELi72ELi8ELi1ELb1EEvPKcS1_S1_S1_S1_PKiPfP15HIP_vector_typeIfLj2EEffffjfiS5_IjLj3EEiiiiiiiiiiiliiliiiiil.num_vgpr, max(0, .L_ZL14no_device_codePKciS0_iS0_.num_vgpr)
	.set _ZL15flash_attn_tileILi72ELi72ELi8ELi1ELb1EEvPKcS1_S1_S1_S1_PKiPfP15HIP_vector_typeIfLj2EEffffjfiS5_IjLj3EEiiiiiiiiiiiliiliiiiil.num_agpr, max(0, .L_ZL14no_device_codePKciS0_iS0_.num_agpr)
	.set _ZL15flash_attn_tileILi72ELi72ELi8ELi1ELb1EEvPKcS1_S1_S1_S1_PKiPfP15HIP_vector_typeIfLj2EEffffjfiS5_IjLj3EEiiiiiiiiiiiliiliiiiil.numbered_sgpr, max(33, .L_ZL14no_device_codePKciS0_iS0_.numbered_sgpr)
	.set _ZL15flash_attn_tileILi72ELi72ELi8ELi1ELb1EEvPKcS1_S1_S1_S1_PKiPfP15HIP_vector_typeIfLj2EEffffjfiS5_IjLj3EEiiiiiiiiiiiliiliiiiil.num_named_barrier, max(0, .L_ZL14no_device_codePKciS0_iS0_.num_named_barrier)
	.set _ZL15flash_attn_tileILi72ELi72ELi8ELi1ELb1EEvPKcS1_S1_S1_S1_PKiPfP15HIP_vector_typeIfLj2EEffffjfiS5_IjLj3EEiiiiiiiiiiiliiliiiiil.private_seg_size, 0+max(.L_ZL14no_device_codePKciS0_iS0_.private_seg_size)
	.set _ZL15flash_attn_tileILi72ELi72ELi8ELi1ELb1EEvPKcS1_S1_S1_S1_PKiPfP15HIP_vector_typeIfLj2EEffffjfiS5_IjLj3EEiiiiiiiiiiiliiliiiiil.uses_vcc, or(1, .L_ZL14no_device_codePKciS0_iS0_.uses_vcc)
	.set _ZL15flash_attn_tileILi72ELi72ELi8ELi1ELb1EEvPKcS1_S1_S1_S1_PKiPfP15HIP_vector_typeIfLj2EEffffjfiS5_IjLj3EEiiiiiiiiiiiliiliiiiil.uses_flat_scratch, or(0, .L_ZL14no_device_codePKciS0_iS0_.uses_flat_scratch)
	.set _ZL15flash_attn_tileILi72ELi72ELi8ELi1ELb1EEvPKcS1_S1_S1_S1_PKiPfP15HIP_vector_typeIfLj2EEffffjfiS5_IjLj3EEiiiiiiiiiiiliiliiiiil.has_dyn_sized_stack, or(0, .L_ZL14no_device_codePKciS0_iS0_.has_dyn_sized_stack)
	.set _ZL15flash_attn_tileILi72ELi72ELi8ELi1ELb1EEvPKcS1_S1_S1_S1_PKiPfP15HIP_vector_typeIfLj2EEffffjfiS5_IjLj3EEiiiiiiiiiiiliiliiiiil.has_recursion, or(0, .L_ZL14no_device_codePKciS0_iS0_.has_recursion)
	.set _ZL15flash_attn_tileILi72ELi72ELi8ELi1ELb1EEvPKcS1_S1_S1_S1_PKiPfP15HIP_vector_typeIfLj2EEffffjfiS5_IjLj3EEiiiiiiiiiiiliiliiiiil.has_indirect_call, or(0, .L_ZL14no_device_codePKciS0_iS0_.has_indirect_call)
	.section	.AMDGPU.csdata,"",@progbits
; Kernel info:
; codeLenInByte = 32
; TotalNumSgprs: 36
; NumVgprs: 50
; ScratchSize: 16
; MemoryBound: 0
; FloatMode: 240
; IeeeMode: 1
; LDSByteSize: 0 bytes/workgroup (compile time only)
; SGPRBlocks: 0
; VGPRBlocks: 3
; NumSGPRsForWavesPerEU: 36
; NumVGPRsForWavesPerEU: 50
; NamedBarCnt: 0
; Occupancy: 16
; WaveLimiterHint : 1
; COMPUTE_PGM_RSRC2:SCRATCH_EN: 1
; COMPUTE_PGM_RSRC2:USER_SGPR: 2
; COMPUTE_PGM_RSRC2:TRAP_HANDLER: 0
; COMPUTE_PGM_RSRC2:TGID_X_EN: 1
; COMPUTE_PGM_RSRC2:TGID_Y_EN: 0
; COMPUTE_PGM_RSRC2:TGID_Z_EN: 0
; COMPUTE_PGM_RSRC2:TIDIG_COMP_CNT: 0
	.section	.text._ZL15flash_attn_tileILi72ELi72ELi4ELi1ELb1EEvPKcS1_S1_S1_S1_PKiPfP15HIP_vector_typeIfLj2EEffffjfiS5_IjLj3EEiiiiiiiiiiiliiliiiiil,"axG",@progbits,_ZL15flash_attn_tileILi72ELi72ELi4ELi1ELb1EEvPKcS1_S1_S1_S1_PKiPfP15HIP_vector_typeIfLj2EEffffjfiS5_IjLj3EEiiiiiiiiiiiliiliiiiil,comdat
	.globl	_ZL15flash_attn_tileILi72ELi72ELi4ELi1ELb1EEvPKcS1_S1_S1_S1_PKiPfP15HIP_vector_typeIfLj2EEffffjfiS5_IjLj3EEiiiiiiiiiiiliiliiiiil ; -- Begin function _ZL15flash_attn_tileILi72ELi72ELi4ELi1ELb1EEvPKcS1_S1_S1_S1_PKiPfP15HIP_vector_typeIfLj2EEffffjfiS5_IjLj3EEiiiiiiiiiiiliiliiiiil
	.p2align	8
	.type	_ZL15flash_attn_tileILi72ELi72ELi4ELi1ELb1EEvPKcS1_S1_S1_S1_PKiPfP15HIP_vector_typeIfLj2EEffffjfiS5_IjLj3EEiiiiiiiiiiiliiliiiiil,@function
_ZL15flash_attn_tileILi72ELi72ELi4ELi1ELb1EEvPKcS1_S1_S1_S1_PKiPfP15HIP_vector_typeIfLj2EEffffjfiS5_IjLj3EEiiiiiiiiiiiliiliiiiil: ; @_ZL15flash_attn_tileILi72ELi72ELi4ELi1ELb1EEvPKcS1_S1_S1_S1_PKiPfP15HIP_vector_typeIfLj2EEffffjfiS5_IjLj3EEiiiiiiiiiiiliiliiiiil
; %bb.0:
	s_get_pc_i64 s[2:3]
	s_add_nc_u64 s[2:3], s[2:3], _ZL14no_device_codePKciS0_iS0_@rel64+4
	s_add_nc_u64 s[8:9], s[0:1], 0xd0
	s_mov_b32 s32, 0
	s_swap_pc_i64 s[30:31], s[2:3]
	.section	.rodata,"a",@progbits
	.p2align	6, 0x0
	.amdhsa_kernel _ZL15flash_attn_tileILi72ELi72ELi4ELi1ELb1EEvPKcS1_S1_S1_S1_PKiPfP15HIP_vector_typeIfLj2EEffffjfiS5_IjLj3EEiiiiiiiiiiiliiliiiiil
		.amdhsa_group_segment_fixed_size 0
		.amdhsa_private_segment_fixed_size 16
		.amdhsa_kernarg_size 464
		.amdhsa_user_sgpr_count 2
		.amdhsa_user_sgpr_dispatch_ptr 0
		.amdhsa_user_sgpr_queue_ptr 0
		.amdhsa_user_sgpr_kernarg_segment_ptr 1
		.amdhsa_user_sgpr_dispatch_id 0
		.amdhsa_user_sgpr_kernarg_preload_length 0
		.amdhsa_user_sgpr_kernarg_preload_offset 0
		.amdhsa_user_sgpr_private_segment_size 0
		.amdhsa_wavefront_size32 1
		.amdhsa_uses_dynamic_stack 0
		.amdhsa_enable_private_segment 1
		.amdhsa_system_sgpr_workgroup_id_x 1
		.amdhsa_system_sgpr_workgroup_id_y 0
		.amdhsa_system_sgpr_workgroup_id_z 0
		.amdhsa_system_sgpr_workgroup_info 0
		.amdhsa_system_vgpr_workitem_id 0
		.amdhsa_next_free_vgpr 50
		.amdhsa_next_free_sgpr 34
		.amdhsa_named_barrier_count 0
		.amdhsa_reserve_vcc 1
		.amdhsa_float_round_mode_32 0
		.amdhsa_float_round_mode_16_64 0
		.amdhsa_float_denorm_mode_32 3
		.amdhsa_float_denorm_mode_16_64 3
		.amdhsa_fp16_overflow 0
		.amdhsa_memory_ordered 1
		.amdhsa_forward_progress 1
		.amdhsa_inst_pref_size 1
		.amdhsa_round_robin_scheduling 0
		.amdhsa_exception_fp_ieee_invalid_op 0
		.amdhsa_exception_fp_denorm_src 0
		.amdhsa_exception_fp_ieee_div_zero 0
		.amdhsa_exception_fp_ieee_overflow 0
		.amdhsa_exception_fp_ieee_underflow 0
		.amdhsa_exception_fp_ieee_inexact 0
		.amdhsa_exception_int_div_zero 0
	.end_amdhsa_kernel
	.section	.text._ZL15flash_attn_tileILi72ELi72ELi4ELi1ELb1EEvPKcS1_S1_S1_S1_PKiPfP15HIP_vector_typeIfLj2EEffffjfiS5_IjLj3EEiiiiiiiiiiiliiliiiiil,"axG",@progbits,_ZL15flash_attn_tileILi72ELi72ELi4ELi1ELb1EEvPKcS1_S1_S1_S1_PKiPfP15HIP_vector_typeIfLj2EEffffjfiS5_IjLj3EEiiiiiiiiiiiliiliiiiil,comdat
.Lfunc_end93:
	.size	_ZL15flash_attn_tileILi72ELi72ELi4ELi1ELb1EEvPKcS1_S1_S1_S1_PKiPfP15HIP_vector_typeIfLj2EEffffjfiS5_IjLj3EEiiiiiiiiiiiliiliiiiil, .Lfunc_end93-_ZL15flash_attn_tileILi72ELi72ELi4ELi1ELb1EEvPKcS1_S1_S1_S1_PKiPfP15HIP_vector_typeIfLj2EEffffjfiS5_IjLj3EEiiiiiiiiiiiliiliiiiil
                                        ; -- End function
	.set _ZL15flash_attn_tileILi72ELi72ELi4ELi1ELb1EEvPKcS1_S1_S1_S1_PKiPfP15HIP_vector_typeIfLj2EEffffjfiS5_IjLj3EEiiiiiiiiiiiliiliiiiil.num_vgpr, max(0, .L_ZL14no_device_codePKciS0_iS0_.num_vgpr)
	.set _ZL15flash_attn_tileILi72ELi72ELi4ELi1ELb1EEvPKcS1_S1_S1_S1_PKiPfP15HIP_vector_typeIfLj2EEffffjfiS5_IjLj3EEiiiiiiiiiiiliiliiiiil.num_agpr, max(0, .L_ZL14no_device_codePKciS0_iS0_.num_agpr)
	.set _ZL15flash_attn_tileILi72ELi72ELi4ELi1ELb1EEvPKcS1_S1_S1_S1_PKiPfP15HIP_vector_typeIfLj2EEffffjfiS5_IjLj3EEiiiiiiiiiiiliiliiiiil.numbered_sgpr, max(33, .L_ZL14no_device_codePKciS0_iS0_.numbered_sgpr)
	.set _ZL15flash_attn_tileILi72ELi72ELi4ELi1ELb1EEvPKcS1_S1_S1_S1_PKiPfP15HIP_vector_typeIfLj2EEffffjfiS5_IjLj3EEiiiiiiiiiiiliiliiiiil.num_named_barrier, max(0, .L_ZL14no_device_codePKciS0_iS0_.num_named_barrier)
	.set _ZL15flash_attn_tileILi72ELi72ELi4ELi1ELb1EEvPKcS1_S1_S1_S1_PKiPfP15HIP_vector_typeIfLj2EEffffjfiS5_IjLj3EEiiiiiiiiiiiliiliiiiil.private_seg_size, 0+max(.L_ZL14no_device_codePKciS0_iS0_.private_seg_size)
	.set _ZL15flash_attn_tileILi72ELi72ELi4ELi1ELb1EEvPKcS1_S1_S1_S1_PKiPfP15HIP_vector_typeIfLj2EEffffjfiS5_IjLj3EEiiiiiiiiiiiliiliiiiil.uses_vcc, or(1, .L_ZL14no_device_codePKciS0_iS0_.uses_vcc)
	.set _ZL15flash_attn_tileILi72ELi72ELi4ELi1ELb1EEvPKcS1_S1_S1_S1_PKiPfP15HIP_vector_typeIfLj2EEffffjfiS5_IjLj3EEiiiiiiiiiiiliiliiiiil.uses_flat_scratch, or(0, .L_ZL14no_device_codePKciS0_iS0_.uses_flat_scratch)
	.set _ZL15flash_attn_tileILi72ELi72ELi4ELi1ELb1EEvPKcS1_S1_S1_S1_PKiPfP15HIP_vector_typeIfLj2EEffffjfiS5_IjLj3EEiiiiiiiiiiiliiliiiiil.has_dyn_sized_stack, or(0, .L_ZL14no_device_codePKciS0_iS0_.has_dyn_sized_stack)
	.set _ZL15flash_attn_tileILi72ELi72ELi4ELi1ELb1EEvPKcS1_S1_S1_S1_PKiPfP15HIP_vector_typeIfLj2EEffffjfiS5_IjLj3EEiiiiiiiiiiiliiliiiiil.has_recursion, or(0, .L_ZL14no_device_codePKciS0_iS0_.has_recursion)
	.set _ZL15flash_attn_tileILi72ELi72ELi4ELi1ELb1EEvPKcS1_S1_S1_S1_PKiPfP15HIP_vector_typeIfLj2EEffffjfiS5_IjLj3EEiiiiiiiiiiiliiliiiiil.has_indirect_call, or(0, .L_ZL14no_device_codePKciS0_iS0_.has_indirect_call)
	.section	.AMDGPU.csdata,"",@progbits
; Kernel info:
; codeLenInByte = 32
; TotalNumSgprs: 36
; NumVgprs: 50
; ScratchSize: 16
; MemoryBound: 0
; FloatMode: 240
; IeeeMode: 1
; LDSByteSize: 0 bytes/workgroup (compile time only)
; SGPRBlocks: 0
; VGPRBlocks: 3
; NumSGPRsForWavesPerEU: 36
; NumVGPRsForWavesPerEU: 50
; NamedBarCnt: 0
; Occupancy: 16
; WaveLimiterHint : 1
; COMPUTE_PGM_RSRC2:SCRATCH_EN: 1
; COMPUTE_PGM_RSRC2:USER_SGPR: 2
; COMPUTE_PGM_RSRC2:TRAP_HANDLER: 0
; COMPUTE_PGM_RSRC2:TGID_X_EN: 1
; COMPUTE_PGM_RSRC2:TGID_Y_EN: 0
; COMPUTE_PGM_RSRC2:TGID_Z_EN: 0
; COMPUTE_PGM_RSRC2:TIDIG_COMP_CNT: 0
	.section	.text._ZL15flash_attn_tileILi72ELi72ELi2ELi1ELb1EEvPKcS1_S1_S1_S1_PKiPfP15HIP_vector_typeIfLj2EEffffjfiS5_IjLj3EEiiiiiiiiiiiliiliiiiil,"axG",@progbits,_ZL15flash_attn_tileILi72ELi72ELi2ELi1ELb1EEvPKcS1_S1_S1_S1_PKiPfP15HIP_vector_typeIfLj2EEffffjfiS5_IjLj3EEiiiiiiiiiiiliiliiiiil,comdat
	.globl	_ZL15flash_attn_tileILi72ELi72ELi2ELi1ELb1EEvPKcS1_S1_S1_S1_PKiPfP15HIP_vector_typeIfLj2EEffffjfiS5_IjLj3EEiiiiiiiiiiiliiliiiiil ; -- Begin function _ZL15flash_attn_tileILi72ELi72ELi2ELi1ELb1EEvPKcS1_S1_S1_S1_PKiPfP15HIP_vector_typeIfLj2EEffffjfiS5_IjLj3EEiiiiiiiiiiiliiliiiiil
	.p2align	8
	.type	_ZL15flash_attn_tileILi72ELi72ELi2ELi1ELb1EEvPKcS1_S1_S1_S1_PKiPfP15HIP_vector_typeIfLj2EEffffjfiS5_IjLj3EEiiiiiiiiiiiliiliiiiil,@function
_ZL15flash_attn_tileILi72ELi72ELi2ELi1ELb1EEvPKcS1_S1_S1_S1_PKiPfP15HIP_vector_typeIfLj2EEffffjfiS5_IjLj3EEiiiiiiiiiiiliiliiiiil: ; @_ZL15flash_attn_tileILi72ELi72ELi2ELi1ELb1EEvPKcS1_S1_S1_S1_PKiPfP15HIP_vector_typeIfLj2EEffffjfiS5_IjLj3EEiiiiiiiiiiiliiliiiiil
; %bb.0:
	s_get_pc_i64 s[2:3]
	s_add_nc_u64 s[2:3], s[2:3], _ZL14no_device_codePKciS0_iS0_@rel64+4
	s_add_nc_u64 s[8:9], s[0:1], 0xd0
	s_mov_b32 s32, 0
	s_swap_pc_i64 s[30:31], s[2:3]
	.section	.rodata,"a",@progbits
	.p2align	6, 0x0
	.amdhsa_kernel _ZL15flash_attn_tileILi72ELi72ELi2ELi1ELb1EEvPKcS1_S1_S1_S1_PKiPfP15HIP_vector_typeIfLj2EEffffjfiS5_IjLj3EEiiiiiiiiiiiliiliiiiil
		.amdhsa_group_segment_fixed_size 0
		.amdhsa_private_segment_fixed_size 16
		.amdhsa_kernarg_size 464
		.amdhsa_user_sgpr_count 2
		.amdhsa_user_sgpr_dispatch_ptr 0
		.amdhsa_user_sgpr_queue_ptr 0
		.amdhsa_user_sgpr_kernarg_segment_ptr 1
		.amdhsa_user_sgpr_dispatch_id 0
		.amdhsa_user_sgpr_kernarg_preload_length 0
		.amdhsa_user_sgpr_kernarg_preload_offset 0
		.amdhsa_user_sgpr_private_segment_size 0
		.amdhsa_wavefront_size32 1
		.amdhsa_uses_dynamic_stack 0
		.amdhsa_enable_private_segment 1
		.amdhsa_system_sgpr_workgroup_id_x 1
		.amdhsa_system_sgpr_workgroup_id_y 0
		.amdhsa_system_sgpr_workgroup_id_z 0
		.amdhsa_system_sgpr_workgroup_info 0
		.amdhsa_system_vgpr_workitem_id 0
		.amdhsa_next_free_vgpr 50
		.amdhsa_next_free_sgpr 34
		.amdhsa_named_barrier_count 0
		.amdhsa_reserve_vcc 1
		.amdhsa_float_round_mode_32 0
		.amdhsa_float_round_mode_16_64 0
		.amdhsa_float_denorm_mode_32 3
		.amdhsa_float_denorm_mode_16_64 3
		.amdhsa_fp16_overflow 0
		.amdhsa_memory_ordered 1
		.amdhsa_forward_progress 1
		.amdhsa_inst_pref_size 1
		.amdhsa_round_robin_scheduling 0
		.amdhsa_exception_fp_ieee_invalid_op 0
		.amdhsa_exception_fp_denorm_src 0
		.amdhsa_exception_fp_ieee_div_zero 0
		.amdhsa_exception_fp_ieee_overflow 0
		.amdhsa_exception_fp_ieee_underflow 0
		.amdhsa_exception_fp_ieee_inexact 0
		.amdhsa_exception_int_div_zero 0
	.end_amdhsa_kernel
	.section	.text._ZL15flash_attn_tileILi72ELi72ELi2ELi1ELb1EEvPKcS1_S1_S1_S1_PKiPfP15HIP_vector_typeIfLj2EEffffjfiS5_IjLj3EEiiiiiiiiiiiliiliiiiil,"axG",@progbits,_ZL15flash_attn_tileILi72ELi72ELi2ELi1ELb1EEvPKcS1_S1_S1_S1_PKiPfP15HIP_vector_typeIfLj2EEffffjfiS5_IjLj3EEiiiiiiiiiiiliiliiiiil,comdat
.Lfunc_end94:
	.size	_ZL15flash_attn_tileILi72ELi72ELi2ELi1ELb1EEvPKcS1_S1_S1_S1_PKiPfP15HIP_vector_typeIfLj2EEffffjfiS5_IjLj3EEiiiiiiiiiiiliiliiiiil, .Lfunc_end94-_ZL15flash_attn_tileILi72ELi72ELi2ELi1ELb1EEvPKcS1_S1_S1_S1_PKiPfP15HIP_vector_typeIfLj2EEffffjfiS5_IjLj3EEiiiiiiiiiiiliiliiiiil
                                        ; -- End function
	.set _ZL15flash_attn_tileILi72ELi72ELi2ELi1ELb1EEvPKcS1_S1_S1_S1_PKiPfP15HIP_vector_typeIfLj2EEffffjfiS5_IjLj3EEiiiiiiiiiiiliiliiiiil.num_vgpr, max(0, .L_ZL14no_device_codePKciS0_iS0_.num_vgpr)
	.set _ZL15flash_attn_tileILi72ELi72ELi2ELi1ELb1EEvPKcS1_S1_S1_S1_PKiPfP15HIP_vector_typeIfLj2EEffffjfiS5_IjLj3EEiiiiiiiiiiiliiliiiiil.num_agpr, max(0, .L_ZL14no_device_codePKciS0_iS0_.num_agpr)
	.set _ZL15flash_attn_tileILi72ELi72ELi2ELi1ELb1EEvPKcS1_S1_S1_S1_PKiPfP15HIP_vector_typeIfLj2EEffffjfiS5_IjLj3EEiiiiiiiiiiiliiliiiiil.numbered_sgpr, max(33, .L_ZL14no_device_codePKciS0_iS0_.numbered_sgpr)
	.set _ZL15flash_attn_tileILi72ELi72ELi2ELi1ELb1EEvPKcS1_S1_S1_S1_PKiPfP15HIP_vector_typeIfLj2EEffffjfiS5_IjLj3EEiiiiiiiiiiiliiliiiiil.num_named_barrier, max(0, .L_ZL14no_device_codePKciS0_iS0_.num_named_barrier)
	.set _ZL15flash_attn_tileILi72ELi72ELi2ELi1ELb1EEvPKcS1_S1_S1_S1_PKiPfP15HIP_vector_typeIfLj2EEffffjfiS5_IjLj3EEiiiiiiiiiiiliiliiiiil.private_seg_size, 0+max(.L_ZL14no_device_codePKciS0_iS0_.private_seg_size)
	.set _ZL15flash_attn_tileILi72ELi72ELi2ELi1ELb1EEvPKcS1_S1_S1_S1_PKiPfP15HIP_vector_typeIfLj2EEffffjfiS5_IjLj3EEiiiiiiiiiiiliiliiiiil.uses_vcc, or(1, .L_ZL14no_device_codePKciS0_iS0_.uses_vcc)
	.set _ZL15flash_attn_tileILi72ELi72ELi2ELi1ELb1EEvPKcS1_S1_S1_S1_PKiPfP15HIP_vector_typeIfLj2EEffffjfiS5_IjLj3EEiiiiiiiiiiiliiliiiiil.uses_flat_scratch, or(0, .L_ZL14no_device_codePKciS0_iS0_.uses_flat_scratch)
	.set _ZL15flash_attn_tileILi72ELi72ELi2ELi1ELb1EEvPKcS1_S1_S1_S1_PKiPfP15HIP_vector_typeIfLj2EEffffjfiS5_IjLj3EEiiiiiiiiiiiliiliiiiil.has_dyn_sized_stack, or(0, .L_ZL14no_device_codePKciS0_iS0_.has_dyn_sized_stack)
	.set _ZL15flash_attn_tileILi72ELi72ELi2ELi1ELb1EEvPKcS1_S1_S1_S1_PKiPfP15HIP_vector_typeIfLj2EEffffjfiS5_IjLj3EEiiiiiiiiiiiliiliiiiil.has_recursion, or(0, .L_ZL14no_device_codePKciS0_iS0_.has_recursion)
	.set _ZL15flash_attn_tileILi72ELi72ELi2ELi1ELb1EEvPKcS1_S1_S1_S1_PKiPfP15HIP_vector_typeIfLj2EEffffjfiS5_IjLj3EEiiiiiiiiiiiliiliiiiil.has_indirect_call, or(0, .L_ZL14no_device_codePKciS0_iS0_.has_indirect_call)
	.section	.AMDGPU.csdata,"",@progbits
; Kernel info:
; codeLenInByte = 32
; TotalNumSgprs: 36
; NumVgprs: 50
; ScratchSize: 16
; MemoryBound: 0
; FloatMode: 240
; IeeeMode: 1
; LDSByteSize: 0 bytes/workgroup (compile time only)
; SGPRBlocks: 0
; VGPRBlocks: 3
; NumSGPRsForWavesPerEU: 36
; NumVGPRsForWavesPerEU: 50
; NamedBarCnt: 0
; Occupancy: 16
; WaveLimiterHint : 1
; COMPUTE_PGM_RSRC2:SCRATCH_EN: 1
; COMPUTE_PGM_RSRC2:USER_SGPR: 2
; COMPUTE_PGM_RSRC2:TRAP_HANDLER: 0
; COMPUTE_PGM_RSRC2:TGID_X_EN: 1
; COMPUTE_PGM_RSRC2:TGID_Y_EN: 0
; COMPUTE_PGM_RSRC2:TGID_Z_EN: 0
; COMPUTE_PGM_RSRC2:TIDIG_COMP_CNT: 0
	.text
	.p2alignl 7, 3214868480
	.fill 96, 4, 3214868480
	.section	.AMDGPU.gpr_maximums,"",@progbits
	.set amdgpu.max_num_vgpr, 50
	.set amdgpu.max_num_agpr, 0
	.set amdgpu.max_num_sgpr, 34
	.text
	.type	.str.3,@object                  ; @.str.3
	.section	.rodata.str1.1,"aMS",@progbits,1
.str.3:
	.asciz	"/root/src/amdgpu-assembly/repos/ggml-org__llama.cpp/ggml/src/ggml-cuda/template-instances/../fattn-tile.cuh"
	.size	.str.3, 108

	.type	__FUNCTION__._ZL15flash_attn_tileILi72ELi72ELi8ELi8ELb1EEvPKcS1_S1_S1_S1_PKiPfP15HIP_vector_typeIfLj2EEffffjfiS5_IjLj3EEiiiiiiiiiiiliiliiiiil,@object ; @__FUNCTION__._ZL15flash_attn_tileILi72ELi72ELi8ELi8ELb1EEvPKcS1_S1_S1_S1_PKiPfP15HIP_vector_typeIfLj2EEffffjfiS5_IjLj3EEiiiiiiiiiiiliiliiiiil
__FUNCTION__._ZL15flash_attn_tileILi72ELi72ELi8ELi8ELb1EEvPKcS1_S1_S1_S1_PKiPfP15HIP_vector_typeIfLj2EEffffjfiS5_IjLj3EEiiiiiiiiiiiliiliiiiil:
	.asciz	"flash_attn_tile"
	.size	__FUNCTION__._ZL15flash_attn_tileILi72ELi72ELi8ELi8ELb1EEvPKcS1_S1_S1_S1_PKiPfP15HIP_vector_typeIfLj2EEffffjfiS5_IjLj3EEiiiiiiiiiiiliiliiiiil, 16

	.type	.str.5,@object                  ; @.str.5
.str.5:
	.asciz	"%s:%d: ERROR: HIP kernel %s has no device code compatible with HIP arch %d.\n"
	.size	.str.5, 77

	.type	__hip_cuid_3ecaeb41bb373847,@object ; @__hip_cuid_3ecaeb41bb373847
	.section	.bss,"aw",@nobits
	.globl	__hip_cuid_3ecaeb41bb373847
__hip_cuid_3ecaeb41bb373847:
	.byte	0                               ; 0x0
	.size	__hip_cuid_3ecaeb41bb373847, 1

	.ident	"AMD clang version 22.0.0git (https://github.com/RadeonOpenCompute/llvm-project roc-7.2.4 26084 f58b06dce1f9c15707c5f808fd002e18c2accf7e)"
	.section	".note.GNU-stack","",@progbits
	.addrsig
	.addrsig_sym __hip_cuid_3ecaeb41bb373847
	.amdgpu_metadata
---
amdhsa.kernels:
  - .args:
      - .address_space:  global
        .offset:         0
        .size:           8
        .value_kind:     global_buffer
      - .address_space:  global
        .offset:         8
        .size:           8
        .value_kind:     global_buffer
      - .address_space:  global
        .offset:         16
        .size:           8
        .value_kind:     global_buffer
      - .address_space:  global
        .offset:         24
        .size:           8
        .value_kind:     global_buffer
      - .address_space:  global
        .offset:         32
        .size:           8
        .value_kind:     global_buffer
      - .address_space:  global
        .offset:         40
        .size:           8
        .value_kind:     global_buffer
      - .address_space:  global
        .offset:         48
        .size:           8
        .value_kind:     global_buffer
      - .address_space:  global
        .offset:         56
        .size:           8
        .value_kind:     global_buffer
      - .offset:         64
        .size:           4
        .value_kind:     by_value
      - .offset:         68
        .size:           4
        .value_kind:     by_value
      - .offset:         72
        .size:           4
        .value_kind:     by_value
      - .offset:         76
        .size:           4
        .value_kind:     by_value
      - .offset:         80
        .size:           4
        .value_kind:     by_value
      - .offset:         84
        .size:           4
        .value_kind:     by_value
      - .offset:         88
        .size:           4
        .value_kind:     by_value
      - .offset:         92
        .size:           12
        .value_kind:     by_value
      - .offset:         104
        .size:           4
        .value_kind:     by_value
      - .offset:         108
        .size:           4
        .value_kind:     by_value
      - .offset:         112
        .size:           4
        .value_kind:     by_value
      - .offset:         116
        .size:           4
        .value_kind:     by_value
      - .offset:         120
        .size:           4
        .value_kind:     by_value
      - .offset:         124
        .size:           4
        .value_kind:     by_value
      - .offset:         128
        .size:           4
        .value_kind:     by_value
      - .offset:         132
        .size:           4
        .value_kind:     by_value
      - .offset:         136
        .size:           4
        .value_kind:     by_value
      - .offset:         140
        .size:           4
        .value_kind:     by_value
      - .offset:         144
        .size:           4
        .value_kind:     by_value
      - .offset:         152
        .size:           8
        .value_kind:     by_value
      - .offset:         160
        .size:           4
        .value_kind:     by_value
      - .offset:         164
        .size:           4
        .value_kind:     by_value
      - .offset:         168
        .size:           8
        .value_kind:     by_value
      - .offset:         176
        .size:           4
        .value_kind:     by_value
      - .offset:         180
        .size:           4
        .value_kind:     by_value
      - .offset:         184
        .size:           4
        .value_kind:     by_value
      - .offset:         188
        .size:           4
        .value_kind:     by_value
      - .offset:         192
        .size:           4
        .value_kind:     by_value
      - .offset:         200
        .size:           8
        .value_kind:     by_value
      - .offset:         208
        .size:           4
        .value_kind:     hidden_block_count_x
      - .offset:         212
        .size:           4
        .value_kind:     hidden_block_count_y
      - .offset:         216
        .size:           4
        .value_kind:     hidden_block_count_z
      - .offset:         220
        .size:           2
        .value_kind:     hidden_group_size_x
      - .offset:         222
        .size:           2
        .value_kind:     hidden_group_size_y
      - .offset:         224
        .size:           2
        .value_kind:     hidden_group_size_z
      - .offset:         226
        .size:           2
        .value_kind:     hidden_remainder_x
      - .offset:         228
        .size:           2
        .value_kind:     hidden_remainder_y
      - .offset:         230
        .size:           2
        .value_kind:     hidden_remainder_z
      - .offset:         248
        .size:           8
        .value_kind:     hidden_global_offset_x
      - .offset:         256
        .size:           8
        .value_kind:     hidden_global_offset_y
      - .offset:         264
        .size:           8
        .value_kind:     hidden_global_offset_z
      - .offset:         272
        .size:           2
        .value_kind:     hidden_grid_dims
    .group_segment_fixed_size: 18656
    .kernarg_segment_align: 8
    .kernarg_segment_size: 464
    .language:       OpenCL C
    .language_version:
      - 2
      - 0
    .max_flat_workgroup_size: 256
    .name:           _ZL15flash_attn_tileILi72ELi72ELi8ELi8ELb0EEvPKcS1_S1_S1_S1_PKiPfP15HIP_vector_typeIfLj2EEffffjfiS5_IjLj3EEiiiiiiiiiiiliiliiiiil
    .private_segment_fixed_size: 0
    .sgpr_count:     45
    .sgpr_spill_count: 0
    .symbol:         _ZL15flash_attn_tileILi72ELi72ELi8ELi8ELb0EEvPKcS1_S1_S1_S1_PKiPfP15HIP_vector_typeIfLj2EEffffjfiS5_IjLj3EEiiiiiiiiiiiliiliiiiil.kd
    .uniform_work_group_size: 1
    .uses_dynamic_stack: false
    .vgpr_count:     138
    .vgpr_spill_count: 0
    .wavefront_size: 32
  - .args:
      - .actual_access:  read_only
        .address_space:  global
        .offset:         0
        .size:           8
        .value_kind:     global_buffer
      - .actual_access:  write_only
        .address_space:  global
        .offset:         8
        .size:           8
        .value_kind:     global_buffer
      - .offset:         16
        .size:           4
        .value_kind:     by_value
      - .offset:         20
        .size:           4
        .value_kind:     by_value
      - .offset:         24
        .size:           4
        .value_kind:     by_value
      - .offset:         32
        .size:           4
        .value_kind:     hidden_block_count_x
      - .offset:         36
        .size:           4
        .value_kind:     hidden_block_count_y
      - .offset:         40
        .size:           4
        .value_kind:     hidden_block_count_z
      - .offset:         44
        .size:           2
        .value_kind:     hidden_group_size_x
      - .offset:         46
        .size:           2
        .value_kind:     hidden_group_size_y
      - .offset:         48
        .size:           2
        .value_kind:     hidden_group_size_z
      - .offset:         50
        .size:           2
        .value_kind:     hidden_remainder_x
      - .offset:         52
        .size:           2
        .value_kind:     hidden_remainder_y
      - .offset:         54
        .size:           2
        .value_kind:     hidden_remainder_z
      - .offset:         72
        .size:           8
        .value_kind:     hidden_global_offset_x
      - .offset:         80
        .size:           8
        .value_kind:     hidden_global_offset_y
      - .offset:         88
        .size:           8
        .value_kind:     hidden_global_offset_z
      - .offset:         96
        .size:           2
        .value_kind:     hidden_grid_dims
    .group_segment_fixed_size: 128
    .kernarg_segment_align: 8
    .kernarg_segment_size: 288
    .language:       OpenCL C
    .language_version:
      - 2
      - 0
    .max_flat_workgroup_size: 128
    .name:           _ZL25flash_attn_mask_to_KV_maxILi8EEvPK7__half2Piiii
    .private_segment_fixed_size: 0
    .sgpr_count:     29
    .sgpr_spill_count: 0
    .symbol:         _ZL25flash_attn_mask_to_KV_maxILi8EEvPK7__half2Piiii.kd
    .uniform_work_group_size: 1
    .uses_dynamic_stack: false
    .vgpr_count:     6
    .vgpr_spill_count: 0
    .wavefront_size: 32
  - .args:
      - .address_space:  global
        .offset:         0
        .size:           8
        .value_kind:     global_buffer
      - .address_space:  global
        .offset:         8
        .size:           8
        .value_kind:     global_buffer
      - .offset:         16
        .size:           4
        .value_kind:     by_value
      - .offset:         20
        .size:           4
        .value_kind:     by_value
      - .offset:         24
        .size:           4
        .value_kind:     by_value
      - .offset:         28
        .size:           4
        .value_kind:     by_value
      - .offset:         32
        .size:           4
        .value_kind:     by_value
      - .offset:         36
        .size:           4
        .value_kind:     by_value
      - .offset:         40
        .size:           12
        .value_kind:     by_value
      - .offset:         52
        .size:           12
        .value_kind:     by_value
      - .offset:         64
        .size:           12
        .value_kind:     by_value
    .group_segment_fixed_size: 0
    .kernarg_segment_align: 8
    .kernarg_segment_size: 76
    .language:       OpenCL C
    .language_version:
      - 2
      - 0
    .max_flat_workgroup_size: 72
    .name:           _ZL33flash_attn_stream_k_fixup_uniformILi72ELi8ELi8EEvPfPK15HIP_vector_typeIfLj2EEiiiiiiS1_IjLj3EES5_S5_
    .private_segment_fixed_size: 0
    .sgpr_count:     23
    .sgpr_spill_count: 0
    .symbol:         _ZL33flash_attn_stream_k_fixup_uniformILi72ELi8ELi8EEvPfPK15HIP_vector_typeIfLj2EEiiiiiiS1_IjLj3EES5_S5_.kd
    .uniform_work_group_size: 1
    .uses_dynamic_stack: false
    .vgpr_count:     12
    .vgpr_spill_count: 0
    .wavefront_size: 32
  - .args:
      - .address_space:  global
        .offset:         0
        .size:           8
        .value_kind:     global_buffer
      - .address_space:  global
        .offset:         8
        .size:           8
        .value_kind:     global_buffer
      - .offset:         16
        .size:           4
        .value_kind:     by_value
      - .offset:         20
        .size:           4
        .value_kind:     by_value
      - .offset:         24
        .size:           4
        .value_kind:     by_value
      - .offset:         28
        .size:           4
        .value_kind:     by_value
      - .offset:         32
        .size:           12
        .value_kind:     by_value
      - .offset:         44
        .size:           12
        .value_kind:     by_value
      - .offset:         56
        .size:           12
        .value_kind:     by_value
      - .offset:         68
        .size:           12
        .value_kind:     by_value
      - .offset:         80
        .size:           4
        .value_kind:     hidden_block_count_x
      - .offset:         84
        .size:           4
        .value_kind:     hidden_block_count_y
      - .offset:         88
        .size:           4
        .value_kind:     hidden_block_count_z
      - .offset:         92
        .size:           2
        .value_kind:     hidden_group_size_x
      - .offset:         94
        .size:           2
        .value_kind:     hidden_group_size_y
      - .offset:         96
        .size:           2
        .value_kind:     hidden_group_size_z
      - .offset:         98
        .size:           2
        .value_kind:     hidden_remainder_x
      - .offset:         100
        .size:           2
        .value_kind:     hidden_remainder_y
      - .offset:         102
        .size:           2
        .value_kind:     hidden_remainder_z
      - .offset:         120
        .size:           8
        .value_kind:     hidden_global_offset_x
      - .offset:         128
        .size:           8
        .value_kind:     hidden_global_offset_y
      - .offset:         136
        .size:           8
        .value_kind:     hidden_global_offset_z
      - .offset:         144
        .size:           2
        .value_kind:     hidden_grid_dims
    .group_segment_fixed_size: 0
    .kernarg_segment_align: 8
    .kernarg_segment_size: 336
    .language:       OpenCL C
    .language_version:
      - 2
      - 0
    .max_flat_workgroup_size: 72
    .name:           _ZL33flash_attn_stream_k_fixup_generalILi72ELi8ELi8EEvPfPK15HIP_vector_typeIfLj2EEiiiiS1_IjLj3EES5_S5_S5_
    .private_segment_fixed_size: 0
    .sgpr_count:     48
    .sgpr_spill_count: 0
    .symbol:         _ZL33flash_attn_stream_k_fixup_generalILi72ELi8ELi8EEvPfPK15HIP_vector_typeIfLj2EEiiiiS1_IjLj3EES5_S5_S5_.kd
    .uniform_work_group_size: 1
    .uses_dynamic_stack: false
    .vgpr_count:     12
    .vgpr_spill_count: 0
    .wavefront_size: 32
  - .args:
      - .address_space:  global
        .offset:         0
        .size:           8
        .value_kind:     global_buffer
      - .address_space:  global
        .offset:         8
        .size:           8
        .value_kind:     global_buffer
      - .address_space:  global
        .offset:         16
        .size:           8
        .value_kind:     global_buffer
      - .offset:         24
        .size:           4
        .value_kind:     by_value
      - .offset:         32
        .size:           4
        .value_kind:     hidden_block_count_x
      - .offset:         36
        .size:           4
        .value_kind:     hidden_block_count_y
      - .offset:         40
        .size:           4
        .value_kind:     hidden_block_count_z
      - .offset:         44
        .size:           2
        .value_kind:     hidden_group_size_x
      - .offset:         46
        .size:           2
        .value_kind:     hidden_group_size_y
      - .offset:         48
        .size:           2
        .value_kind:     hidden_group_size_z
      - .offset:         50
        .size:           2
        .value_kind:     hidden_remainder_x
      - .offset:         52
        .size:           2
        .value_kind:     hidden_remainder_y
      - .offset:         54
        .size:           2
        .value_kind:     hidden_remainder_z
      - .offset:         72
        .size:           8
        .value_kind:     hidden_global_offset_x
      - .offset:         80
        .size:           8
        .value_kind:     hidden_global_offset_y
      - .offset:         88
        .size:           8
        .value_kind:     hidden_global_offset_z
      - .offset:         96
        .size:           2
        .value_kind:     hidden_grid_dims
      - .offset:         152
        .size:           4
        .value_kind:     hidden_dynamic_lds_size
    .group_segment_fixed_size: 0
    .kernarg_segment_align: 8
    .kernarg_segment_size: 288
    .language:       OpenCL C
    .language_version:
      - 2
      - 0
    .max_flat_workgroup_size: 72
    .name:           _ZL26flash_attn_combine_resultsILi72EEvPKfPK15HIP_vector_typeIfLj2EEPfi
    .private_segment_fixed_size: 0
    .sgpr_count:     49
    .sgpr_spill_count: 0
    .symbol:         _ZL26flash_attn_combine_resultsILi72EEvPKfPK15HIP_vector_typeIfLj2EEPfi.kd
    .uniform_work_group_size: 1
    .uses_dynamic_stack: false
    .vgpr_count:     38
    .vgpr_spill_count: 0
    .wavefront_size: 32
  - .args:
      - .address_space:  global
        .offset:         0
        .size:           8
        .value_kind:     global_buffer
      - .address_space:  global
        .offset:         8
        .size:           8
        .value_kind:     global_buffer
      - .address_space:  global
        .offset:         16
        .size:           8
        .value_kind:     global_buffer
      - .address_space:  global
        .offset:         24
        .size:           8
        .value_kind:     global_buffer
      - .address_space:  global
        .offset:         32
        .size:           8
        .value_kind:     global_buffer
      - .address_space:  global
        .offset:         40
        .size:           8
        .value_kind:     global_buffer
      - .address_space:  global
        .offset:         48
        .size:           8
        .value_kind:     global_buffer
      - .address_space:  global
        .offset:         56
        .size:           8
        .value_kind:     global_buffer
      - .offset:         64
        .size:           4
        .value_kind:     by_value
      - .offset:         68
        .size:           4
        .value_kind:     by_value
      - .offset:         72
        .size:           4
        .value_kind:     by_value
      - .offset:         76
        .size:           4
        .value_kind:     by_value
      - .offset:         80
        .size:           4
        .value_kind:     by_value
      - .offset:         84
        .size:           4
        .value_kind:     by_value
      - .offset:         88
        .size:           4
        .value_kind:     by_value
      - .offset:         92
        .size:           12
        .value_kind:     by_value
      - .offset:         104
        .size:           4
        .value_kind:     by_value
      - .offset:         108
        .size:           4
        .value_kind:     by_value
      - .offset:         112
        .size:           4
        .value_kind:     by_value
      - .offset:         116
        .size:           4
        .value_kind:     by_value
      - .offset:         120
        .size:           4
        .value_kind:     by_value
      - .offset:         124
        .size:           4
        .value_kind:     by_value
      - .offset:         128
        .size:           4
        .value_kind:     by_value
      - .offset:         132
        .size:           4
        .value_kind:     by_value
      - .offset:         136
        .size:           4
        .value_kind:     by_value
      - .offset:         140
        .size:           4
        .value_kind:     by_value
      - .offset:         144
        .size:           4
        .value_kind:     by_value
      - .offset:         152
        .size:           8
        .value_kind:     by_value
      - .offset:         160
        .size:           4
        .value_kind:     by_value
      - .offset:         164
        .size:           4
        .value_kind:     by_value
      - .offset:         168
        .size:           8
        .value_kind:     by_value
      - .offset:         176
        .size:           4
        .value_kind:     by_value
      - .offset:         180
        .size:           4
        .value_kind:     by_value
      - .offset:         184
        .size:           4
        .value_kind:     by_value
      - .offset:         188
        .size:           4
        .value_kind:     by_value
      - .offset:         192
        .size:           4
        .value_kind:     by_value
      - .offset:         200
        .size:           8
        .value_kind:     by_value
      - .offset:         208
        .size:           4
        .value_kind:     hidden_block_count_x
      - .offset:         212
        .size:           4
        .value_kind:     hidden_block_count_y
      - .offset:         216
        .size:           4
        .value_kind:     hidden_block_count_z
      - .offset:         220
        .size:           2
        .value_kind:     hidden_group_size_x
      - .offset:         222
        .size:           2
        .value_kind:     hidden_group_size_y
      - .offset:         224
        .size:           2
        .value_kind:     hidden_group_size_z
      - .offset:         226
        .size:           2
        .value_kind:     hidden_remainder_x
      - .offset:         228
        .size:           2
        .value_kind:     hidden_remainder_y
      - .offset:         230
        .size:           2
        .value_kind:     hidden_remainder_z
      - .offset:         248
        .size:           8
        .value_kind:     hidden_global_offset_x
      - .offset:         256
        .size:           8
        .value_kind:     hidden_global_offset_y
      - .offset:         264
        .size:           8
        .value_kind:     hidden_global_offset_z
      - .offset:         272
        .size:           2
        .value_kind:     hidden_grid_dims
    .group_segment_fixed_size: 12000
    .kernarg_segment_align: 8
    .kernarg_segment_size: 464
    .language:       OpenCL C
    .language_version:
      - 2
      - 0
    .max_flat_workgroup_size: 256
    .name:           _ZL15flash_attn_tileILi72ELi72ELi4ELi8ELb0EEvPKcS1_S1_S1_S1_PKiPfP15HIP_vector_typeIfLj2EEffffjfiS5_IjLj3EEiiiiiiiiiiiliiliiiiil
    .private_segment_fixed_size: 0
    .sgpr_count:     44
    .sgpr_spill_count: 0
    .symbol:         _ZL15flash_attn_tileILi72ELi72ELi4ELi8ELb0EEvPKcS1_S1_S1_S1_PKiPfP15HIP_vector_typeIfLj2EEffffjfiS5_IjLj3EEiiiiiiiiiiiliiliiiiil.kd
    .uniform_work_group_size: 1
    .uses_dynamic_stack: false
    .vgpr_count:     148
    .vgpr_spill_count: 0
    .wavefront_size: 32
  - .args:
      - .actual_access:  read_only
        .address_space:  global
        .offset:         0
        .size:           8
        .value_kind:     global_buffer
      - .actual_access:  write_only
        .address_space:  global
        .offset:         8
        .size:           8
        .value_kind:     global_buffer
      - .offset:         16
        .size:           4
        .value_kind:     by_value
      - .offset:         20
        .size:           4
        .value_kind:     by_value
      - .offset:         24
        .size:           4
        .value_kind:     by_value
      - .offset:         32
        .size:           4
        .value_kind:     hidden_block_count_x
      - .offset:         36
        .size:           4
        .value_kind:     hidden_block_count_y
      - .offset:         40
        .size:           4
        .value_kind:     hidden_block_count_z
      - .offset:         44
        .size:           2
        .value_kind:     hidden_group_size_x
      - .offset:         46
        .size:           2
        .value_kind:     hidden_group_size_y
      - .offset:         48
        .size:           2
        .value_kind:     hidden_group_size_z
      - .offset:         50
        .size:           2
        .value_kind:     hidden_remainder_x
      - .offset:         52
        .size:           2
        .value_kind:     hidden_remainder_y
      - .offset:         54
        .size:           2
        .value_kind:     hidden_remainder_z
      - .offset:         72
        .size:           8
        .value_kind:     hidden_global_offset_x
      - .offset:         80
        .size:           8
        .value_kind:     hidden_global_offset_y
      - .offset:         88
        .size:           8
        .value_kind:     hidden_global_offset_z
      - .offset:         96
        .size:           2
        .value_kind:     hidden_grid_dims
    .group_segment_fixed_size: 128
    .kernarg_segment_align: 8
    .kernarg_segment_size: 288
    .language:       OpenCL C
    .language_version:
      - 2
      - 0
    .max_flat_workgroup_size: 128
    .name:           _ZL25flash_attn_mask_to_KV_maxILi4EEvPK7__half2Piiii
    .private_segment_fixed_size: 0
    .sgpr_count:     21
    .sgpr_spill_count: 0
    .symbol:         _ZL25flash_attn_mask_to_KV_maxILi4EEvPK7__half2Piiii.kd
    .uniform_work_group_size: 1
    .uses_dynamic_stack: false
    .vgpr_count:     6
    .vgpr_spill_count: 0
    .wavefront_size: 32
  - .args:
      - .address_space:  global
        .offset:         0
        .size:           8
        .value_kind:     global_buffer
      - .address_space:  global
        .offset:         8
        .size:           8
        .value_kind:     global_buffer
      - .offset:         16
        .size:           4
        .value_kind:     by_value
      - .offset:         20
        .size:           4
        .value_kind:     by_value
      - .offset:         24
        .size:           4
        .value_kind:     by_value
      - .offset:         28
        .size:           4
        .value_kind:     by_value
      - .offset:         32
        .size:           4
        .value_kind:     by_value
      - .offset:         36
        .size:           4
        .value_kind:     by_value
      - .offset:         40
        .size:           12
        .value_kind:     by_value
      - .offset:         52
        .size:           12
        .value_kind:     by_value
      - .offset:         64
        .size:           12
        .value_kind:     by_value
    .group_segment_fixed_size: 0
    .kernarg_segment_align: 8
    .kernarg_segment_size: 76
    .language:       OpenCL C
    .language_version:
      - 2
      - 0
    .max_flat_workgroup_size: 72
    .name:           _ZL33flash_attn_stream_k_fixup_uniformILi72ELi4ELi8EEvPfPK15HIP_vector_typeIfLj2EEiiiiiiS1_IjLj3EES5_S5_
    .private_segment_fixed_size: 0
    .sgpr_count:     23
    .sgpr_spill_count: 0
    .symbol:         _ZL33flash_attn_stream_k_fixup_uniformILi72ELi4ELi8EEvPfPK15HIP_vector_typeIfLj2EEiiiiiiS1_IjLj3EES5_S5_.kd
    .uniform_work_group_size: 1
    .uses_dynamic_stack: false
    .vgpr_count:     12
    .vgpr_spill_count: 0
    .wavefront_size: 32
  - .args:
      - .address_space:  global
        .offset:         0
        .size:           8
        .value_kind:     global_buffer
      - .address_space:  global
        .offset:         8
        .size:           8
        .value_kind:     global_buffer
      - .offset:         16
        .size:           4
        .value_kind:     by_value
      - .offset:         20
        .size:           4
        .value_kind:     by_value
      - .offset:         24
        .size:           4
        .value_kind:     by_value
      - .offset:         28
        .size:           4
        .value_kind:     by_value
      - .offset:         32
        .size:           12
        .value_kind:     by_value
      - .offset:         44
        .size:           12
        .value_kind:     by_value
      - .offset:         56
        .size:           12
        .value_kind:     by_value
      - .offset:         68
        .size:           12
        .value_kind:     by_value
      - .offset:         80
        .size:           4
        .value_kind:     hidden_block_count_x
      - .offset:         84
        .size:           4
        .value_kind:     hidden_block_count_y
      - .offset:         88
        .size:           4
        .value_kind:     hidden_block_count_z
      - .offset:         92
        .size:           2
        .value_kind:     hidden_group_size_x
      - .offset:         94
        .size:           2
        .value_kind:     hidden_group_size_y
      - .offset:         96
        .size:           2
        .value_kind:     hidden_group_size_z
      - .offset:         98
        .size:           2
        .value_kind:     hidden_remainder_x
      - .offset:         100
        .size:           2
        .value_kind:     hidden_remainder_y
      - .offset:         102
        .size:           2
        .value_kind:     hidden_remainder_z
      - .offset:         120
        .size:           8
        .value_kind:     hidden_global_offset_x
      - .offset:         128
        .size:           8
        .value_kind:     hidden_global_offset_y
      - .offset:         136
        .size:           8
        .value_kind:     hidden_global_offset_z
      - .offset:         144
        .size:           2
        .value_kind:     hidden_grid_dims
    .group_segment_fixed_size: 0
    .kernarg_segment_align: 8
    .kernarg_segment_size: 336
    .language:       OpenCL C
    .language_version:
      - 2
      - 0
    .max_flat_workgroup_size: 72
    .name:           _ZL33flash_attn_stream_k_fixup_generalILi72ELi4ELi8EEvPfPK15HIP_vector_typeIfLj2EEiiiiS1_IjLj3EES5_S5_S5_
    .private_segment_fixed_size: 0
    .sgpr_count:     48
    .sgpr_spill_count: 0
    .symbol:         _ZL33flash_attn_stream_k_fixup_generalILi72ELi4ELi8EEvPfPK15HIP_vector_typeIfLj2EEiiiiS1_IjLj3EES5_S5_S5_.kd
    .uniform_work_group_size: 1
    .uses_dynamic_stack: false
    .vgpr_count:     12
    .vgpr_spill_count: 0
    .wavefront_size: 32
  - .args:
      - .address_space:  global
        .offset:         0
        .size:           8
        .value_kind:     global_buffer
      - .address_space:  global
        .offset:         8
        .size:           8
        .value_kind:     global_buffer
      - .address_space:  global
        .offset:         16
        .size:           8
        .value_kind:     global_buffer
      - .address_space:  global
        .offset:         24
        .size:           8
        .value_kind:     global_buffer
      - .address_space:  global
        .offset:         32
        .size:           8
        .value_kind:     global_buffer
      - .address_space:  global
        .offset:         40
        .size:           8
        .value_kind:     global_buffer
      - .address_space:  global
        .offset:         48
        .size:           8
        .value_kind:     global_buffer
      - .address_space:  global
        .offset:         56
        .size:           8
        .value_kind:     global_buffer
      - .offset:         64
        .size:           4
        .value_kind:     by_value
      - .offset:         68
        .size:           4
        .value_kind:     by_value
      - .offset:         72
        .size:           4
        .value_kind:     by_value
      - .offset:         76
        .size:           4
        .value_kind:     by_value
      - .offset:         80
        .size:           4
        .value_kind:     by_value
      - .offset:         84
        .size:           4
        .value_kind:     by_value
      - .offset:         88
        .size:           4
        .value_kind:     by_value
      - .offset:         92
        .size:           12
        .value_kind:     by_value
      - .offset:         104
        .size:           4
        .value_kind:     by_value
      - .offset:         108
        .size:           4
        .value_kind:     by_value
      - .offset:         112
        .size:           4
        .value_kind:     by_value
      - .offset:         116
        .size:           4
        .value_kind:     by_value
      - .offset:         120
        .size:           4
        .value_kind:     by_value
      - .offset:         124
        .size:           4
        .value_kind:     by_value
      - .offset:         128
        .size:           4
        .value_kind:     by_value
      - .offset:         132
        .size:           4
        .value_kind:     by_value
      - .offset:         136
        .size:           4
        .value_kind:     by_value
      - .offset:         140
        .size:           4
        .value_kind:     by_value
      - .offset:         144
        .size:           4
        .value_kind:     by_value
      - .offset:         152
        .size:           8
        .value_kind:     by_value
      - .offset:         160
        .size:           4
        .value_kind:     by_value
      - .offset:         164
        .size:           4
        .value_kind:     by_value
      - .offset:         168
        .size:           8
        .value_kind:     by_value
      - .offset:         176
        .size:           4
        .value_kind:     by_value
      - .offset:         180
        .size:           4
        .value_kind:     by_value
      - .offset:         184
        .size:           4
        .value_kind:     by_value
      - .offset:         188
        .size:           4
        .value_kind:     by_value
      - .offset:         192
        .size:           4
        .value_kind:     by_value
      - .offset:         200
        .size:           8
        .value_kind:     by_value
      - .offset:         208
        .size:           4
        .value_kind:     hidden_block_count_x
      - .offset:         212
        .size:           4
        .value_kind:     hidden_block_count_y
      - .offset:         216
        .size:           4
        .value_kind:     hidden_block_count_z
      - .offset:         220
        .size:           2
        .value_kind:     hidden_group_size_x
      - .offset:         222
        .size:           2
        .value_kind:     hidden_group_size_y
      - .offset:         224
        .size:           2
        .value_kind:     hidden_group_size_z
      - .offset:         226
        .size:           2
        .value_kind:     hidden_remainder_x
      - .offset:         228
        .size:           2
        .value_kind:     hidden_remainder_y
      - .offset:         230
        .size:           2
        .value_kind:     hidden_remainder_z
      - .offset:         248
        .size:           8
        .value_kind:     hidden_global_offset_x
      - .offset:         256
        .size:           8
        .value_kind:     hidden_global_offset_y
      - .offset:         264
        .size:           8
        .value_kind:     hidden_global_offset_z
      - .offset:         272
        .size:           2
        .value_kind:     hidden_grid_dims
    .group_segment_fixed_size: 8672
    .kernarg_segment_align: 8
    .kernarg_segment_size: 464
    .language:       OpenCL C
    .language_version:
      - 2
      - 0
    .max_flat_workgroup_size: 256
    .name:           _ZL15flash_attn_tileILi72ELi72ELi2ELi8ELb0EEvPKcS1_S1_S1_S1_PKiPfP15HIP_vector_typeIfLj2EEffffjfiS5_IjLj3EEiiiiiiiiiiiliiliiiiil
    .private_segment_fixed_size: 0
    .sgpr_count:     44
    .sgpr_spill_count: 0
    .symbol:         _ZL15flash_attn_tileILi72ELi72ELi2ELi8ELb0EEvPKcS1_S1_S1_S1_PKiPfP15HIP_vector_typeIfLj2EEffffjfiS5_IjLj3EEiiiiiiiiiiiliiliiiiil.kd
    .uniform_work_group_size: 1
    .uses_dynamic_stack: false
    .vgpr_count:     140
    .vgpr_spill_count: 0
    .wavefront_size: 32
  - .args:
      - .actual_access:  read_only
        .address_space:  global
        .offset:         0
        .size:           8
        .value_kind:     global_buffer
      - .actual_access:  write_only
        .address_space:  global
        .offset:         8
        .size:           8
        .value_kind:     global_buffer
      - .offset:         16
        .size:           4
        .value_kind:     by_value
      - .offset:         20
        .size:           4
        .value_kind:     by_value
      - .offset:         24
        .size:           4
        .value_kind:     by_value
      - .offset:         32
        .size:           4
        .value_kind:     hidden_block_count_x
      - .offset:         36
        .size:           4
        .value_kind:     hidden_block_count_y
      - .offset:         40
        .size:           4
        .value_kind:     hidden_block_count_z
      - .offset:         44
        .size:           2
        .value_kind:     hidden_group_size_x
      - .offset:         46
        .size:           2
        .value_kind:     hidden_group_size_y
      - .offset:         48
        .size:           2
        .value_kind:     hidden_group_size_z
      - .offset:         50
        .size:           2
        .value_kind:     hidden_remainder_x
      - .offset:         52
        .size:           2
        .value_kind:     hidden_remainder_y
      - .offset:         54
        .size:           2
        .value_kind:     hidden_remainder_z
      - .offset:         72
        .size:           8
        .value_kind:     hidden_global_offset_x
      - .offset:         80
        .size:           8
        .value_kind:     hidden_global_offset_y
      - .offset:         88
        .size:           8
        .value_kind:     hidden_global_offset_z
      - .offset:         96
        .size:           2
        .value_kind:     hidden_grid_dims
    .group_segment_fixed_size: 128
    .kernarg_segment_align: 8
    .kernarg_segment_size: 288
    .language:       OpenCL C
    .language_version:
      - 2
      - 0
    .max_flat_workgroup_size: 128
    .name:           _ZL25flash_attn_mask_to_KV_maxILi2EEvPK7__half2Piiii
    .private_segment_fixed_size: 0
    .sgpr_count:     17
    .sgpr_spill_count: 0
    .symbol:         _ZL25flash_attn_mask_to_KV_maxILi2EEvPK7__half2Piiii.kd
    .uniform_work_group_size: 1
    .uses_dynamic_stack: false
    .vgpr_count:     6
    .vgpr_spill_count: 0
    .wavefront_size: 32
  - .args:
      - .address_space:  global
        .offset:         0
        .size:           8
        .value_kind:     global_buffer
      - .address_space:  global
        .offset:         8
        .size:           8
        .value_kind:     global_buffer
      - .offset:         16
        .size:           4
        .value_kind:     by_value
      - .offset:         20
        .size:           4
        .value_kind:     by_value
      - .offset:         24
        .size:           4
        .value_kind:     by_value
      - .offset:         28
        .size:           4
        .value_kind:     by_value
      - .offset:         32
        .size:           4
        .value_kind:     by_value
      - .offset:         36
        .size:           4
        .value_kind:     by_value
      - .offset:         40
        .size:           12
        .value_kind:     by_value
      - .offset:         52
        .size:           12
        .value_kind:     by_value
      - .offset:         64
        .size:           12
        .value_kind:     by_value
    .group_segment_fixed_size: 0
    .kernarg_segment_align: 8
    .kernarg_segment_size: 76
    .language:       OpenCL C
    .language_version:
      - 2
      - 0
    .max_flat_workgroup_size: 72
    .name:           _ZL33flash_attn_stream_k_fixup_uniformILi72ELi2ELi8EEvPfPK15HIP_vector_typeIfLj2EEiiiiiiS1_IjLj3EES5_S5_
    .private_segment_fixed_size: 0
    .sgpr_count:     23
    .sgpr_spill_count: 0
    .symbol:         _ZL33flash_attn_stream_k_fixup_uniformILi72ELi2ELi8EEvPfPK15HIP_vector_typeIfLj2EEiiiiiiS1_IjLj3EES5_S5_.kd
    .uniform_work_group_size: 1
    .uses_dynamic_stack: false
    .vgpr_count:     12
    .vgpr_spill_count: 0
    .wavefront_size: 32
  - .args:
      - .address_space:  global
        .offset:         0
        .size:           8
        .value_kind:     global_buffer
      - .address_space:  global
        .offset:         8
        .size:           8
        .value_kind:     global_buffer
      - .offset:         16
        .size:           4
        .value_kind:     by_value
      - .offset:         20
        .size:           4
        .value_kind:     by_value
      - .offset:         24
        .size:           4
        .value_kind:     by_value
      - .offset:         28
        .size:           4
        .value_kind:     by_value
      - .offset:         32
        .size:           12
        .value_kind:     by_value
      - .offset:         44
        .size:           12
        .value_kind:     by_value
      - .offset:         56
        .size:           12
        .value_kind:     by_value
      - .offset:         68
        .size:           12
        .value_kind:     by_value
      - .offset:         80
        .size:           4
        .value_kind:     hidden_block_count_x
      - .offset:         84
        .size:           4
        .value_kind:     hidden_block_count_y
      - .offset:         88
        .size:           4
        .value_kind:     hidden_block_count_z
      - .offset:         92
        .size:           2
        .value_kind:     hidden_group_size_x
      - .offset:         94
        .size:           2
        .value_kind:     hidden_group_size_y
      - .offset:         96
        .size:           2
        .value_kind:     hidden_group_size_z
      - .offset:         98
        .size:           2
        .value_kind:     hidden_remainder_x
      - .offset:         100
        .size:           2
        .value_kind:     hidden_remainder_y
      - .offset:         102
        .size:           2
        .value_kind:     hidden_remainder_z
      - .offset:         120
        .size:           8
        .value_kind:     hidden_global_offset_x
      - .offset:         128
        .size:           8
        .value_kind:     hidden_global_offset_y
      - .offset:         136
        .size:           8
        .value_kind:     hidden_global_offset_z
      - .offset:         144
        .size:           2
        .value_kind:     hidden_grid_dims
    .group_segment_fixed_size: 0
    .kernarg_segment_align: 8
    .kernarg_segment_size: 336
    .language:       OpenCL C
    .language_version:
      - 2
      - 0
    .max_flat_workgroup_size: 72
    .name:           _ZL33flash_attn_stream_k_fixup_generalILi72ELi2ELi8EEvPfPK15HIP_vector_typeIfLj2EEiiiiS1_IjLj3EES5_S5_S5_
    .private_segment_fixed_size: 0
    .sgpr_count:     48
    .sgpr_spill_count: 0
    .symbol:         _ZL33flash_attn_stream_k_fixup_generalILi72ELi2ELi8EEvPfPK15HIP_vector_typeIfLj2EEiiiiS1_IjLj3EES5_S5_S5_.kd
    .uniform_work_group_size: 1
    .uses_dynamic_stack: false
    .vgpr_count:     12
    .vgpr_spill_count: 0
    .wavefront_size: 32
  - .args:
      - .address_space:  global
        .offset:         0
        .size:           8
        .value_kind:     global_buffer
      - .address_space:  global
        .offset:         8
        .size:           8
        .value_kind:     global_buffer
      - .address_space:  global
        .offset:         16
        .size:           8
        .value_kind:     global_buffer
      - .address_space:  global
        .offset:         24
        .size:           8
        .value_kind:     global_buffer
      - .address_space:  global
        .offset:         32
        .size:           8
        .value_kind:     global_buffer
      - .address_space:  global
        .offset:         40
        .size:           8
        .value_kind:     global_buffer
      - .address_space:  global
        .offset:         48
        .size:           8
        .value_kind:     global_buffer
      - .address_space:  global
        .offset:         56
        .size:           8
        .value_kind:     global_buffer
      - .offset:         64
        .size:           4
        .value_kind:     by_value
      - .offset:         68
        .size:           4
        .value_kind:     by_value
      - .offset:         72
        .size:           4
        .value_kind:     by_value
      - .offset:         76
        .size:           4
        .value_kind:     by_value
      - .offset:         80
        .size:           4
        .value_kind:     by_value
      - .offset:         84
        .size:           4
        .value_kind:     by_value
      - .offset:         88
        .size:           4
        .value_kind:     by_value
      - .offset:         92
        .size:           12
        .value_kind:     by_value
      - .offset:         104
        .size:           4
        .value_kind:     by_value
      - .offset:         108
        .size:           4
        .value_kind:     by_value
      - .offset:         112
        .size:           4
        .value_kind:     by_value
      - .offset:         116
        .size:           4
        .value_kind:     by_value
      - .offset:         120
        .size:           4
        .value_kind:     by_value
      - .offset:         124
        .size:           4
        .value_kind:     by_value
      - .offset:         128
        .size:           4
        .value_kind:     by_value
      - .offset:         132
        .size:           4
        .value_kind:     by_value
      - .offset:         136
        .size:           4
        .value_kind:     by_value
      - .offset:         140
        .size:           4
        .value_kind:     by_value
      - .offset:         144
        .size:           4
        .value_kind:     by_value
      - .offset:         152
        .size:           8
        .value_kind:     by_value
      - .offset:         160
        .size:           4
        .value_kind:     by_value
      - .offset:         164
        .size:           4
        .value_kind:     by_value
      - .offset:         168
        .size:           8
        .value_kind:     by_value
      - .offset:         176
        .size:           4
        .value_kind:     by_value
      - .offset:         180
        .size:           4
        .value_kind:     by_value
      - .offset:         184
        .size:           4
        .value_kind:     by_value
      - .offset:         188
        .size:           4
        .value_kind:     by_value
      - .offset:         192
        .size:           4
        .value_kind:     by_value
      - .offset:         200
        .size:           8
        .value_kind:     by_value
      - .offset:         208
        .size:           4
        .value_kind:     hidden_block_count_x
      - .offset:         212
        .size:           4
        .value_kind:     hidden_block_count_y
      - .offset:         216
        .size:           4
        .value_kind:     hidden_block_count_z
      - .offset:         220
        .size:           2
        .value_kind:     hidden_group_size_x
      - .offset:         222
        .size:           2
        .value_kind:     hidden_group_size_y
      - .offset:         224
        .size:           2
        .value_kind:     hidden_group_size_z
      - .offset:         226
        .size:           2
        .value_kind:     hidden_remainder_x
      - .offset:         228
        .size:           2
        .value_kind:     hidden_remainder_y
      - .offset:         230
        .size:           2
        .value_kind:     hidden_remainder_z
      - .offset:         248
        .size:           8
        .value_kind:     hidden_global_offset_x
      - .offset:         256
        .size:           8
        .value_kind:     hidden_global_offset_y
      - .offset:         264
        .size:           8
        .value_kind:     hidden_global_offset_z
      - .offset:         272
        .size:           2
        .value_kind:     hidden_grid_dims
    .group_segment_fixed_size: 7008
    .kernarg_segment_align: 8
    .kernarg_segment_size: 464
    .language:       OpenCL C
    .language_version:
      - 2
      - 0
    .max_flat_workgroup_size: 256
    .name:           _ZL15flash_attn_tileILi72ELi72ELi1ELi8ELb0EEvPKcS1_S1_S1_S1_PKiPfP15HIP_vector_typeIfLj2EEffffjfiS5_IjLj3EEiiiiiiiiiiiliiliiiiil
    .private_segment_fixed_size: 0
    .sgpr_count:     48
    .sgpr_spill_count: 0
    .symbol:         _ZL15flash_attn_tileILi72ELi72ELi1ELi8ELb0EEvPKcS1_S1_S1_S1_PKiPfP15HIP_vector_typeIfLj2EEffffjfiS5_IjLj3EEiiiiiiiiiiiliiliiiiil.kd
    .uniform_work_group_size: 1
    .uses_dynamic_stack: false
    .vgpr_count:     65
    .vgpr_spill_count: 0
    .wavefront_size: 32
  - .args:
      - .actual_access:  read_only
        .address_space:  global
        .offset:         0
        .size:           8
        .value_kind:     global_buffer
      - .actual_access:  write_only
        .address_space:  global
        .offset:         8
        .size:           8
        .value_kind:     global_buffer
      - .offset:         16
        .size:           4
        .value_kind:     by_value
      - .offset:         20
        .size:           4
        .value_kind:     by_value
      - .offset:         24
        .size:           4
        .value_kind:     by_value
      - .offset:         32
        .size:           4
        .value_kind:     hidden_block_count_x
      - .offset:         36
        .size:           4
        .value_kind:     hidden_block_count_y
      - .offset:         40
        .size:           4
        .value_kind:     hidden_block_count_z
      - .offset:         44
        .size:           2
        .value_kind:     hidden_group_size_x
      - .offset:         46
        .size:           2
        .value_kind:     hidden_group_size_y
      - .offset:         48
        .size:           2
        .value_kind:     hidden_group_size_z
      - .offset:         50
        .size:           2
        .value_kind:     hidden_remainder_x
      - .offset:         52
        .size:           2
        .value_kind:     hidden_remainder_y
      - .offset:         54
        .size:           2
        .value_kind:     hidden_remainder_z
      - .offset:         72
        .size:           8
        .value_kind:     hidden_global_offset_x
      - .offset:         80
        .size:           8
        .value_kind:     hidden_global_offset_y
      - .offset:         88
        .size:           8
        .value_kind:     hidden_global_offset_z
      - .offset:         96
        .size:           2
        .value_kind:     hidden_grid_dims
    .group_segment_fixed_size: 128
    .kernarg_segment_align: 8
    .kernarg_segment_size: 288
    .language:       OpenCL C
    .language_version:
      - 2
      - 0
    .max_flat_workgroup_size: 128
    .name:           _ZL25flash_attn_mask_to_KV_maxILi1EEvPK7__half2Piiii
    .private_segment_fixed_size: 0
    .sgpr_count:     15
    .sgpr_spill_count: 0
    .symbol:         _ZL25flash_attn_mask_to_KV_maxILi1EEvPK7__half2Piiii.kd
    .uniform_work_group_size: 1
    .uses_dynamic_stack: false
    .vgpr_count:     5
    .vgpr_spill_count: 0
    .wavefront_size: 32
  - .args:
      - .address_space:  global
        .offset:         0
        .size:           8
        .value_kind:     global_buffer
      - .address_space:  global
        .offset:         8
        .size:           8
        .value_kind:     global_buffer
      - .offset:         16
        .size:           4
        .value_kind:     by_value
      - .offset:         20
        .size:           4
        .value_kind:     by_value
      - .offset:         24
        .size:           4
        .value_kind:     by_value
      - .offset:         28
        .size:           4
        .value_kind:     by_value
      - .offset:         32
        .size:           4
        .value_kind:     by_value
      - .offset:         36
        .size:           4
        .value_kind:     by_value
      - .offset:         40
        .size:           12
        .value_kind:     by_value
      - .offset:         52
        .size:           12
        .value_kind:     by_value
      - .offset:         64
        .size:           12
        .value_kind:     by_value
    .group_segment_fixed_size: 0
    .kernarg_segment_align: 8
    .kernarg_segment_size: 76
    .language:       OpenCL C
    .language_version:
      - 2
      - 0
    .max_flat_workgroup_size: 72
    .name:           _ZL33flash_attn_stream_k_fixup_uniformILi72ELi1ELi8EEvPfPK15HIP_vector_typeIfLj2EEiiiiiiS1_IjLj3EES5_S5_
    .private_segment_fixed_size: 0
    .sgpr_count:     23
    .sgpr_spill_count: 0
    .symbol:         _ZL33flash_attn_stream_k_fixup_uniformILi72ELi1ELi8EEvPfPK15HIP_vector_typeIfLj2EEiiiiiiS1_IjLj3EES5_S5_.kd
    .uniform_work_group_size: 1
    .uses_dynamic_stack: false
    .vgpr_count:     12
    .vgpr_spill_count: 0
    .wavefront_size: 32
  - .args:
      - .address_space:  global
        .offset:         0
        .size:           8
        .value_kind:     global_buffer
      - .address_space:  global
        .offset:         8
        .size:           8
        .value_kind:     global_buffer
      - .offset:         16
        .size:           4
        .value_kind:     by_value
      - .offset:         20
        .size:           4
        .value_kind:     by_value
      - .offset:         24
        .size:           4
        .value_kind:     by_value
      - .offset:         28
        .size:           4
        .value_kind:     by_value
      - .offset:         32
        .size:           12
        .value_kind:     by_value
      - .offset:         44
        .size:           12
        .value_kind:     by_value
      - .offset:         56
        .size:           12
        .value_kind:     by_value
      - .offset:         68
        .size:           12
        .value_kind:     by_value
      - .offset:         80
        .size:           4
        .value_kind:     hidden_block_count_x
      - .offset:         84
        .size:           4
        .value_kind:     hidden_block_count_y
      - .offset:         88
        .size:           4
        .value_kind:     hidden_block_count_z
      - .offset:         92
        .size:           2
        .value_kind:     hidden_group_size_x
      - .offset:         94
        .size:           2
        .value_kind:     hidden_group_size_y
      - .offset:         96
        .size:           2
        .value_kind:     hidden_group_size_z
      - .offset:         98
        .size:           2
        .value_kind:     hidden_remainder_x
      - .offset:         100
        .size:           2
        .value_kind:     hidden_remainder_y
      - .offset:         102
        .size:           2
        .value_kind:     hidden_remainder_z
      - .offset:         120
        .size:           8
        .value_kind:     hidden_global_offset_x
      - .offset:         128
        .size:           8
        .value_kind:     hidden_global_offset_y
      - .offset:         136
        .size:           8
        .value_kind:     hidden_global_offset_z
      - .offset:         144
        .size:           2
        .value_kind:     hidden_grid_dims
    .group_segment_fixed_size: 0
    .kernarg_segment_align: 8
    .kernarg_segment_size: 336
    .language:       OpenCL C
    .language_version:
      - 2
      - 0
    .max_flat_workgroup_size: 72
    .name:           _ZL33flash_attn_stream_k_fixup_generalILi72ELi1ELi8EEvPfPK15HIP_vector_typeIfLj2EEiiiiS1_IjLj3EES5_S5_S5_
    .private_segment_fixed_size: 0
    .sgpr_count:     48
    .sgpr_spill_count: 0
    .symbol:         _ZL33flash_attn_stream_k_fixup_generalILi72ELi1ELi8EEvPfPK15HIP_vector_typeIfLj2EEiiiiS1_IjLj3EES5_S5_S5_.kd
    .uniform_work_group_size: 1
    .uses_dynamic_stack: false
    .vgpr_count:     12
    .vgpr_spill_count: 0
    .wavefront_size: 32
  - .args:
      - .address_space:  global
        .offset:         0
        .size:           8
        .value_kind:     global_buffer
      - .address_space:  global
        .offset:         8
        .size:           8
        .value_kind:     global_buffer
      - .address_space:  global
        .offset:         16
        .size:           8
        .value_kind:     global_buffer
      - .address_space:  global
        .offset:         24
        .size:           8
        .value_kind:     global_buffer
      - .address_space:  global
        .offset:         32
        .size:           8
        .value_kind:     global_buffer
      - .address_space:  global
        .offset:         40
        .size:           8
        .value_kind:     global_buffer
      - .address_space:  global
        .offset:         48
        .size:           8
        .value_kind:     global_buffer
      - .address_space:  global
        .offset:         56
        .size:           8
        .value_kind:     global_buffer
      - .offset:         64
        .size:           4
        .value_kind:     by_value
      - .offset:         68
        .size:           4
        .value_kind:     by_value
      - .offset:         72
        .size:           4
        .value_kind:     by_value
      - .offset:         76
        .size:           4
        .value_kind:     by_value
      - .offset:         80
        .size:           4
        .value_kind:     by_value
      - .offset:         84
        .size:           4
        .value_kind:     by_value
      - .offset:         88
        .size:           4
        .value_kind:     by_value
      - .offset:         92
        .size:           12
        .value_kind:     by_value
      - .offset:         104
        .size:           4
        .value_kind:     by_value
      - .offset:         108
        .size:           4
        .value_kind:     by_value
      - .offset:         112
        .size:           4
        .value_kind:     by_value
      - .offset:         116
        .size:           4
        .value_kind:     by_value
      - .offset:         120
        .size:           4
        .value_kind:     by_value
      - .offset:         124
        .size:           4
        .value_kind:     by_value
      - .offset:         128
        .size:           4
        .value_kind:     by_value
      - .offset:         132
        .size:           4
        .value_kind:     by_value
      - .offset:         136
        .size:           4
        .value_kind:     by_value
      - .offset:         140
        .size:           4
        .value_kind:     by_value
      - .offset:         144
        .size:           4
        .value_kind:     by_value
      - .offset:         152
        .size:           8
        .value_kind:     by_value
      - .offset:         160
        .size:           4
        .value_kind:     by_value
      - .offset:         164
        .size:           4
        .value_kind:     by_value
      - .offset:         168
        .size:           8
        .value_kind:     by_value
      - .offset:         176
        .size:           4
        .value_kind:     by_value
      - .offset:         180
        .size:           4
        .value_kind:     by_value
      - .offset:         184
        .size:           4
        .value_kind:     by_value
      - .offset:         188
        .size:           4
        .value_kind:     by_value
      - .offset:         192
        .size:           4
        .value_kind:     by_value
      - .offset:         200
        .size:           8
        .value_kind:     by_value
      - .offset:         208
        .size:           4
        .value_kind:     hidden_block_count_x
      - .offset:         212
        .size:           4
        .value_kind:     hidden_block_count_y
      - .offset:         216
        .size:           4
        .value_kind:     hidden_block_count_z
      - .offset:         220
        .size:           2
        .value_kind:     hidden_group_size_x
      - .offset:         222
        .size:           2
        .value_kind:     hidden_group_size_y
      - .offset:         224
        .size:           2
        .value_kind:     hidden_group_size_z
      - .offset:         226
        .size:           2
        .value_kind:     hidden_remainder_x
      - .offset:         228
        .size:           2
        .value_kind:     hidden_remainder_y
      - .offset:         230
        .size:           2
        .value_kind:     hidden_remainder_z
      - .offset:         248
        .size:           8
        .value_kind:     hidden_global_offset_x
      - .offset:         256
        .size:           8
        .value_kind:     hidden_global_offset_y
      - .offset:         264
        .size:           8
        .value_kind:     hidden_global_offset_z
      - .offset:         272
        .size:           2
        .value_kind:     hidden_grid_dims
    .group_segment_fixed_size: 18656
    .kernarg_segment_align: 8
    .kernarg_segment_size: 464
    .language:       OpenCL C
    .language_version:
      - 2
      - 0
    .max_flat_workgroup_size: 256
    .name:           _ZL15flash_attn_tileILi72ELi72ELi16ELi4ELb0EEvPKcS1_S1_S1_S1_PKiPfP15HIP_vector_typeIfLj2EEffffjfiS5_IjLj3EEiiiiiiiiiiiliiliiiiil
    .private_segment_fixed_size: 0
    .sgpr_count:     51
    .sgpr_spill_count: 0
    .symbol:         _ZL15flash_attn_tileILi72ELi72ELi16ELi4ELb0EEvPKcS1_S1_S1_S1_PKiPfP15HIP_vector_typeIfLj2EEffffjfiS5_IjLj3EEiiiiiiiiiiiliiliiiiil.kd
    .uniform_work_group_size: 1
    .uses_dynamic_stack: false
    .vgpr_count:     143
    .vgpr_spill_count: 0
    .wavefront_size: 32
  - .args:
      - .actual_access:  read_only
        .address_space:  global
        .offset:         0
        .size:           8
        .value_kind:     global_buffer
      - .actual_access:  write_only
        .address_space:  global
        .offset:         8
        .size:           8
        .value_kind:     global_buffer
      - .offset:         16
        .size:           4
        .value_kind:     by_value
      - .offset:         20
        .size:           4
        .value_kind:     by_value
      - .offset:         24
        .size:           4
        .value_kind:     by_value
      - .offset:         32
        .size:           4
        .value_kind:     hidden_block_count_x
      - .offset:         36
        .size:           4
        .value_kind:     hidden_block_count_y
      - .offset:         40
        .size:           4
        .value_kind:     hidden_block_count_z
      - .offset:         44
        .size:           2
        .value_kind:     hidden_group_size_x
      - .offset:         46
        .size:           2
        .value_kind:     hidden_group_size_y
      - .offset:         48
        .size:           2
        .value_kind:     hidden_group_size_z
      - .offset:         50
        .size:           2
        .value_kind:     hidden_remainder_x
      - .offset:         52
        .size:           2
        .value_kind:     hidden_remainder_y
      - .offset:         54
        .size:           2
        .value_kind:     hidden_remainder_z
      - .offset:         72
        .size:           8
        .value_kind:     hidden_global_offset_x
      - .offset:         80
        .size:           8
        .value_kind:     hidden_global_offset_y
      - .offset:         88
        .size:           8
        .value_kind:     hidden_global_offset_z
      - .offset:         96
        .size:           2
        .value_kind:     hidden_grid_dims
    .group_segment_fixed_size: 128
    .kernarg_segment_align: 8
    .kernarg_segment_size: 288
    .language:       OpenCL C
    .language_version:
      - 2
      - 0
    .max_flat_workgroup_size: 128
    .name:           _ZL25flash_attn_mask_to_KV_maxILi16EEvPK7__half2Piiii
    .private_segment_fixed_size: 0
    .sgpr_count:     46
    .sgpr_spill_count: 0
    .symbol:         _ZL25flash_attn_mask_to_KV_maxILi16EEvPK7__half2Piiii.kd
    .uniform_work_group_size: 1
    .uses_dynamic_stack: false
    .vgpr_count:     6
    .vgpr_spill_count: 0
    .wavefront_size: 32
  - .args:
      - .address_space:  global
        .offset:         0
        .size:           8
        .value_kind:     global_buffer
      - .address_space:  global
        .offset:         8
        .size:           8
        .value_kind:     global_buffer
      - .offset:         16
        .size:           4
        .value_kind:     by_value
      - .offset:         20
        .size:           4
        .value_kind:     by_value
      - .offset:         24
        .size:           4
        .value_kind:     by_value
      - .offset:         28
        .size:           4
        .value_kind:     by_value
      - .offset:         32
        .size:           4
        .value_kind:     by_value
      - .offset:         36
        .size:           4
        .value_kind:     by_value
      - .offset:         40
        .size:           12
        .value_kind:     by_value
      - .offset:         52
        .size:           12
        .value_kind:     by_value
      - .offset:         64
        .size:           12
        .value_kind:     by_value
    .group_segment_fixed_size: 0
    .kernarg_segment_align: 8
    .kernarg_segment_size: 76
    .language:       OpenCL C
    .language_version:
      - 2
      - 0
    .max_flat_workgroup_size: 72
    .name:           _ZL33flash_attn_stream_k_fixup_uniformILi72ELi16ELi4EEvPfPK15HIP_vector_typeIfLj2EEiiiiiiS1_IjLj3EES5_S5_
    .private_segment_fixed_size: 0
    .sgpr_count:     23
    .sgpr_spill_count: 0
    .symbol:         _ZL33flash_attn_stream_k_fixup_uniformILi72ELi16ELi4EEvPfPK15HIP_vector_typeIfLj2EEiiiiiiS1_IjLj3EES5_S5_.kd
    .uniform_work_group_size: 1
    .uses_dynamic_stack: false
    .vgpr_count:     12
    .vgpr_spill_count: 0
    .wavefront_size: 32
  - .args:
      - .address_space:  global
        .offset:         0
        .size:           8
        .value_kind:     global_buffer
      - .address_space:  global
        .offset:         8
        .size:           8
        .value_kind:     global_buffer
      - .offset:         16
        .size:           4
        .value_kind:     by_value
      - .offset:         20
        .size:           4
        .value_kind:     by_value
      - .offset:         24
        .size:           4
        .value_kind:     by_value
      - .offset:         28
        .size:           4
        .value_kind:     by_value
      - .offset:         32
        .size:           12
        .value_kind:     by_value
      - .offset:         44
        .size:           12
        .value_kind:     by_value
      - .offset:         56
        .size:           12
        .value_kind:     by_value
      - .offset:         68
        .size:           12
        .value_kind:     by_value
      - .offset:         80
        .size:           4
        .value_kind:     hidden_block_count_x
      - .offset:         84
        .size:           4
        .value_kind:     hidden_block_count_y
      - .offset:         88
        .size:           4
        .value_kind:     hidden_block_count_z
      - .offset:         92
        .size:           2
        .value_kind:     hidden_group_size_x
      - .offset:         94
        .size:           2
        .value_kind:     hidden_group_size_y
      - .offset:         96
        .size:           2
        .value_kind:     hidden_group_size_z
      - .offset:         98
        .size:           2
        .value_kind:     hidden_remainder_x
      - .offset:         100
        .size:           2
        .value_kind:     hidden_remainder_y
      - .offset:         102
        .size:           2
        .value_kind:     hidden_remainder_z
      - .offset:         120
        .size:           8
        .value_kind:     hidden_global_offset_x
      - .offset:         128
        .size:           8
        .value_kind:     hidden_global_offset_y
      - .offset:         136
        .size:           8
        .value_kind:     hidden_global_offset_z
      - .offset:         144
        .size:           2
        .value_kind:     hidden_grid_dims
    .group_segment_fixed_size: 0
    .kernarg_segment_align: 8
    .kernarg_segment_size: 336
    .language:       OpenCL C
    .language_version:
      - 2
      - 0
    .max_flat_workgroup_size: 72
    .name:           _ZL33flash_attn_stream_k_fixup_generalILi72ELi16ELi4EEvPfPK15HIP_vector_typeIfLj2EEiiiiS1_IjLj3EES5_S5_S5_
    .private_segment_fixed_size: 0
    .sgpr_count:     48
    .sgpr_spill_count: 0
    .symbol:         _ZL33flash_attn_stream_k_fixup_generalILi72ELi16ELi4EEvPfPK15HIP_vector_typeIfLj2EEiiiiS1_IjLj3EES5_S5_S5_.kd
    .uniform_work_group_size: 1
    .uses_dynamic_stack: false
    .vgpr_count:     12
    .vgpr_spill_count: 0
    .wavefront_size: 32
  - .args:
      - .address_space:  global
        .offset:         0
        .size:           8
        .value_kind:     global_buffer
      - .address_space:  global
        .offset:         8
        .size:           8
        .value_kind:     global_buffer
      - .address_space:  global
        .offset:         16
        .size:           8
        .value_kind:     global_buffer
      - .address_space:  global
        .offset:         24
        .size:           8
        .value_kind:     global_buffer
      - .address_space:  global
        .offset:         32
        .size:           8
        .value_kind:     global_buffer
      - .address_space:  global
        .offset:         40
        .size:           8
        .value_kind:     global_buffer
      - .address_space:  global
        .offset:         48
        .size:           8
        .value_kind:     global_buffer
      - .address_space:  global
        .offset:         56
        .size:           8
        .value_kind:     global_buffer
      - .offset:         64
        .size:           4
        .value_kind:     by_value
      - .offset:         68
        .size:           4
        .value_kind:     by_value
      - .offset:         72
        .size:           4
        .value_kind:     by_value
      - .offset:         76
        .size:           4
        .value_kind:     by_value
      - .offset:         80
        .size:           4
        .value_kind:     by_value
      - .offset:         84
        .size:           4
        .value_kind:     by_value
      - .offset:         88
        .size:           4
        .value_kind:     by_value
      - .offset:         92
        .size:           12
        .value_kind:     by_value
      - .offset:         104
        .size:           4
        .value_kind:     by_value
      - .offset:         108
        .size:           4
        .value_kind:     by_value
      - .offset:         112
        .size:           4
        .value_kind:     by_value
      - .offset:         116
        .size:           4
        .value_kind:     by_value
      - .offset:         120
        .size:           4
        .value_kind:     by_value
      - .offset:         124
        .size:           4
        .value_kind:     by_value
      - .offset:         128
        .size:           4
        .value_kind:     by_value
      - .offset:         132
        .size:           4
        .value_kind:     by_value
      - .offset:         136
        .size:           4
        .value_kind:     by_value
      - .offset:         140
        .size:           4
        .value_kind:     by_value
      - .offset:         144
        .size:           4
        .value_kind:     by_value
      - .offset:         152
        .size:           8
        .value_kind:     by_value
      - .offset:         160
        .size:           4
        .value_kind:     by_value
      - .offset:         164
        .size:           4
        .value_kind:     by_value
      - .offset:         168
        .size:           8
        .value_kind:     by_value
      - .offset:         176
        .size:           4
        .value_kind:     by_value
      - .offset:         180
        .size:           4
        .value_kind:     by_value
      - .offset:         184
        .size:           4
        .value_kind:     by_value
      - .offset:         188
        .size:           4
        .value_kind:     by_value
      - .offset:         192
        .size:           4
        .value_kind:     by_value
      - .offset:         200
        .size:           8
        .value_kind:     by_value
      - .offset:         208
        .size:           4
        .value_kind:     hidden_block_count_x
      - .offset:         212
        .size:           4
        .value_kind:     hidden_block_count_y
      - .offset:         216
        .size:           4
        .value_kind:     hidden_block_count_z
      - .offset:         220
        .size:           2
        .value_kind:     hidden_group_size_x
      - .offset:         222
        .size:           2
        .value_kind:     hidden_group_size_y
      - .offset:         224
        .size:           2
        .value_kind:     hidden_group_size_z
      - .offset:         226
        .size:           2
        .value_kind:     hidden_remainder_x
      - .offset:         228
        .size:           2
        .value_kind:     hidden_remainder_y
      - .offset:         230
        .size:           2
        .value_kind:     hidden_remainder_z
      - .offset:         248
        .size:           8
        .value_kind:     hidden_global_offset_x
      - .offset:         256
        .size:           8
        .value_kind:     hidden_global_offset_y
      - .offset:         264
        .size:           8
        .value_kind:     hidden_global_offset_z
      - .offset:         272
        .size:           2
        .value_kind:     hidden_grid_dims
    .group_segment_fixed_size: 12000
    .kernarg_segment_align: 8
    .kernarg_segment_size: 464
    .language:       OpenCL C
    .language_version:
      - 2
      - 0
    .max_flat_workgroup_size: 256
    .name:           _ZL15flash_attn_tileILi72ELi72ELi8ELi4ELb0EEvPKcS1_S1_S1_S1_PKiPfP15HIP_vector_typeIfLj2EEffffjfiS5_IjLj3EEiiiiiiiiiiiliiliiiiil
    .private_segment_fixed_size: 0
    .sgpr_count:     45
    .sgpr_spill_count: 0
    .symbol:         _ZL15flash_attn_tileILi72ELi72ELi8ELi4ELb0EEvPKcS1_S1_S1_S1_PKiPfP15HIP_vector_typeIfLj2EEffffjfiS5_IjLj3EEiiiiiiiiiiiliiliiiiil.kd
    .uniform_work_group_size: 1
    .uses_dynamic_stack: false
    .vgpr_count:     147
    .vgpr_spill_count: 0
    .wavefront_size: 32
  - .args:
      - .address_space:  global
        .offset:         0
        .size:           8
        .value_kind:     global_buffer
      - .address_space:  global
        .offset:         8
        .size:           8
        .value_kind:     global_buffer
      - .offset:         16
        .size:           4
        .value_kind:     by_value
      - .offset:         20
        .size:           4
        .value_kind:     by_value
      - .offset:         24
        .size:           4
        .value_kind:     by_value
      - .offset:         28
        .size:           4
        .value_kind:     by_value
      - .offset:         32
        .size:           4
        .value_kind:     by_value
      - .offset:         36
        .size:           4
        .value_kind:     by_value
      - .offset:         40
        .size:           12
        .value_kind:     by_value
      - .offset:         52
        .size:           12
        .value_kind:     by_value
      - .offset:         64
        .size:           12
        .value_kind:     by_value
    .group_segment_fixed_size: 0
    .kernarg_segment_align: 8
    .kernarg_segment_size: 76
    .language:       OpenCL C
    .language_version:
      - 2
      - 0
    .max_flat_workgroup_size: 72
    .name:           _ZL33flash_attn_stream_k_fixup_uniformILi72ELi8ELi4EEvPfPK15HIP_vector_typeIfLj2EEiiiiiiS1_IjLj3EES5_S5_
    .private_segment_fixed_size: 0
    .sgpr_count:     23
    .sgpr_spill_count: 0
    .symbol:         _ZL33flash_attn_stream_k_fixup_uniformILi72ELi8ELi4EEvPfPK15HIP_vector_typeIfLj2EEiiiiiiS1_IjLj3EES5_S5_.kd
    .uniform_work_group_size: 1
    .uses_dynamic_stack: false
    .vgpr_count:     12
    .vgpr_spill_count: 0
    .wavefront_size: 32
  - .args:
      - .address_space:  global
        .offset:         0
        .size:           8
        .value_kind:     global_buffer
      - .address_space:  global
        .offset:         8
        .size:           8
        .value_kind:     global_buffer
      - .offset:         16
        .size:           4
        .value_kind:     by_value
      - .offset:         20
        .size:           4
        .value_kind:     by_value
      - .offset:         24
        .size:           4
        .value_kind:     by_value
      - .offset:         28
        .size:           4
        .value_kind:     by_value
      - .offset:         32
        .size:           12
        .value_kind:     by_value
      - .offset:         44
        .size:           12
        .value_kind:     by_value
      - .offset:         56
        .size:           12
        .value_kind:     by_value
      - .offset:         68
        .size:           12
        .value_kind:     by_value
      - .offset:         80
        .size:           4
        .value_kind:     hidden_block_count_x
      - .offset:         84
        .size:           4
        .value_kind:     hidden_block_count_y
      - .offset:         88
        .size:           4
        .value_kind:     hidden_block_count_z
      - .offset:         92
        .size:           2
        .value_kind:     hidden_group_size_x
      - .offset:         94
        .size:           2
        .value_kind:     hidden_group_size_y
      - .offset:         96
        .size:           2
        .value_kind:     hidden_group_size_z
      - .offset:         98
        .size:           2
        .value_kind:     hidden_remainder_x
      - .offset:         100
        .size:           2
        .value_kind:     hidden_remainder_y
      - .offset:         102
        .size:           2
        .value_kind:     hidden_remainder_z
      - .offset:         120
        .size:           8
        .value_kind:     hidden_global_offset_x
      - .offset:         128
        .size:           8
        .value_kind:     hidden_global_offset_y
      - .offset:         136
        .size:           8
        .value_kind:     hidden_global_offset_z
      - .offset:         144
        .size:           2
        .value_kind:     hidden_grid_dims
    .group_segment_fixed_size: 0
    .kernarg_segment_align: 8
    .kernarg_segment_size: 336
    .language:       OpenCL C
    .language_version:
      - 2
      - 0
    .max_flat_workgroup_size: 72
    .name:           _ZL33flash_attn_stream_k_fixup_generalILi72ELi8ELi4EEvPfPK15HIP_vector_typeIfLj2EEiiiiS1_IjLj3EES5_S5_S5_
    .private_segment_fixed_size: 0
    .sgpr_count:     48
    .sgpr_spill_count: 0
    .symbol:         _ZL33flash_attn_stream_k_fixup_generalILi72ELi8ELi4EEvPfPK15HIP_vector_typeIfLj2EEiiiiS1_IjLj3EES5_S5_S5_.kd
    .uniform_work_group_size: 1
    .uses_dynamic_stack: false
    .vgpr_count:     12
    .vgpr_spill_count: 0
    .wavefront_size: 32
  - .args:
      - .address_space:  global
        .offset:         0
        .size:           8
        .value_kind:     global_buffer
      - .address_space:  global
        .offset:         8
        .size:           8
        .value_kind:     global_buffer
      - .address_space:  global
        .offset:         16
        .size:           8
        .value_kind:     global_buffer
      - .address_space:  global
        .offset:         24
        .size:           8
        .value_kind:     global_buffer
      - .address_space:  global
        .offset:         32
        .size:           8
        .value_kind:     global_buffer
      - .address_space:  global
        .offset:         40
        .size:           8
        .value_kind:     global_buffer
      - .address_space:  global
        .offset:         48
        .size:           8
        .value_kind:     global_buffer
      - .address_space:  global
        .offset:         56
        .size:           8
        .value_kind:     global_buffer
      - .offset:         64
        .size:           4
        .value_kind:     by_value
      - .offset:         68
        .size:           4
        .value_kind:     by_value
      - .offset:         72
        .size:           4
        .value_kind:     by_value
      - .offset:         76
        .size:           4
        .value_kind:     by_value
      - .offset:         80
        .size:           4
        .value_kind:     by_value
      - .offset:         84
        .size:           4
        .value_kind:     by_value
      - .offset:         88
        .size:           4
        .value_kind:     by_value
      - .offset:         92
        .size:           12
        .value_kind:     by_value
      - .offset:         104
        .size:           4
        .value_kind:     by_value
      - .offset:         108
        .size:           4
        .value_kind:     by_value
      - .offset:         112
        .size:           4
        .value_kind:     by_value
      - .offset:         116
        .size:           4
        .value_kind:     by_value
      - .offset:         120
        .size:           4
        .value_kind:     by_value
      - .offset:         124
        .size:           4
        .value_kind:     by_value
      - .offset:         128
        .size:           4
        .value_kind:     by_value
      - .offset:         132
        .size:           4
        .value_kind:     by_value
      - .offset:         136
        .size:           4
        .value_kind:     by_value
      - .offset:         140
        .size:           4
        .value_kind:     by_value
      - .offset:         144
        .size:           4
        .value_kind:     by_value
      - .offset:         152
        .size:           8
        .value_kind:     by_value
      - .offset:         160
        .size:           4
        .value_kind:     by_value
      - .offset:         164
        .size:           4
        .value_kind:     by_value
      - .offset:         168
        .size:           8
        .value_kind:     by_value
      - .offset:         176
        .size:           4
        .value_kind:     by_value
      - .offset:         180
        .size:           4
        .value_kind:     by_value
      - .offset:         184
        .size:           4
        .value_kind:     by_value
      - .offset:         188
        .size:           4
        .value_kind:     by_value
      - .offset:         192
        .size:           4
        .value_kind:     by_value
      - .offset:         200
        .size:           8
        .value_kind:     by_value
      - .offset:         208
        .size:           4
        .value_kind:     hidden_block_count_x
      - .offset:         212
        .size:           4
        .value_kind:     hidden_block_count_y
      - .offset:         216
        .size:           4
        .value_kind:     hidden_block_count_z
      - .offset:         220
        .size:           2
        .value_kind:     hidden_group_size_x
      - .offset:         222
        .size:           2
        .value_kind:     hidden_group_size_y
      - .offset:         224
        .size:           2
        .value_kind:     hidden_group_size_z
      - .offset:         226
        .size:           2
        .value_kind:     hidden_remainder_x
      - .offset:         228
        .size:           2
        .value_kind:     hidden_remainder_y
      - .offset:         230
        .size:           2
        .value_kind:     hidden_remainder_z
      - .offset:         248
        .size:           8
        .value_kind:     hidden_global_offset_x
      - .offset:         256
        .size:           8
        .value_kind:     hidden_global_offset_y
      - .offset:         264
        .size:           8
        .value_kind:     hidden_global_offset_z
      - .offset:         272
        .size:           2
        .value_kind:     hidden_grid_dims
    .group_segment_fixed_size: 8672
    .kernarg_segment_align: 8
    .kernarg_segment_size: 464
    .language:       OpenCL C
    .language_version:
      - 2
      - 0
    .max_flat_workgroup_size: 256
    .name:           _ZL15flash_attn_tileILi72ELi72ELi4ELi4ELb0EEvPKcS1_S1_S1_S1_PKiPfP15HIP_vector_typeIfLj2EEffffjfiS5_IjLj3EEiiiiiiiiiiiliiliiiiil
    .private_segment_fixed_size: 0
    .sgpr_count:     44
    .sgpr_spill_count: 0
    .symbol:         _ZL15flash_attn_tileILi72ELi72ELi4ELi4ELb0EEvPKcS1_S1_S1_S1_PKiPfP15HIP_vector_typeIfLj2EEffffjfiS5_IjLj3EEiiiiiiiiiiiliiliiiiil.kd
    .uniform_work_group_size: 1
    .uses_dynamic_stack: false
    .vgpr_count:     140
    .vgpr_spill_count: 0
    .wavefront_size: 32
  - .args:
      - .address_space:  global
        .offset:         0
        .size:           8
        .value_kind:     global_buffer
      - .address_space:  global
        .offset:         8
        .size:           8
        .value_kind:     global_buffer
      - .offset:         16
        .size:           4
        .value_kind:     by_value
      - .offset:         20
        .size:           4
        .value_kind:     by_value
      - .offset:         24
        .size:           4
        .value_kind:     by_value
      - .offset:         28
        .size:           4
        .value_kind:     by_value
      - .offset:         32
        .size:           4
        .value_kind:     by_value
      - .offset:         36
        .size:           4
        .value_kind:     by_value
      - .offset:         40
        .size:           12
        .value_kind:     by_value
      - .offset:         52
        .size:           12
        .value_kind:     by_value
      - .offset:         64
        .size:           12
        .value_kind:     by_value
    .group_segment_fixed_size: 0
    .kernarg_segment_align: 8
    .kernarg_segment_size: 76
    .language:       OpenCL C
    .language_version:
      - 2
      - 0
    .max_flat_workgroup_size: 72
    .name:           _ZL33flash_attn_stream_k_fixup_uniformILi72ELi4ELi4EEvPfPK15HIP_vector_typeIfLj2EEiiiiiiS1_IjLj3EES5_S5_
    .private_segment_fixed_size: 0
    .sgpr_count:     23
    .sgpr_spill_count: 0
    .symbol:         _ZL33flash_attn_stream_k_fixup_uniformILi72ELi4ELi4EEvPfPK15HIP_vector_typeIfLj2EEiiiiiiS1_IjLj3EES5_S5_.kd
    .uniform_work_group_size: 1
    .uses_dynamic_stack: false
    .vgpr_count:     12
    .vgpr_spill_count: 0
    .wavefront_size: 32
  - .args:
      - .address_space:  global
        .offset:         0
        .size:           8
        .value_kind:     global_buffer
      - .address_space:  global
        .offset:         8
        .size:           8
        .value_kind:     global_buffer
      - .offset:         16
        .size:           4
        .value_kind:     by_value
      - .offset:         20
        .size:           4
        .value_kind:     by_value
      - .offset:         24
        .size:           4
        .value_kind:     by_value
      - .offset:         28
        .size:           4
        .value_kind:     by_value
      - .offset:         32
        .size:           12
        .value_kind:     by_value
      - .offset:         44
        .size:           12
        .value_kind:     by_value
      - .offset:         56
        .size:           12
        .value_kind:     by_value
      - .offset:         68
        .size:           12
        .value_kind:     by_value
      - .offset:         80
        .size:           4
        .value_kind:     hidden_block_count_x
      - .offset:         84
        .size:           4
        .value_kind:     hidden_block_count_y
      - .offset:         88
        .size:           4
        .value_kind:     hidden_block_count_z
      - .offset:         92
        .size:           2
        .value_kind:     hidden_group_size_x
      - .offset:         94
        .size:           2
        .value_kind:     hidden_group_size_y
      - .offset:         96
        .size:           2
        .value_kind:     hidden_group_size_z
      - .offset:         98
        .size:           2
        .value_kind:     hidden_remainder_x
      - .offset:         100
        .size:           2
        .value_kind:     hidden_remainder_y
      - .offset:         102
        .size:           2
        .value_kind:     hidden_remainder_z
      - .offset:         120
        .size:           8
        .value_kind:     hidden_global_offset_x
      - .offset:         128
        .size:           8
        .value_kind:     hidden_global_offset_y
      - .offset:         136
        .size:           8
        .value_kind:     hidden_global_offset_z
      - .offset:         144
        .size:           2
        .value_kind:     hidden_grid_dims
    .group_segment_fixed_size: 0
    .kernarg_segment_align: 8
    .kernarg_segment_size: 336
    .language:       OpenCL C
    .language_version:
      - 2
      - 0
    .max_flat_workgroup_size: 72
    .name:           _ZL33flash_attn_stream_k_fixup_generalILi72ELi4ELi4EEvPfPK15HIP_vector_typeIfLj2EEiiiiS1_IjLj3EES5_S5_S5_
    .private_segment_fixed_size: 0
    .sgpr_count:     48
    .sgpr_spill_count: 0
    .symbol:         _ZL33flash_attn_stream_k_fixup_generalILi72ELi4ELi4EEvPfPK15HIP_vector_typeIfLj2EEiiiiS1_IjLj3EES5_S5_S5_.kd
    .uniform_work_group_size: 1
    .uses_dynamic_stack: false
    .vgpr_count:     12
    .vgpr_spill_count: 0
    .wavefront_size: 32
  - .args:
      - .address_space:  global
        .offset:         0
        .size:           8
        .value_kind:     global_buffer
      - .address_space:  global
        .offset:         8
        .size:           8
        .value_kind:     global_buffer
      - .address_space:  global
        .offset:         16
        .size:           8
        .value_kind:     global_buffer
      - .address_space:  global
        .offset:         24
        .size:           8
        .value_kind:     global_buffer
      - .address_space:  global
        .offset:         32
        .size:           8
        .value_kind:     global_buffer
      - .address_space:  global
        .offset:         40
        .size:           8
        .value_kind:     global_buffer
      - .address_space:  global
        .offset:         48
        .size:           8
        .value_kind:     global_buffer
      - .address_space:  global
        .offset:         56
        .size:           8
        .value_kind:     global_buffer
      - .offset:         64
        .size:           4
        .value_kind:     by_value
      - .offset:         68
        .size:           4
        .value_kind:     by_value
      - .offset:         72
        .size:           4
        .value_kind:     by_value
      - .offset:         76
        .size:           4
        .value_kind:     by_value
      - .offset:         80
        .size:           4
        .value_kind:     by_value
      - .offset:         84
        .size:           4
        .value_kind:     by_value
      - .offset:         88
        .size:           4
        .value_kind:     by_value
      - .offset:         92
        .size:           12
        .value_kind:     by_value
      - .offset:         104
        .size:           4
        .value_kind:     by_value
      - .offset:         108
        .size:           4
        .value_kind:     by_value
      - .offset:         112
        .size:           4
        .value_kind:     by_value
      - .offset:         116
        .size:           4
        .value_kind:     by_value
      - .offset:         120
        .size:           4
        .value_kind:     by_value
      - .offset:         124
        .size:           4
        .value_kind:     by_value
      - .offset:         128
        .size:           4
        .value_kind:     by_value
      - .offset:         132
        .size:           4
        .value_kind:     by_value
      - .offset:         136
        .size:           4
        .value_kind:     by_value
      - .offset:         140
        .size:           4
        .value_kind:     by_value
      - .offset:         144
        .size:           4
        .value_kind:     by_value
      - .offset:         152
        .size:           8
        .value_kind:     by_value
      - .offset:         160
        .size:           4
        .value_kind:     by_value
      - .offset:         164
        .size:           4
        .value_kind:     by_value
      - .offset:         168
        .size:           8
        .value_kind:     by_value
      - .offset:         176
        .size:           4
        .value_kind:     by_value
      - .offset:         180
        .size:           4
        .value_kind:     by_value
      - .offset:         184
        .size:           4
        .value_kind:     by_value
      - .offset:         188
        .size:           4
        .value_kind:     by_value
      - .offset:         192
        .size:           4
        .value_kind:     by_value
      - .offset:         200
        .size:           8
        .value_kind:     by_value
      - .offset:         208
        .size:           4
        .value_kind:     hidden_block_count_x
      - .offset:         212
        .size:           4
        .value_kind:     hidden_block_count_y
      - .offset:         216
        .size:           4
        .value_kind:     hidden_block_count_z
      - .offset:         220
        .size:           2
        .value_kind:     hidden_group_size_x
      - .offset:         222
        .size:           2
        .value_kind:     hidden_group_size_y
      - .offset:         224
        .size:           2
        .value_kind:     hidden_group_size_z
      - .offset:         226
        .size:           2
        .value_kind:     hidden_remainder_x
      - .offset:         228
        .size:           2
        .value_kind:     hidden_remainder_y
      - .offset:         230
        .size:           2
        .value_kind:     hidden_remainder_z
      - .offset:         248
        .size:           8
        .value_kind:     hidden_global_offset_x
      - .offset:         256
        .size:           8
        .value_kind:     hidden_global_offset_y
      - .offset:         264
        .size:           8
        .value_kind:     hidden_global_offset_z
      - .offset:         272
        .size:           2
        .value_kind:     hidden_grid_dims
    .group_segment_fixed_size: 7008
    .kernarg_segment_align: 8
    .kernarg_segment_size: 464
    .language:       OpenCL C
    .language_version:
      - 2
      - 0
    .max_flat_workgroup_size: 256
    .name:           _ZL15flash_attn_tileILi72ELi72ELi2ELi4ELb0EEvPKcS1_S1_S1_S1_PKiPfP15HIP_vector_typeIfLj2EEffffjfiS5_IjLj3EEiiiiiiiiiiiliiliiiiil
    .private_segment_fixed_size: 0
    .sgpr_count:     48
    .sgpr_spill_count: 0
    .symbol:         _ZL15flash_attn_tileILi72ELi72ELi2ELi4ELb0EEvPKcS1_S1_S1_S1_PKiPfP15HIP_vector_typeIfLj2EEffffjfiS5_IjLj3EEiiiiiiiiiiiliiliiiiil.kd
    .uniform_work_group_size: 1
    .uses_dynamic_stack: false
    .vgpr_count:     65
    .vgpr_spill_count: 0
    .wavefront_size: 32
  - .args:
      - .address_space:  global
        .offset:         0
        .size:           8
        .value_kind:     global_buffer
      - .address_space:  global
        .offset:         8
        .size:           8
        .value_kind:     global_buffer
      - .offset:         16
        .size:           4
        .value_kind:     by_value
      - .offset:         20
        .size:           4
        .value_kind:     by_value
      - .offset:         24
        .size:           4
        .value_kind:     by_value
      - .offset:         28
        .size:           4
        .value_kind:     by_value
      - .offset:         32
        .size:           4
        .value_kind:     by_value
      - .offset:         36
        .size:           4
        .value_kind:     by_value
      - .offset:         40
        .size:           12
        .value_kind:     by_value
      - .offset:         52
        .size:           12
        .value_kind:     by_value
      - .offset:         64
        .size:           12
        .value_kind:     by_value
    .group_segment_fixed_size: 0
    .kernarg_segment_align: 8
    .kernarg_segment_size: 76
    .language:       OpenCL C
    .language_version:
      - 2
      - 0
    .max_flat_workgroup_size: 72
    .name:           _ZL33flash_attn_stream_k_fixup_uniformILi72ELi2ELi4EEvPfPK15HIP_vector_typeIfLj2EEiiiiiiS1_IjLj3EES5_S5_
    .private_segment_fixed_size: 0
    .sgpr_count:     23
    .sgpr_spill_count: 0
    .symbol:         _ZL33flash_attn_stream_k_fixup_uniformILi72ELi2ELi4EEvPfPK15HIP_vector_typeIfLj2EEiiiiiiS1_IjLj3EES5_S5_.kd
    .uniform_work_group_size: 1
    .uses_dynamic_stack: false
    .vgpr_count:     12
    .vgpr_spill_count: 0
    .wavefront_size: 32
  - .args:
      - .address_space:  global
        .offset:         0
        .size:           8
        .value_kind:     global_buffer
      - .address_space:  global
        .offset:         8
        .size:           8
        .value_kind:     global_buffer
      - .offset:         16
        .size:           4
        .value_kind:     by_value
      - .offset:         20
        .size:           4
        .value_kind:     by_value
      - .offset:         24
        .size:           4
        .value_kind:     by_value
      - .offset:         28
        .size:           4
        .value_kind:     by_value
      - .offset:         32
        .size:           12
        .value_kind:     by_value
      - .offset:         44
        .size:           12
        .value_kind:     by_value
      - .offset:         56
        .size:           12
        .value_kind:     by_value
      - .offset:         68
        .size:           12
        .value_kind:     by_value
      - .offset:         80
        .size:           4
        .value_kind:     hidden_block_count_x
      - .offset:         84
        .size:           4
        .value_kind:     hidden_block_count_y
      - .offset:         88
        .size:           4
        .value_kind:     hidden_block_count_z
      - .offset:         92
        .size:           2
        .value_kind:     hidden_group_size_x
      - .offset:         94
        .size:           2
        .value_kind:     hidden_group_size_y
      - .offset:         96
        .size:           2
        .value_kind:     hidden_group_size_z
      - .offset:         98
        .size:           2
        .value_kind:     hidden_remainder_x
      - .offset:         100
        .size:           2
        .value_kind:     hidden_remainder_y
      - .offset:         102
        .size:           2
        .value_kind:     hidden_remainder_z
      - .offset:         120
        .size:           8
        .value_kind:     hidden_global_offset_x
      - .offset:         128
        .size:           8
        .value_kind:     hidden_global_offset_y
      - .offset:         136
        .size:           8
        .value_kind:     hidden_global_offset_z
      - .offset:         144
        .size:           2
        .value_kind:     hidden_grid_dims
    .group_segment_fixed_size: 0
    .kernarg_segment_align: 8
    .kernarg_segment_size: 336
    .language:       OpenCL C
    .language_version:
      - 2
      - 0
    .max_flat_workgroup_size: 72
    .name:           _ZL33flash_attn_stream_k_fixup_generalILi72ELi2ELi4EEvPfPK15HIP_vector_typeIfLj2EEiiiiS1_IjLj3EES5_S5_S5_
    .private_segment_fixed_size: 0
    .sgpr_count:     48
    .sgpr_spill_count: 0
    .symbol:         _ZL33flash_attn_stream_k_fixup_generalILi72ELi2ELi4EEvPfPK15HIP_vector_typeIfLj2EEiiiiS1_IjLj3EES5_S5_S5_.kd
    .uniform_work_group_size: 1
    .uses_dynamic_stack: false
    .vgpr_count:     12
    .vgpr_spill_count: 0
    .wavefront_size: 32
  - .args:
      - .address_space:  global
        .offset:         0
        .size:           8
        .value_kind:     global_buffer
      - .address_space:  global
        .offset:         8
        .size:           8
        .value_kind:     global_buffer
      - .address_space:  global
        .offset:         16
        .size:           8
        .value_kind:     global_buffer
      - .address_space:  global
        .offset:         24
        .size:           8
        .value_kind:     global_buffer
      - .address_space:  global
        .offset:         32
        .size:           8
        .value_kind:     global_buffer
      - .address_space:  global
        .offset:         40
        .size:           8
        .value_kind:     global_buffer
      - .address_space:  global
        .offset:         48
        .size:           8
        .value_kind:     global_buffer
      - .address_space:  global
        .offset:         56
        .size:           8
        .value_kind:     global_buffer
      - .offset:         64
        .size:           4
        .value_kind:     by_value
      - .offset:         68
        .size:           4
        .value_kind:     by_value
      - .offset:         72
        .size:           4
        .value_kind:     by_value
      - .offset:         76
        .size:           4
        .value_kind:     by_value
      - .offset:         80
        .size:           4
        .value_kind:     by_value
      - .offset:         84
        .size:           4
        .value_kind:     by_value
      - .offset:         88
        .size:           4
        .value_kind:     by_value
      - .offset:         92
        .size:           12
        .value_kind:     by_value
      - .offset:         104
        .size:           4
        .value_kind:     by_value
      - .offset:         108
        .size:           4
        .value_kind:     by_value
      - .offset:         112
        .size:           4
        .value_kind:     by_value
      - .offset:         116
        .size:           4
        .value_kind:     by_value
      - .offset:         120
        .size:           4
        .value_kind:     by_value
      - .offset:         124
        .size:           4
        .value_kind:     by_value
      - .offset:         128
        .size:           4
        .value_kind:     by_value
      - .offset:         132
        .size:           4
        .value_kind:     by_value
      - .offset:         136
        .size:           4
        .value_kind:     by_value
      - .offset:         140
        .size:           4
        .value_kind:     by_value
      - .offset:         144
        .size:           4
        .value_kind:     by_value
      - .offset:         152
        .size:           8
        .value_kind:     by_value
      - .offset:         160
        .size:           4
        .value_kind:     by_value
      - .offset:         164
        .size:           4
        .value_kind:     by_value
      - .offset:         168
        .size:           8
        .value_kind:     by_value
      - .offset:         176
        .size:           4
        .value_kind:     by_value
      - .offset:         180
        .size:           4
        .value_kind:     by_value
      - .offset:         184
        .size:           4
        .value_kind:     by_value
      - .offset:         188
        .size:           4
        .value_kind:     by_value
      - .offset:         192
        .size:           4
        .value_kind:     by_value
      - .offset:         200
        .size:           8
        .value_kind:     by_value
      - .offset:         208
        .size:           4
        .value_kind:     hidden_block_count_x
      - .offset:         212
        .size:           4
        .value_kind:     hidden_block_count_y
      - .offset:         216
        .size:           4
        .value_kind:     hidden_block_count_z
      - .offset:         220
        .size:           2
        .value_kind:     hidden_group_size_x
      - .offset:         222
        .size:           2
        .value_kind:     hidden_group_size_y
      - .offset:         224
        .size:           2
        .value_kind:     hidden_group_size_z
      - .offset:         226
        .size:           2
        .value_kind:     hidden_remainder_x
      - .offset:         228
        .size:           2
        .value_kind:     hidden_remainder_y
      - .offset:         230
        .size:           2
        .value_kind:     hidden_remainder_z
      - .offset:         248
        .size:           8
        .value_kind:     hidden_global_offset_x
      - .offset:         256
        .size:           8
        .value_kind:     hidden_global_offset_y
      - .offset:         264
        .size:           8
        .value_kind:     hidden_global_offset_z
      - .offset:         272
        .size:           2
        .value_kind:     hidden_grid_dims
    .group_segment_fixed_size: 6176
    .kernarg_segment_align: 8
    .kernarg_segment_size: 464
    .language:       OpenCL C
    .language_version:
      - 2
      - 0
    .max_flat_workgroup_size: 128
    .name:           _ZL15flash_attn_tileILi72ELi72ELi1ELi4ELb0EEvPKcS1_S1_S1_S1_PKiPfP15HIP_vector_typeIfLj2EEffffjfiS5_IjLj3EEiiiiiiiiiiiliiliiiiil
    .private_segment_fixed_size: 0
    .sgpr_count:     48
    .sgpr_spill_count: 0
    .symbol:         _ZL15flash_attn_tileILi72ELi72ELi1ELi4ELb0EEvPKcS1_S1_S1_S1_PKiPfP15HIP_vector_typeIfLj2EEffffjfiS5_IjLj3EEiiiiiiiiiiiliiliiiiil.kd
    .uniform_work_group_size: 1
    .uses_dynamic_stack: false
    .vgpr_count:     72
    .vgpr_spill_count: 0
    .wavefront_size: 32
  - .args:
      - .address_space:  global
        .offset:         0
        .size:           8
        .value_kind:     global_buffer
      - .address_space:  global
        .offset:         8
        .size:           8
        .value_kind:     global_buffer
      - .offset:         16
        .size:           4
        .value_kind:     by_value
      - .offset:         20
        .size:           4
        .value_kind:     by_value
      - .offset:         24
        .size:           4
        .value_kind:     by_value
      - .offset:         28
        .size:           4
        .value_kind:     by_value
      - .offset:         32
        .size:           4
        .value_kind:     by_value
      - .offset:         36
        .size:           4
        .value_kind:     by_value
      - .offset:         40
        .size:           12
        .value_kind:     by_value
      - .offset:         52
        .size:           12
        .value_kind:     by_value
      - .offset:         64
        .size:           12
        .value_kind:     by_value
    .group_segment_fixed_size: 0
    .kernarg_segment_align: 8
    .kernarg_segment_size: 76
    .language:       OpenCL C
    .language_version:
      - 2
      - 0
    .max_flat_workgroup_size: 72
    .name:           _ZL33flash_attn_stream_k_fixup_uniformILi72ELi1ELi4EEvPfPK15HIP_vector_typeIfLj2EEiiiiiiS1_IjLj3EES5_S5_
    .private_segment_fixed_size: 0
    .sgpr_count:     23
    .sgpr_spill_count: 0
    .symbol:         _ZL33flash_attn_stream_k_fixup_uniformILi72ELi1ELi4EEvPfPK15HIP_vector_typeIfLj2EEiiiiiiS1_IjLj3EES5_S5_.kd
    .uniform_work_group_size: 1
    .uses_dynamic_stack: false
    .vgpr_count:     12
    .vgpr_spill_count: 0
    .wavefront_size: 32
  - .args:
      - .address_space:  global
        .offset:         0
        .size:           8
        .value_kind:     global_buffer
      - .address_space:  global
        .offset:         8
        .size:           8
        .value_kind:     global_buffer
      - .offset:         16
        .size:           4
        .value_kind:     by_value
      - .offset:         20
        .size:           4
        .value_kind:     by_value
      - .offset:         24
        .size:           4
        .value_kind:     by_value
      - .offset:         28
        .size:           4
        .value_kind:     by_value
      - .offset:         32
        .size:           12
        .value_kind:     by_value
      - .offset:         44
        .size:           12
        .value_kind:     by_value
      - .offset:         56
        .size:           12
        .value_kind:     by_value
      - .offset:         68
        .size:           12
        .value_kind:     by_value
      - .offset:         80
        .size:           4
        .value_kind:     hidden_block_count_x
      - .offset:         84
        .size:           4
        .value_kind:     hidden_block_count_y
      - .offset:         88
        .size:           4
        .value_kind:     hidden_block_count_z
      - .offset:         92
        .size:           2
        .value_kind:     hidden_group_size_x
      - .offset:         94
        .size:           2
        .value_kind:     hidden_group_size_y
      - .offset:         96
        .size:           2
        .value_kind:     hidden_group_size_z
      - .offset:         98
        .size:           2
        .value_kind:     hidden_remainder_x
      - .offset:         100
        .size:           2
        .value_kind:     hidden_remainder_y
      - .offset:         102
        .size:           2
        .value_kind:     hidden_remainder_z
      - .offset:         120
        .size:           8
        .value_kind:     hidden_global_offset_x
      - .offset:         128
        .size:           8
        .value_kind:     hidden_global_offset_y
      - .offset:         136
        .size:           8
        .value_kind:     hidden_global_offset_z
      - .offset:         144
        .size:           2
        .value_kind:     hidden_grid_dims
    .group_segment_fixed_size: 0
    .kernarg_segment_align: 8
    .kernarg_segment_size: 336
    .language:       OpenCL C
    .language_version:
      - 2
      - 0
    .max_flat_workgroup_size: 72
    .name:           _ZL33flash_attn_stream_k_fixup_generalILi72ELi1ELi4EEvPfPK15HIP_vector_typeIfLj2EEiiiiS1_IjLj3EES5_S5_S5_
    .private_segment_fixed_size: 0
    .sgpr_count:     48
    .sgpr_spill_count: 0
    .symbol:         _ZL33flash_attn_stream_k_fixup_generalILi72ELi1ELi4EEvPfPK15HIP_vector_typeIfLj2EEiiiiS1_IjLj3EES5_S5_S5_.kd
    .uniform_work_group_size: 1
    .uses_dynamic_stack: false
    .vgpr_count:     12
    .vgpr_spill_count: 0
    .wavefront_size: 32
  - .args:
      - .address_space:  global
        .offset:         0
        .size:           8
        .value_kind:     global_buffer
      - .address_space:  global
        .offset:         8
        .size:           8
        .value_kind:     global_buffer
      - .address_space:  global
        .offset:         16
        .size:           8
        .value_kind:     global_buffer
      - .address_space:  global
        .offset:         24
        .size:           8
        .value_kind:     global_buffer
      - .address_space:  global
        .offset:         32
        .size:           8
        .value_kind:     global_buffer
      - .address_space:  global
        .offset:         40
        .size:           8
        .value_kind:     global_buffer
      - .address_space:  global
        .offset:         48
        .size:           8
        .value_kind:     global_buffer
      - .address_space:  global
        .offset:         56
        .size:           8
        .value_kind:     global_buffer
      - .offset:         64
        .size:           4
        .value_kind:     by_value
      - .offset:         68
        .size:           4
        .value_kind:     by_value
      - .offset:         72
        .size:           4
        .value_kind:     by_value
      - .offset:         76
        .size:           4
        .value_kind:     by_value
      - .offset:         80
        .size:           4
        .value_kind:     by_value
      - .offset:         84
        .size:           4
        .value_kind:     by_value
      - .offset:         88
        .size:           4
        .value_kind:     by_value
      - .offset:         92
        .size:           12
        .value_kind:     by_value
      - .offset:         104
        .size:           4
        .value_kind:     by_value
      - .offset:         108
        .size:           4
        .value_kind:     by_value
      - .offset:         112
        .size:           4
        .value_kind:     by_value
      - .offset:         116
        .size:           4
        .value_kind:     by_value
      - .offset:         120
        .size:           4
        .value_kind:     by_value
      - .offset:         124
        .size:           4
        .value_kind:     by_value
      - .offset:         128
        .size:           4
        .value_kind:     by_value
      - .offset:         132
        .size:           4
        .value_kind:     by_value
      - .offset:         136
        .size:           4
        .value_kind:     by_value
      - .offset:         140
        .size:           4
        .value_kind:     by_value
      - .offset:         144
        .size:           4
        .value_kind:     by_value
      - .offset:         152
        .size:           8
        .value_kind:     by_value
      - .offset:         160
        .size:           4
        .value_kind:     by_value
      - .offset:         164
        .size:           4
        .value_kind:     by_value
      - .offset:         168
        .size:           8
        .value_kind:     by_value
      - .offset:         176
        .size:           4
        .value_kind:     by_value
      - .offset:         180
        .size:           4
        .value_kind:     by_value
      - .offset:         184
        .size:           4
        .value_kind:     by_value
      - .offset:         188
        .size:           4
        .value_kind:     by_value
      - .offset:         192
        .size:           4
        .value_kind:     by_value
      - .offset:         200
        .size:           8
        .value_kind:     by_value
      - .offset:         208
        .size:           4
        .value_kind:     hidden_block_count_x
      - .offset:         212
        .size:           4
        .value_kind:     hidden_block_count_y
      - .offset:         216
        .size:           4
        .value_kind:     hidden_block_count_z
      - .offset:         220
        .size:           2
        .value_kind:     hidden_group_size_x
      - .offset:         222
        .size:           2
        .value_kind:     hidden_group_size_y
      - .offset:         224
        .size:           2
        .value_kind:     hidden_group_size_z
      - .offset:         226
        .size:           2
        .value_kind:     hidden_remainder_x
      - .offset:         228
        .size:           2
        .value_kind:     hidden_remainder_y
      - .offset:         230
        .size:           2
        .value_kind:     hidden_remainder_z
      - .offset:         248
        .size:           8
        .value_kind:     hidden_global_offset_x
      - .offset:         256
        .size:           8
        .value_kind:     hidden_global_offset_y
      - .offset:         264
        .size:           8
        .value_kind:     hidden_global_offset_z
      - .offset:         272
        .size:           2
        .value_kind:     hidden_grid_dims
    .group_segment_fixed_size: 18656
    .kernarg_segment_align: 8
    .kernarg_segment_size: 464
    .language:       OpenCL C
    .language_version:
      - 2
      - 0
    .max_flat_workgroup_size: 256
    .name:           _ZL15flash_attn_tileILi72ELi72ELi32ELi2ELb0EEvPKcS1_S1_S1_S1_PKiPfP15HIP_vector_typeIfLj2EEffffjfiS5_IjLj3EEiiiiiiiiiiiliiliiiiil
    .private_segment_fixed_size: 0
    .sgpr_count:     52
    .sgpr_spill_count: 0
    .symbol:         _ZL15flash_attn_tileILi72ELi72ELi32ELi2ELb0EEvPKcS1_S1_S1_S1_PKiPfP15HIP_vector_typeIfLj2EEffffjfiS5_IjLj3EEiiiiiiiiiiiliiliiiiil.kd
    .uniform_work_group_size: 1
    .uses_dynamic_stack: false
    .vgpr_count:     147
    .vgpr_spill_count: 0
    .wavefront_size: 32
  - .args:
      - .actual_access:  read_only
        .address_space:  global
        .offset:         0
        .size:           8
        .value_kind:     global_buffer
      - .actual_access:  write_only
        .address_space:  global
        .offset:         8
        .size:           8
        .value_kind:     global_buffer
      - .offset:         16
        .size:           4
        .value_kind:     by_value
      - .offset:         20
        .size:           4
        .value_kind:     by_value
      - .offset:         24
        .size:           4
        .value_kind:     by_value
      - .offset:         32
        .size:           4
        .value_kind:     hidden_block_count_x
      - .offset:         36
        .size:           4
        .value_kind:     hidden_block_count_y
      - .offset:         40
        .size:           4
        .value_kind:     hidden_block_count_z
      - .offset:         44
        .size:           2
        .value_kind:     hidden_group_size_x
      - .offset:         46
        .size:           2
        .value_kind:     hidden_group_size_y
      - .offset:         48
        .size:           2
        .value_kind:     hidden_group_size_z
      - .offset:         50
        .size:           2
        .value_kind:     hidden_remainder_x
      - .offset:         52
        .size:           2
        .value_kind:     hidden_remainder_y
      - .offset:         54
        .size:           2
        .value_kind:     hidden_remainder_z
      - .offset:         72
        .size:           8
        .value_kind:     hidden_global_offset_x
      - .offset:         80
        .size:           8
        .value_kind:     hidden_global_offset_y
      - .offset:         88
        .size:           8
        .value_kind:     hidden_global_offset_z
      - .offset:         96
        .size:           2
        .value_kind:     hidden_grid_dims
    .group_segment_fixed_size: 128
    .kernarg_segment_align: 8
    .kernarg_segment_size: 288
    .language:       OpenCL C
    .language_version:
      - 2
      - 0
    .max_flat_workgroup_size: 128
    .name:           _ZL25flash_attn_mask_to_KV_maxILi32EEvPK7__half2Piiii
    .private_segment_fixed_size: 0
    .sgpr_count:     78
    .sgpr_spill_count: 0
    .symbol:         _ZL25flash_attn_mask_to_KV_maxILi32EEvPK7__half2Piiii.kd
    .uniform_work_group_size: 1
    .uses_dynamic_stack: false
    .vgpr_count:     6
    .vgpr_spill_count: 0
    .wavefront_size: 32
  - .args:
      - .address_space:  global
        .offset:         0
        .size:           8
        .value_kind:     global_buffer
      - .address_space:  global
        .offset:         8
        .size:           8
        .value_kind:     global_buffer
      - .offset:         16
        .size:           4
        .value_kind:     by_value
      - .offset:         20
        .size:           4
        .value_kind:     by_value
      - .offset:         24
        .size:           4
        .value_kind:     by_value
      - .offset:         28
        .size:           4
        .value_kind:     by_value
      - .offset:         32
        .size:           4
        .value_kind:     by_value
      - .offset:         36
        .size:           4
        .value_kind:     by_value
      - .offset:         40
        .size:           12
        .value_kind:     by_value
      - .offset:         52
        .size:           12
        .value_kind:     by_value
      - .offset:         64
        .size:           12
        .value_kind:     by_value
    .group_segment_fixed_size: 0
    .kernarg_segment_align: 8
    .kernarg_segment_size: 76
    .language:       OpenCL C
    .language_version:
      - 2
      - 0
    .max_flat_workgroup_size: 72
    .name:           _ZL33flash_attn_stream_k_fixup_uniformILi72ELi32ELi2EEvPfPK15HIP_vector_typeIfLj2EEiiiiiiS1_IjLj3EES5_S5_
    .private_segment_fixed_size: 0
    .sgpr_count:     23
    .sgpr_spill_count: 0
    .symbol:         _ZL33flash_attn_stream_k_fixup_uniformILi72ELi32ELi2EEvPfPK15HIP_vector_typeIfLj2EEiiiiiiS1_IjLj3EES5_S5_.kd
    .uniform_work_group_size: 1
    .uses_dynamic_stack: false
    .vgpr_count:     12
    .vgpr_spill_count: 0
    .wavefront_size: 32
  - .args:
      - .address_space:  global
        .offset:         0
        .size:           8
        .value_kind:     global_buffer
      - .address_space:  global
        .offset:         8
        .size:           8
        .value_kind:     global_buffer
      - .offset:         16
        .size:           4
        .value_kind:     by_value
      - .offset:         20
        .size:           4
        .value_kind:     by_value
      - .offset:         24
        .size:           4
        .value_kind:     by_value
      - .offset:         28
        .size:           4
        .value_kind:     by_value
      - .offset:         32
        .size:           12
        .value_kind:     by_value
      - .offset:         44
        .size:           12
        .value_kind:     by_value
      - .offset:         56
        .size:           12
        .value_kind:     by_value
      - .offset:         68
        .size:           12
        .value_kind:     by_value
      - .offset:         80
        .size:           4
        .value_kind:     hidden_block_count_x
      - .offset:         84
        .size:           4
        .value_kind:     hidden_block_count_y
      - .offset:         88
        .size:           4
        .value_kind:     hidden_block_count_z
      - .offset:         92
        .size:           2
        .value_kind:     hidden_group_size_x
      - .offset:         94
        .size:           2
        .value_kind:     hidden_group_size_y
      - .offset:         96
        .size:           2
        .value_kind:     hidden_group_size_z
      - .offset:         98
        .size:           2
        .value_kind:     hidden_remainder_x
      - .offset:         100
        .size:           2
        .value_kind:     hidden_remainder_y
      - .offset:         102
        .size:           2
        .value_kind:     hidden_remainder_z
      - .offset:         120
        .size:           8
        .value_kind:     hidden_global_offset_x
      - .offset:         128
        .size:           8
        .value_kind:     hidden_global_offset_y
      - .offset:         136
        .size:           8
        .value_kind:     hidden_global_offset_z
      - .offset:         144
        .size:           2
        .value_kind:     hidden_grid_dims
    .group_segment_fixed_size: 0
    .kernarg_segment_align: 8
    .kernarg_segment_size: 336
    .language:       OpenCL C
    .language_version:
      - 2
      - 0
    .max_flat_workgroup_size: 72
    .name:           _ZL33flash_attn_stream_k_fixup_generalILi72ELi32ELi2EEvPfPK15HIP_vector_typeIfLj2EEiiiiS1_IjLj3EES5_S5_S5_
    .private_segment_fixed_size: 0
    .sgpr_count:     48
    .sgpr_spill_count: 0
    .symbol:         _ZL33flash_attn_stream_k_fixup_generalILi72ELi32ELi2EEvPfPK15HIP_vector_typeIfLj2EEiiiiS1_IjLj3EES5_S5_S5_.kd
    .uniform_work_group_size: 1
    .uses_dynamic_stack: false
    .vgpr_count:     12
    .vgpr_spill_count: 0
    .wavefront_size: 32
  - .args:
      - .address_space:  global
        .offset:         0
        .size:           8
        .value_kind:     global_buffer
      - .address_space:  global
        .offset:         8
        .size:           8
        .value_kind:     global_buffer
      - .address_space:  global
        .offset:         16
        .size:           8
        .value_kind:     global_buffer
      - .address_space:  global
        .offset:         24
        .size:           8
        .value_kind:     global_buffer
      - .address_space:  global
        .offset:         32
        .size:           8
        .value_kind:     global_buffer
      - .address_space:  global
        .offset:         40
        .size:           8
        .value_kind:     global_buffer
      - .address_space:  global
        .offset:         48
        .size:           8
        .value_kind:     global_buffer
      - .address_space:  global
        .offset:         56
        .size:           8
        .value_kind:     global_buffer
      - .offset:         64
        .size:           4
        .value_kind:     by_value
      - .offset:         68
        .size:           4
        .value_kind:     by_value
      - .offset:         72
        .size:           4
        .value_kind:     by_value
      - .offset:         76
        .size:           4
        .value_kind:     by_value
      - .offset:         80
        .size:           4
        .value_kind:     by_value
      - .offset:         84
        .size:           4
        .value_kind:     by_value
      - .offset:         88
        .size:           4
        .value_kind:     by_value
      - .offset:         92
        .size:           12
        .value_kind:     by_value
      - .offset:         104
        .size:           4
        .value_kind:     by_value
      - .offset:         108
        .size:           4
        .value_kind:     by_value
      - .offset:         112
        .size:           4
        .value_kind:     by_value
      - .offset:         116
        .size:           4
        .value_kind:     by_value
      - .offset:         120
        .size:           4
        .value_kind:     by_value
      - .offset:         124
        .size:           4
        .value_kind:     by_value
      - .offset:         128
        .size:           4
        .value_kind:     by_value
      - .offset:         132
        .size:           4
        .value_kind:     by_value
      - .offset:         136
        .size:           4
        .value_kind:     by_value
      - .offset:         140
        .size:           4
        .value_kind:     by_value
      - .offset:         144
        .size:           4
        .value_kind:     by_value
      - .offset:         152
        .size:           8
        .value_kind:     by_value
      - .offset:         160
        .size:           4
        .value_kind:     by_value
      - .offset:         164
        .size:           4
        .value_kind:     by_value
      - .offset:         168
        .size:           8
        .value_kind:     by_value
      - .offset:         176
        .size:           4
        .value_kind:     by_value
      - .offset:         180
        .size:           4
        .value_kind:     by_value
      - .offset:         184
        .size:           4
        .value_kind:     by_value
      - .offset:         188
        .size:           4
        .value_kind:     by_value
      - .offset:         192
        .size:           4
        .value_kind:     by_value
      - .offset:         200
        .size:           8
        .value_kind:     by_value
      - .offset:         208
        .size:           4
        .value_kind:     hidden_block_count_x
      - .offset:         212
        .size:           4
        .value_kind:     hidden_block_count_y
      - .offset:         216
        .size:           4
        .value_kind:     hidden_block_count_z
      - .offset:         220
        .size:           2
        .value_kind:     hidden_group_size_x
      - .offset:         222
        .size:           2
        .value_kind:     hidden_group_size_y
      - .offset:         224
        .size:           2
        .value_kind:     hidden_group_size_z
      - .offset:         226
        .size:           2
        .value_kind:     hidden_remainder_x
      - .offset:         228
        .size:           2
        .value_kind:     hidden_remainder_y
      - .offset:         230
        .size:           2
        .value_kind:     hidden_remainder_z
      - .offset:         248
        .size:           8
        .value_kind:     hidden_global_offset_x
      - .offset:         256
        .size:           8
        .value_kind:     hidden_global_offset_y
      - .offset:         264
        .size:           8
        .value_kind:     hidden_global_offset_z
      - .offset:         272
        .size:           2
        .value_kind:     hidden_grid_dims
    .group_segment_fixed_size: 12000
    .kernarg_segment_align: 8
    .kernarg_segment_size: 464
    .language:       OpenCL C
    .language_version:
      - 2
      - 0
    .max_flat_workgroup_size: 256
    .name:           _ZL15flash_attn_tileILi72ELi72ELi16ELi2ELb0EEvPKcS1_S1_S1_S1_PKiPfP15HIP_vector_typeIfLj2EEffffjfiS5_IjLj3EEiiiiiiiiiiiliiliiiiil
    .private_segment_fixed_size: 0
    .sgpr_count:     50
    .sgpr_spill_count: 0
    .symbol:         _ZL15flash_attn_tileILi72ELi72ELi16ELi2ELb0EEvPKcS1_S1_S1_S1_PKiPfP15HIP_vector_typeIfLj2EEffffjfiS5_IjLj3EEiiiiiiiiiiiliiliiiiil.kd
    .uniform_work_group_size: 1
    .uses_dynamic_stack: false
    .vgpr_count:     150
    .vgpr_spill_count: 0
    .wavefront_size: 32
  - .args:
      - .address_space:  global
        .offset:         0
        .size:           8
        .value_kind:     global_buffer
      - .address_space:  global
        .offset:         8
        .size:           8
        .value_kind:     global_buffer
      - .offset:         16
        .size:           4
        .value_kind:     by_value
      - .offset:         20
        .size:           4
        .value_kind:     by_value
      - .offset:         24
        .size:           4
        .value_kind:     by_value
      - .offset:         28
        .size:           4
        .value_kind:     by_value
      - .offset:         32
        .size:           4
        .value_kind:     by_value
      - .offset:         36
        .size:           4
        .value_kind:     by_value
      - .offset:         40
        .size:           12
        .value_kind:     by_value
      - .offset:         52
        .size:           12
        .value_kind:     by_value
      - .offset:         64
        .size:           12
        .value_kind:     by_value
    .group_segment_fixed_size: 0
    .kernarg_segment_align: 8
    .kernarg_segment_size: 76
    .language:       OpenCL C
    .language_version:
      - 2
      - 0
    .max_flat_workgroup_size: 72
    .name:           _ZL33flash_attn_stream_k_fixup_uniformILi72ELi16ELi2EEvPfPK15HIP_vector_typeIfLj2EEiiiiiiS1_IjLj3EES5_S5_
    .private_segment_fixed_size: 0
    .sgpr_count:     23
    .sgpr_spill_count: 0
    .symbol:         _ZL33flash_attn_stream_k_fixup_uniformILi72ELi16ELi2EEvPfPK15HIP_vector_typeIfLj2EEiiiiiiS1_IjLj3EES5_S5_.kd
    .uniform_work_group_size: 1
    .uses_dynamic_stack: false
    .vgpr_count:     12
    .vgpr_spill_count: 0
    .wavefront_size: 32
  - .args:
      - .address_space:  global
        .offset:         0
        .size:           8
        .value_kind:     global_buffer
      - .address_space:  global
        .offset:         8
        .size:           8
        .value_kind:     global_buffer
      - .offset:         16
        .size:           4
        .value_kind:     by_value
      - .offset:         20
        .size:           4
        .value_kind:     by_value
      - .offset:         24
        .size:           4
        .value_kind:     by_value
      - .offset:         28
        .size:           4
        .value_kind:     by_value
      - .offset:         32
        .size:           12
        .value_kind:     by_value
      - .offset:         44
        .size:           12
        .value_kind:     by_value
      - .offset:         56
        .size:           12
        .value_kind:     by_value
      - .offset:         68
        .size:           12
        .value_kind:     by_value
      - .offset:         80
        .size:           4
        .value_kind:     hidden_block_count_x
      - .offset:         84
        .size:           4
        .value_kind:     hidden_block_count_y
      - .offset:         88
        .size:           4
        .value_kind:     hidden_block_count_z
      - .offset:         92
        .size:           2
        .value_kind:     hidden_group_size_x
      - .offset:         94
        .size:           2
        .value_kind:     hidden_group_size_y
      - .offset:         96
        .size:           2
        .value_kind:     hidden_group_size_z
      - .offset:         98
        .size:           2
        .value_kind:     hidden_remainder_x
      - .offset:         100
        .size:           2
        .value_kind:     hidden_remainder_y
      - .offset:         102
        .size:           2
        .value_kind:     hidden_remainder_z
      - .offset:         120
        .size:           8
        .value_kind:     hidden_global_offset_x
      - .offset:         128
        .size:           8
        .value_kind:     hidden_global_offset_y
      - .offset:         136
        .size:           8
        .value_kind:     hidden_global_offset_z
      - .offset:         144
        .size:           2
        .value_kind:     hidden_grid_dims
    .group_segment_fixed_size: 0
    .kernarg_segment_align: 8
    .kernarg_segment_size: 336
    .language:       OpenCL C
    .language_version:
      - 2
      - 0
    .max_flat_workgroup_size: 72
    .name:           _ZL33flash_attn_stream_k_fixup_generalILi72ELi16ELi2EEvPfPK15HIP_vector_typeIfLj2EEiiiiS1_IjLj3EES5_S5_S5_
    .private_segment_fixed_size: 0
    .sgpr_count:     48
    .sgpr_spill_count: 0
    .symbol:         _ZL33flash_attn_stream_k_fixup_generalILi72ELi16ELi2EEvPfPK15HIP_vector_typeIfLj2EEiiiiS1_IjLj3EES5_S5_S5_.kd
    .uniform_work_group_size: 1
    .uses_dynamic_stack: false
    .vgpr_count:     12
    .vgpr_spill_count: 0
    .wavefront_size: 32
  - .args:
      - .address_space:  global
        .offset:         0
        .size:           8
        .value_kind:     global_buffer
      - .address_space:  global
        .offset:         8
        .size:           8
        .value_kind:     global_buffer
      - .address_space:  global
        .offset:         16
        .size:           8
        .value_kind:     global_buffer
      - .address_space:  global
        .offset:         24
        .size:           8
        .value_kind:     global_buffer
      - .address_space:  global
        .offset:         32
        .size:           8
        .value_kind:     global_buffer
      - .address_space:  global
        .offset:         40
        .size:           8
        .value_kind:     global_buffer
      - .address_space:  global
        .offset:         48
        .size:           8
        .value_kind:     global_buffer
      - .address_space:  global
        .offset:         56
        .size:           8
        .value_kind:     global_buffer
      - .offset:         64
        .size:           4
        .value_kind:     by_value
      - .offset:         68
        .size:           4
        .value_kind:     by_value
      - .offset:         72
        .size:           4
        .value_kind:     by_value
      - .offset:         76
        .size:           4
        .value_kind:     by_value
      - .offset:         80
        .size:           4
        .value_kind:     by_value
      - .offset:         84
        .size:           4
        .value_kind:     by_value
      - .offset:         88
        .size:           4
        .value_kind:     by_value
      - .offset:         92
        .size:           12
        .value_kind:     by_value
      - .offset:         104
        .size:           4
        .value_kind:     by_value
      - .offset:         108
        .size:           4
        .value_kind:     by_value
      - .offset:         112
        .size:           4
        .value_kind:     by_value
      - .offset:         116
        .size:           4
        .value_kind:     by_value
      - .offset:         120
        .size:           4
        .value_kind:     by_value
      - .offset:         124
        .size:           4
        .value_kind:     by_value
      - .offset:         128
        .size:           4
        .value_kind:     by_value
      - .offset:         132
        .size:           4
        .value_kind:     by_value
      - .offset:         136
        .size:           4
        .value_kind:     by_value
      - .offset:         140
        .size:           4
        .value_kind:     by_value
      - .offset:         144
        .size:           4
        .value_kind:     by_value
      - .offset:         152
        .size:           8
        .value_kind:     by_value
      - .offset:         160
        .size:           4
        .value_kind:     by_value
      - .offset:         164
        .size:           4
        .value_kind:     by_value
      - .offset:         168
        .size:           8
        .value_kind:     by_value
      - .offset:         176
        .size:           4
        .value_kind:     by_value
      - .offset:         180
        .size:           4
        .value_kind:     by_value
      - .offset:         184
        .size:           4
        .value_kind:     by_value
      - .offset:         188
        .size:           4
        .value_kind:     by_value
      - .offset:         192
        .size:           4
        .value_kind:     by_value
      - .offset:         200
        .size:           8
        .value_kind:     by_value
      - .offset:         208
        .size:           4
        .value_kind:     hidden_block_count_x
      - .offset:         212
        .size:           4
        .value_kind:     hidden_block_count_y
      - .offset:         216
        .size:           4
        .value_kind:     hidden_block_count_z
      - .offset:         220
        .size:           2
        .value_kind:     hidden_group_size_x
      - .offset:         222
        .size:           2
        .value_kind:     hidden_group_size_y
      - .offset:         224
        .size:           2
        .value_kind:     hidden_group_size_z
      - .offset:         226
        .size:           2
        .value_kind:     hidden_remainder_x
      - .offset:         228
        .size:           2
        .value_kind:     hidden_remainder_y
      - .offset:         230
        .size:           2
        .value_kind:     hidden_remainder_z
      - .offset:         248
        .size:           8
        .value_kind:     hidden_global_offset_x
      - .offset:         256
        .size:           8
        .value_kind:     hidden_global_offset_y
      - .offset:         264
        .size:           8
        .value_kind:     hidden_global_offset_z
      - .offset:         272
        .size:           2
        .value_kind:     hidden_grid_dims
    .group_segment_fixed_size: 8672
    .kernarg_segment_align: 8
    .kernarg_segment_size: 464
    .language:       OpenCL C
    .language_version:
      - 2
      - 0
    .max_flat_workgroup_size: 256
    .name:           _ZL15flash_attn_tileILi72ELi72ELi8ELi2ELb0EEvPKcS1_S1_S1_S1_PKiPfP15HIP_vector_typeIfLj2EEffffjfiS5_IjLj3EEiiiiiiiiiiiliiliiiiil
    .private_segment_fixed_size: 0
    .sgpr_count:     45
    .sgpr_spill_count: 0
    .symbol:         _ZL15flash_attn_tileILi72ELi72ELi8ELi2ELb0EEvPKcS1_S1_S1_S1_PKiPfP15HIP_vector_typeIfLj2EEffffjfiS5_IjLj3EEiiiiiiiiiiiliiliiiiil.kd
    .uniform_work_group_size: 1
    .uses_dynamic_stack: false
    .vgpr_count:     138
    .vgpr_spill_count: 0
    .wavefront_size: 32
  - .args:
      - .address_space:  global
        .offset:         0
        .size:           8
        .value_kind:     global_buffer
      - .address_space:  global
        .offset:         8
        .size:           8
        .value_kind:     global_buffer
      - .offset:         16
        .size:           4
        .value_kind:     by_value
      - .offset:         20
        .size:           4
        .value_kind:     by_value
      - .offset:         24
        .size:           4
        .value_kind:     by_value
      - .offset:         28
        .size:           4
        .value_kind:     by_value
      - .offset:         32
        .size:           4
        .value_kind:     by_value
      - .offset:         36
        .size:           4
        .value_kind:     by_value
      - .offset:         40
        .size:           12
        .value_kind:     by_value
      - .offset:         52
        .size:           12
        .value_kind:     by_value
      - .offset:         64
        .size:           12
        .value_kind:     by_value
    .group_segment_fixed_size: 0
    .kernarg_segment_align: 8
    .kernarg_segment_size: 76
    .language:       OpenCL C
    .language_version:
      - 2
      - 0
    .max_flat_workgroup_size: 72
    .name:           _ZL33flash_attn_stream_k_fixup_uniformILi72ELi8ELi2EEvPfPK15HIP_vector_typeIfLj2EEiiiiiiS1_IjLj3EES5_S5_
    .private_segment_fixed_size: 0
    .sgpr_count:     23
    .sgpr_spill_count: 0
    .symbol:         _ZL33flash_attn_stream_k_fixup_uniformILi72ELi8ELi2EEvPfPK15HIP_vector_typeIfLj2EEiiiiiiS1_IjLj3EES5_S5_.kd
    .uniform_work_group_size: 1
    .uses_dynamic_stack: false
    .vgpr_count:     12
    .vgpr_spill_count: 0
    .wavefront_size: 32
  - .args:
      - .address_space:  global
        .offset:         0
        .size:           8
        .value_kind:     global_buffer
      - .address_space:  global
        .offset:         8
        .size:           8
        .value_kind:     global_buffer
      - .offset:         16
        .size:           4
        .value_kind:     by_value
      - .offset:         20
        .size:           4
        .value_kind:     by_value
      - .offset:         24
        .size:           4
        .value_kind:     by_value
      - .offset:         28
        .size:           4
        .value_kind:     by_value
      - .offset:         32
        .size:           12
        .value_kind:     by_value
      - .offset:         44
        .size:           12
        .value_kind:     by_value
      - .offset:         56
        .size:           12
        .value_kind:     by_value
      - .offset:         68
        .size:           12
        .value_kind:     by_value
      - .offset:         80
        .size:           4
        .value_kind:     hidden_block_count_x
      - .offset:         84
        .size:           4
        .value_kind:     hidden_block_count_y
      - .offset:         88
        .size:           4
        .value_kind:     hidden_block_count_z
      - .offset:         92
        .size:           2
        .value_kind:     hidden_group_size_x
      - .offset:         94
        .size:           2
        .value_kind:     hidden_group_size_y
      - .offset:         96
        .size:           2
        .value_kind:     hidden_group_size_z
      - .offset:         98
        .size:           2
        .value_kind:     hidden_remainder_x
      - .offset:         100
        .size:           2
        .value_kind:     hidden_remainder_y
      - .offset:         102
        .size:           2
        .value_kind:     hidden_remainder_z
      - .offset:         120
        .size:           8
        .value_kind:     hidden_global_offset_x
      - .offset:         128
        .size:           8
        .value_kind:     hidden_global_offset_y
      - .offset:         136
        .size:           8
        .value_kind:     hidden_global_offset_z
      - .offset:         144
        .size:           2
        .value_kind:     hidden_grid_dims
    .group_segment_fixed_size: 0
    .kernarg_segment_align: 8
    .kernarg_segment_size: 336
    .language:       OpenCL C
    .language_version:
      - 2
      - 0
    .max_flat_workgroup_size: 72
    .name:           _ZL33flash_attn_stream_k_fixup_generalILi72ELi8ELi2EEvPfPK15HIP_vector_typeIfLj2EEiiiiS1_IjLj3EES5_S5_S5_
    .private_segment_fixed_size: 0
    .sgpr_count:     48
    .sgpr_spill_count: 0
    .symbol:         _ZL33flash_attn_stream_k_fixup_generalILi72ELi8ELi2EEvPfPK15HIP_vector_typeIfLj2EEiiiiS1_IjLj3EES5_S5_S5_.kd
    .uniform_work_group_size: 1
    .uses_dynamic_stack: false
    .vgpr_count:     12
    .vgpr_spill_count: 0
    .wavefront_size: 32
  - .args:
      - .address_space:  global
        .offset:         0
        .size:           8
        .value_kind:     global_buffer
      - .address_space:  global
        .offset:         8
        .size:           8
        .value_kind:     global_buffer
      - .address_space:  global
        .offset:         16
        .size:           8
        .value_kind:     global_buffer
      - .address_space:  global
        .offset:         24
        .size:           8
        .value_kind:     global_buffer
      - .address_space:  global
        .offset:         32
        .size:           8
        .value_kind:     global_buffer
      - .address_space:  global
        .offset:         40
        .size:           8
        .value_kind:     global_buffer
      - .address_space:  global
        .offset:         48
        .size:           8
        .value_kind:     global_buffer
      - .address_space:  global
        .offset:         56
        .size:           8
        .value_kind:     global_buffer
      - .offset:         64
        .size:           4
        .value_kind:     by_value
      - .offset:         68
        .size:           4
        .value_kind:     by_value
      - .offset:         72
        .size:           4
        .value_kind:     by_value
      - .offset:         76
        .size:           4
        .value_kind:     by_value
      - .offset:         80
        .size:           4
        .value_kind:     by_value
      - .offset:         84
        .size:           4
        .value_kind:     by_value
      - .offset:         88
        .size:           4
        .value_kind:     by_value
      - .offset:         92
        .size:           12
        .value_kind:     by_value
      - .offset:         104
        .size:           4
        .value_kind:     by_value
      - .offset:         108
        .size:           4
        .value_kind:     by_value
      - .offset:         112
        .size:           4
        .value_kind:     by_value
      - .offset:         116
        .size:           4
        .value_kind:     by_value
      - .offset:         120
        .size:           4
        .value_kind:     by_value
      - .offset:         124
        .size:           4
        .value_kind:     by_value
      - .offset:         128
        .size:           4
        .value_kind:     by_value
      - .offset:         132
        .size:           4
        .value_kind:     by_value
      - .offset:         136
        .size:           4
        .value_kind:     by_value
      - .offset:         140
        .size:           4
        .value_kind:     by_value
      - .offset:         144
        .size:           4
        .value_kind:     by_value
      - .offset:         152
        .size:           8
        .value_kind:     by_value
      - .offset:         160
        .size:           4
        .value_kind:     by_value
      - .offset:         164
        .size:           4
        .value_kind:     by_value
      - .offset:         168
        .size:           8
        .value_kind:     by_value
      - .offset:         176
        .size:           4
        .value_kind:     by_value
      - .offset:         180
        .size:           4
        .value_kind:     by_value
      - .offset:         184
        .size:           4
        .value_kind:     by_value
      - .offset:         188
        .size:           4
        .value_kind:     by_value
      - .offset:         192
        .size:           4
        .value_kind:     by_value
      - .offset:         200
        .size:           8
        .value_kind:     by_value
      - .offset:         208
        .size:           4
        .value_kind:     hidden_block_count_x
      - .offset:         212
        .size:           4
        .value_kind:     hidden_block_count_y
      - .offset:         216
        .size:           4
        .value_kind:     hidden_block_count_z
      - .offset:         220
        .size:           2
        .value_kind:     hidden_group_size_x
      - .offset:         222
        .size:           2
        .value_kind:     hidden_group_size_y
      - .offset:         224
        .size:           2
        .value_kind:     hidden_group_size_z
      - .offset:         226
        .size:           2
        .value_kind:     hidden_remainder_x
      - .offset:         228
        .size:           2
        .value_kind:     hidden_remainder_y
      - .offset:         230
        .size:           2
        .value_kind:     hidden_remainder_z
      - .offset:         248
        .size:           8
        .value_kind:     hidden_global_offset_x
      - .offset:         256
        .size:           8
        .value_kind:     hidden_global_offset_y
      - .offset:         264
        .size:           8
        .value_kind:     hidden_global_offset_z
      - .offset:         272
        .size:           2
        .value_kind:     hidden_grid_dims
    .group_segment_fixed_size: 7008
    .kernarg_segment_align: 8
    .kernarg_segment_size: 464
    .language:       OpenCL C
    .language_version:
      - 2
      - 0
    .max_flat_workgroup_size: 256
    .name:           _ZL15flash_attn_tileILi72ELi72ELi4ELi2ELb0EEvPKcS1_S1_S1_S1_PKiPfP15HIP_vector_typeIfLj2EEffffjfiS5_IjLj3EEiiiiiiiiiiiliiliiiiil
    .private_segment_fixed_size: 0
    .sgpr_count:     48
    .sgpr_spill_count: 0
    .symbol:         _ZL15flash_attn_tileILi72ELi72ELi4ELi2ELb0EEvPKcS1_S1_S1_S1_PKiPfP15HIP_vector_typeIfLj2EEffffjfiS5_IjLj3EEiiiiiiiiiiiliiliiiiil.kd
    .uniform_work_group_size: 1
    .uses_dynamic_stack: false
    .vgpr_count:     65
    .vgpr_spill_count: 0
    .wavefront_size: 32
  - .args:
      - .address_space:  global
        .offset:         0
        .size:           8
        .value_kind:     global_buffer
      - .address_space:  global
        .offset:         8
        .size:           8
        .value_kind:     global_buffer
      - .offset:         16
        .size:           4
        .value_kind:     by_value
      - .offset:         20
        .size:           4
        .value_kind:     by_value
      - .offset:         24
        .size:           4
        .value_kind:     by_value
      - .offset:         28
        .size:           4
        .value_kind:     by_value
      - .offset:         32
        .size:           4
        .value_kind:     by_value
      - .offset:         36
        .size:           4
        .value_kind:     by_value
      - .offset:         40
        .size:           12
        .value_kind:     by_value
      - .offset:         52
        .size:           12
        .value_kind:     by_value
      - .offset:         64
        .size:           12
        .value_kind:     by_value
    .group_segment_fixed_size: 0
    .kernarg_segment_align: 8
    .kernarg_segment_size: 76
    .language:       OpenCL C
    .language_version:
      - 2
      - 0
    .max_flat_workgroup_size: 72
    .name:           _ZL33flash_attn_stream_k_fixup_uniformILi72ELi4ELi2EEvPfPK15HIP_vector_typeIfLj2EEiiiiiiS1_IjLj3EES5_S5_
    .private_segment_fixed_size: 0
    .sgpr_count:     23
    .sgpr_spill_count: 0
    .symbol:         _ZL33flash_attn_stream_k_fixup_uniformILi72ELi4ELi2EEvPfPK15HIP_vector_typeIfLj2EEiiiiiiS1_IjLj3EES5_S5_.kd
    .uniform_work_group_size: 1
    .uses_dynamic_stack: false
    .vgpr_count:     12
    .vgpr_spill_count: 0
    .wavefront_size: 32
  - .args:
      - .address_space:  global
        .offset:         0
        .size:           8
        .value_kind:     global_buffer
      - .address_space:  global
        .offset:         8
        .size:           8
        .value_kind:     global_buffer
      - .offset:         16
        .size:           4
        .value_kind:     by_value
      - .offset:         20
        .size:           4
        .value_kind:     by_value
      - .offset:         24
        .size:           4
        .value_kind:     by_value
      - .offset:         28
        .size:           4
        .value_kind:     by_value
      - .offset:         32
        .size:           12
        .value_kind:     by_value
      - .offset:         44
        .size:           12
        .value_kind:     by_value
      - .offset:         56
        .size:           12
        .value_kind:     by_value
      - .offset:         68
        .size:           12
        .value_kind:     by_value
      - .offset:         80
        .size:           4
        .value_kind:     hidden_block_count_x
      - .offset:         84
        .size:           4
        .value_kind:     hidden_block_count_y
      - .offset:         88
        .size:           4
        .value_kind:     hidden_block_count_z
      - .offset:         92
        .size:           2
        .value_kind:     hidden_group_size_x
      - .offset:         94
        .size:           2
        .value_kind:     hidden_group_size_y
      - .offset:         96
        .size:           2
        .value_kind:     hidden_group_size_z
      - .offset:         98
        .size:           2
        .value_kind:     hidden_remainder_x
      - .offset:         100
        .size:           2
        .value_kind:     hidden_remainder_y
      - .offset:         102
        .size:           2
        .value_kind:     hidden_remainder_z
      - .offset:         120
        .size:           8
        .value_kind:     hidden_global_offset_x
      - .offset:         128
        .size:           8
        .value_kind:     hidden_global_offset_y
      - .offset:         136
        .size:           8
        .value_kind:     hidden_global_offset_z
      - .offset:         144
        .size:           2
        .value_kind:     hidden_grid_dims
    .group_segment_fixed_size: 0
    .kernarg_segment_align: 8
    .kernarg_segment_size: 336
    .language:       OpenCL C
    .language_version:
      - 2
      - 0
    .max_flat_workgroup_size: 72
    .name:           _ZL33flash_attn_stream_k_fixup_generalILi72ELi4ELi2EEvPfPK15HIP_vector_typeIfLj2EEiiiiS1_IjLj3EES5_S5_S5_
    .private_segment_fixed_size: 0
    .sgpr_count:     48
    .sgpr_spill_count: 0
    .symbol:         _ZL33flash_attn_stream_k_fixup_generalILi72ELi4ELi2EEvPfPK15HIP_vector_typeIfLj2EEiiiiS1_IjLj3EES5_S5_S5_.kd
    .uniform_work_group_size: 1
    .uses_dynamic_stack: false
    .vgpr_count:     12
    .vgpr_spill_count: 0
    .wavefront_size: 32
  - .args:
      - .address_space:  global
        .offset:         0
        .size:           8
        .value_kind:     global_buffer
      - .address_space:  global
        .offset:         8
        .size:           8
        .value_kind:     global_buffer
      - .address_space:  global
        .offset:         16
        .size:           8
        .value_kind:     global_buffer
      - .address_space:  global
        .offset:         24
        .size:           8
        .value_kind:     global_buffer
      - .address_space:  global
        .offset:         32
        .size:           8
        .value_kind:     global_buffer
      - .address_space:  global
        .offset:         40
        .size:           8
        .value_kind:     global_buffer
      - .address_space:  global
        .offset:         48
        .size:           8
        .value_kind:     global_buffer
      - .address_space:  global
        .offset:         56
        .size:           8
        .value_kind:     global_buffer
      - .offset:         64
        .size:           4
        .value_kind:     by_value
      - .offset:         68
        .size:           4
        .value_kind:     by_value
      - .offset:         72
        .size:           4
        .value_kind:     by_value
      - .offset:         76
        .size:           4
        .value_kind:     by_value
      - .offset:         80
        .size:           4
        .value_kind:     by_value
      - .offset:         84
        .size:           4
        .value_kind:     by_value
      - .offset:         88
        .size:           4
        .value_kind:     by_value
      - .offset:         92
        .size:           12
        .value_kind:     by_value
      - .offset:         104
        .size:           4
        .value_kind:     by_value
      - .offset:         108
        .size:           4
        .value_kind:     by_value
      - .offset:         112
        .size:           4
        .value_kind:     by_value
      - .offset:         116
        .size:           4
        .value_kind:     by_value
      - .offset:         120
        .size:           4
        .value_kind:     by_value
      - .offset:         124
        .size:           4
        .value_kind:     by_value
      - .offset:         128
        .size:           4
        .value_kind:     by_value
      - .offset:         132
        .size:           4
        .value_kind:     by_value
      - .offset:         136
        .size:           4
        .value_kind:     by_value
      - .offset:         140
        .size:           4
        .value_kind:     by_value
      - .offset:         144
        .size:           4
        .value_kind:     by_value
      - .offset:         152
        .size:           8
        .value_kind:     by_value
      - .offset:         160
        .size:           4
        .value_kind:     by_value
      - .offset:         164
        .size:           4
        .value_kind:     by_value
      - .offset:         168
        .size:           8
        .value_kind:     by_value
      - .offset:         176
        .size:           4
        .value_kind:     by_value
      - .offset:         180
        .size:           4
        .value_kind:     by_value
      - .offset:         184
        .size:           4
        .value_kind:     by_value
      - .offset:         188
        .size:           4
        .value_kind:     by_value
      - .offset:         192
        .size:           4
        .value_kind:     by_value
      - .offset:         200
        .size:           8
        .value_kind:     by_value
      - .offset:         208
        .size:           4
        .value_kind:     hidden_block_count_x
      - .offset:         212
        .size:           4
        .value_kind:     hidden_block_count_y
      - .offset:         216
        .size:           4
        .value_kind:     hidden_block_count_z
      - .offset:         220
        .size:           2
        .value_kind:     hidden_group_size_x
      - .offset:         222
        .size:           2
        .value_kind:     hidden_group_size_y
      - .offset:         224
        .size:           2
        .value_kind:     hidden_group_size_z
      - .offset:         226
        .size:           2
        .value_kind:     hidden_remainder_x
      - .offset:         228
        .size:           2
        .value_kind:     hidden_remainder_y
      - .offset:         230
        .size:           2
        .value_kind:     hidden_remainder_z
      - .offset:         248
        .size:           8
        .value_kind:     hidden_global_offset_x
      - .offset:         256
        .size:           8
        .value_kind:     hidden_global_offset_y
      - .offset:         264
        .size:           8
        .value_kind:     hidden_global_offset_z
      - .offset:         272
        .size:           2
        .value_kind:     hidden_grid_dims
    .group_segment_fixed_size: 6176
    .kernarg_segment_align: 8
    .kernarg_segment_size: 464
    .language:       OpenCL C
    .language_version:
      - 2
      - 0
    .max_flat_workgroup_size: 128
    .name:           _ZL15flash_attn_tileILi72ELi72ELi2ELi2ELb0EEvPKcS1_S1_S1_S1_PKiPfP15HIP_vector_typeIfLj2EEffffjfiS5_IjLj3EEiiiiiiiiiiiliiliiiiil
    .private_segment_fixed_size: 0
    .sgpr_count:     48
    .sgpr_spill_count: 0
    .symbol:         _ZL15flash_attn_tileILi72ELi72ELi2ELi2ELb0EEvPKcS1_S1_S1_S1_PKiPfP15HIP_vector_typeIfLj2EEffffjfiS5_IjLj3EEiiiiiiiiiiiliiliiiiil.kd
    .uniform_work_group_size: 1
    .uses_dynamic_stack: false
    .vgpr_count:     71
    .vgpr_spill_count: 0
    .wavefront_size: 32
  - .args:
      - .address_space:  global
        .offset:         0
        .size:           8
        .value_kind:     global_buffer
      - .address_space:  global
        .offset:         8
        .size:           8
        .value_kind:     global_buffer
      - .offset:         16
        .size:           4
        .value_kind:     by_value
      - .offset:         20
        .size:           4
        .value_kind:     by_value
      - .offset:         24
        .size:           4
        .value_kind:     by_value
      - .offset:         28
        .size:           4
        .value_kind:     by_value
      - .offset:         32
        .size:           4
        .value_kind:     by_value
      - .offset:         36
        .size:           4
        .value_kind:     by_value
      - .offset:         40
        .size:           12
        .value_kind:     by_value
      - .offset:         52
        .size:           12
        .value_kind:     by_value
      - .offset:         64
        .size:           12
        .value_kind:     by_value
    .group_segment_fixed_size: 0
    .kernarg_segment_align: 8
    .kernarg_segment_size: 76
    .language:       OpenCL C
    .language_version:
      - 2
      - 0
    .max_flat_workgroup_size: 72
    .name:           _ZL33flash_attn_stream_k_fixup_uniformILi72ELi2ELi2EEvPfPK15HIP_vector_typeIfLj2EEiiiiiiS1_IjLj3EES5_S5_
    .private_segment_fixed_size: 0
    .sgpr_count:     23
    .sgpr_spill_count: 0
    .symbol:         _ZL33flash_attn_stream_k_fixup_uniformILi72ELi2ELi2EEvPfPK15HIP_vector_typeIfLj2EEiiiiiiS1_IjLj3EES5_S5_.kd
    .uniform_work_group_size: 1
    .uses_dynamic_stack: false
    .vgpr_count:     12
    .vgpr_spill_count: 0
    .wavefront_size: 32
  - .args:
      - .address_space:  global
        .offset:         0
        .size:           8
        .value_kind:     global_buffer
      - .address_space:  global
        .offset:         8
        .size:           8
        .value_kind:     global_buffer
      - .offset:         16
        .size:           4
        .value_kind:     by_value
      - .offset:         20
        .size:           4
        .value_kind:     by_value
      - .offset:         24
        .size:           4
        .value_kind:     by_value
      - .offset:         28
        .size:           4
        .value_kind:     by_value
      - .offset:         32
        .size:           12
        .value_kind:     by_value
      - .offset:         44
        .size:           12
        .value_kind:     by_value
      - .offset:         56
        .size:           12
        .value_kind:     by_value
      - .offset:         68
        .size:           12
        .value_kind:     by_value
      - .offset:         80
        .size:           4
        .value_kind:     hidden_block_count_x
      - .offset:         84
        .size:           4
        .value_kind:     hidden_block_count_y
      - .offset:         88
        .size:           4
        .value_kind:     hidden_block_count_z
      - .offset:         92
        .size:           2
        .value_kind:     hidden_group_size_x
      - .offset:         94
        .size:           2
        .value_kind:     hidden_group_size_y
      - .offset:         96
        .size:           2
        .value_kind:     hidden_group_size_z
      - .offset:         98
        .size:           2
        .value_kind:     hidden_remainder_x
      - .offset:         100
        .size:           2
        .value_kind:     hidden_remainder_y
      - .offset:         102
        .size:           2
        .value_kind:     hidden_remainder_z
      - .offset:         120
        .size:           8
        .value_kind:     hidden_global_offset_x
      - .offset:         128
        .size:           8
        .value_kind:     hidden_global_offset_y
      - .offset:         136
        .size:           8
        .value_kind:     hidden_global_offset_z
      - .offset:         144
        .size:           2
        .value_kind:     hidden_grid_dims
    .group_segment_fixed_size: 0
    .kernarg_segment_align: 8
    .kernarg_segment_size: 336
    .language:       OpenCL C
    .language_version:
      - 2
      - 0
    .max_flat_workgroup_size: 72
    .name:           _ZL33flash_attn_stream_k_fixup_generalILi72ELi2ELi2EEvPfPK15HIP_vector_typeIfLj2EEiiiiS1_IjLj3EES5_S5_S5_
    .private_segment_fixed_size: 0
    .sgpr_count:     48
    .sgpr_spill_count: 0
    .symbol:         _ZL33flash_attn_stream_k_fixup_generalILi72ELi2ELi2EEvPfPK15HIP_vector_typeIfLj2EEiiiiS1_IjLj3EES5_S5_S5_.kd
    .uniform_work_group_size: 1
    .uses_dynamic_stack: false
    .vgpr_count:     12
    .vgpr_spill_count: 0
    .wavefront_size: 32
  - .args:
      - .address_space:  global
        .offset:         0
        .size:           8
        .value_kind:     global_buffer
      - .address_space:  global
        .offset:         8
        .size:           8
        .value_kind:     global_buffer
      - .address_space:  global
        .offset:         16
        .size:           8
        .value_kind:     global_buffer
      - .address_space:  global
        .offset:         24
        .size:           8
        .value_kind:     global_buffer
      - .address_space:  global
        .offset:         32
        .size:           8
        .value_kind:     global_buffer
      - .address_space:  global
        .offset:         40
        .size:           8
        .value_kind:     global_buffer
      - .address_space:  global
        .offset:         48
        .size:           8
        .value_kind:     global_buffer
      - .address_space:  global
        .offset:         56
        .size:           8
        .value_kind:     global_buffer
      - .offset:         64
        .size:           4
        .value_kind:     by_value
      - .offset:         68
        .size:           4
        .value_kind:     by_value
      - .offset:         72
        .size:           4
        .value_kind:     by_value
      - .offset:         76
        .size:           4
        .value_kind:     by_value
      - .offset:         80
        .size:           4
        .value_kind:     by_value
      - .offset:         84
        .size:           4
        .value_kind:     by_value
      - .offset:         88
        .size:           4
        .value_kind:     by_value
      - .offset:         92
        .size:           12
        .value_kind:     by_value
      - .offset:         104
        .size:           4
        .value_kind:     by_value
      - .offset:         108
        .size:           4
        .value_kind:     by_value
      - .offset:         112
        .size:           4
        .value_kind:     by_value
      - .offset:         116
        .size:           4
        .value_kind:     by_value
      - .offset:         120
        .size:           4
        .value_kind:     by_value
      - .offset:         124
        .size:           4
        .value_kind:     by_value
      - .offset:         128
        .size:           4
        .value_kind:     by_value
      - .offset:         132
        .size:           4
        .value_kind:     by_value
      - .offset:         136
        .size:           4
        .value_kind:     by_value
      - .offset:         140
        .size:           4
        .value_kind:     by_value
      - .offset:         144
        .size:           4
        .value_kind:     by_value
      - .offset:         152
        .size:           8
        .value_kind:     by_value
      - .offset:         160
        .size:           4
        .value_kind:     by_value
      - .offset:         164
        .size:           4
        .value_kind:     by_value
      - .offset:         168
        .size:           8
        .value_kind:     by_value
      - .offset:         176
        .size:           4
        .value_kind:     by_value
      - .offset:         180
        .size:           4
        .value_kind:     by_value
      - .offset:         184
        .size:           4
        .value_kind:     by_value
      - .offset:         188
        .size:           4
        .value_kind:     by_value
      - .offset:         192
        .size:           4
        .value_kind:     by_value
      - .offset:         200
        .size:           8
        .value_kind:     by_value
      - .offset:         208
        .size:           4
        .value_kind:     hidden_block_count_x
      - .offset:         212
        .size:           4
        .value_kind:     hidden_block_count_y
      - .offset:         216
        .size:           4
        .value_kind:     hidden_block_count_z
      - .offset:         220
        .size:           2
        .value_kind:     hidden_group_size_x
      - .offset:         222
        .size:           2
        .value_kind:     hidden_group_size_y
      - .offset:         224
        .size:           2
        .value_kind:     hidden_group_size_z
      - .offset:         226
        .size:           2
        .value_kind:     hidden_remainder_x
      - .offset:         228
        .size:           2
        .value_kind:     hidden_remainder_y
      - .offset:         230
        .size:           2
        .value_kind:     hidden_remainder_z
      - .offset:         248
        .size:           8
        .value_kind:     hidden_global_offset_x
      - .offset:         256
        .size:           8
        .value_kind:     hidden_global_offset_y
      - .offset:         264
        .size:           8
        .value_kind:     hidden_global_offset_z
      - .offset:         272
        .size:           2
        .value_kind:     hidden_grid_dims
    .group_segment_fixed_size: 5760
    .kernarg_segment_align: 8
    .kernarg_segment_size: 464
    .language:       OpenCL C
    .language_version:
      - 2
      - 0
    .max_flat_workgroup_size: 64
    .name:           _ZL15flash_attn_tileILi72ELi72ELi1ELi2ELb0EEvPKcS1_S1_S1_S1_PKiPfP15HIP_vector_typeIfLj2EEffffjfiS5_IjLj3EEiiiiiiiiiiiliiliiiiil
    .private_segment_fixed_size: 0
    .sgpr_count:     48
    .sgpr_spill_count: 0
    .symbol:         _ZL15flash_attn_tileILi72ELi72ELi1ELi2ELb0EEvPKcS1_S1_S1_S1_PKiPfP15HIP_vector_typeIfLj2EEffffjfiS5_IjLj3EEiiiiiiiiiiiliiliiiiil.kd
    .uniform_work_group_size: 1
    .uses_dynamic_stack: false
    .vgpr_count:     81
    .vgpr_spill_count: 0
    .wavefront_size: 32
  - .args:
      - .address_space:  global
        .offset:         0
        .size:           8
        .value_kind:     global_buffer
      - .address_space:  global
        .offset:         8
        .size:           8
        .value_kind:     global_buffer
      - .offset:         16
        .size:           4
        .value_kind:     by_value
      - .offset:         20
        .size:           4
        .value_kind:     by_value
      - .offset:         24
        .size:           4
        .value_kind:     by_value
      - .offset:         28
        .size:           4
        .value_kind:     by_value
      - .offset:         32
        .size:           4
        .value_kind:     by_value
      - .offset:         36
        .size:           4
        .value_kind:     by_value
      - .offset:         40
        .size:           12
        .value_kind:     by_value
      - .offset:         52
        .size:           12
        .value_kind:     by_value
      - .offset:         64
        .size:           12
        .value_kind:     by_value
    .group_segment_fixed_size: 0
    .kernarg_segment_align: 8
    .kernarg_segment_size: 76
    .language:       OpenCL C
    .language_version:
      - 2
      - 0
    .max_flat_workgroup_size: 72
    .name:           _ZL33flash_attn_stream_k_fixup_uniformILi72ELi1ELi2EEvPfPK15HIP_vector_typeIfLj2EEiiiiiiS1_IjLj3EES5_S5_
    .private_segment_fixed_size: 0
    .sgpr_count:     23
    .sgpr_spill_count: 0
    .symbol:         _ZL33flash_attn_stream_k_fixup_uniformILi72ELi1ELi2EEvPfPK15HIP_vector_typeIfLj2EEiiiiiiS1_IjLj3EES5_S5_.kd
    .uniform_work_group_size: 1
    .uses_dynamic_stack: false
    .vgpr_count:     12
    .vgpr_spill_count: 0
    .wavefront_size: 32
  - .args:
      - .address_space:  global
        .offset:         0
        .size:           8
        .value_kind:     global_buffer
      - .address_space:  global
        .offset:         8
        .size:           8
        .value_kind:     global_buffer
      - .offset:         16
        .size:           4
        .value_kind:     by_value
      - .offset:         20
        .size:           4
        .value_kind:     by_value
      - .offset:         24
        .size:           4
        .value_kind:     by_value
      - .offset:         28
        .size:           4
        .value_kind:     by_value
      - .offset:         32
        .size:           12
        .value_kind:     by_value
      - .offset:         44
        .size:           12
        .value_kind:     by_value
      - .offset:         56
        .size:           12
        .value_kind:     by_value
      - .offset:         68
        .size:           12
        .value_kind:     by_value
      - .offset:         80
        .size:           4
        .value_kind:     hidden_block_count_x
      - .offset:         84
        .size:           4
        .value_kind:     hidden_block_count_y
      - .offset:         88
        .size:           4
        .value_kind:     hidden_block_count_z
      - .offset:         92
        .size:           2
        .value_kind:     hidden_group_size_x
      - .offset:         94
        .size:           2
        .value_kind:     hidden_group_size_y
      - .offset:         96
        .size:           2
        .value_kind:     hidden_group_size_z
      - .offset:         98
        .size:           2
        .value_kind:     hidden_remainder_x
      - .offset:         100
        .size:           2
        .value_kind:     hidden_remainder_y
      - .offset:         102
        .size:           2
        .value_kind:     hidden_remainder_z
      - .offset:         120
        .size:           8
        .value_kind:     hidden_global_offset_x
      - .offset:         128
        .size:           8
        .value_kind:     hidden_global_offset_y
      - .offset:         136
        .size:           8
        .value_kind:     hidden_global_offset_z
      - .offset:         144
        .size:           2
        .value_kind:     hidden_grid_dims
    .group_segment_fixed_size: 0
    .kernarg_segment_align: 8
    .kernarg_segment_size: 336
    .language:       OpenCL C
    .language_version:
      - 2
      - 0
    .max_flat_workgroup_size: 72
    .name:           _ZL33flash_attn_stream_k_fixup_generalILi72ELi1ELi2EEvPfPK15HIP_vector_typeIfLj2EEiiiiS1_IjLj3EES5_S5_S5_
    .private_segment_fixed_size: 0
    .sgpr_count:     48
    .sgpr_spill_count: 0
    .symbol:         _ZL33flash_attn_stream_k_fixup_generalILi72ELi1ELi2EEvPfPK15HIP_vector_typeIfLj2EEiiiiS1_IjLj3EES5_S5_S5_.kd
    .uniform_work_group_size: 1
    .uses_dynamic_stack: false
    .vgpr_count:     12
    .vgpr_spill_count: 0
    .wavefront_size: 32
  - .args:
      - .address_space:  global
        .offset:         0
        .size:           8
        .value_kind:     global_buffer
      - .address_space:  global
        .offset:         8
        .size:           8
        .value_kind:     global_buffer
      - .address_space:  global
        .offset:         16
        .size:           8
        .value_kind:     global_buffer
      - .address_space:  global
        .offset:         24
        .size:           8
        .value_kind:     global_buffer
      - .address_space:  global
        .offset:         32
        .size:           8
        .value_kind:     global_buffer
      - .address_space:  global
        .offset:         40
        .size:           8
        .value_kind:     global_buffer
      - .address_space:  global
        .offset:         48
        .size:           8
        .value_kind:     global_buffer
      - .address_space:  global
        .offset:         56
        .size:           8
        .value_kind:     global_buffer
      - .offset:         64
        .size:           4
        .value_kind:     by_value
      - .offset:         68
        .size:           4
        .value_kind:     by_value
      - .offset:         72
        .size:           4
        .value_kind:     by_value
      - .offset:         76
        .size:           4
        .value_kind:     by_value
      - .offset:         80
        .size:           4
        .value_kind:     by_value
      - .offset:         84
        .size:           4
        .value_kind:     by_value
      - .offset:         88
        .size:           4
        .value_kind:     by_value
      - .offset:         92
        .size:           12
        .value_kind:     by_value
      - .offset:         104
        .size:           4
        .value_kind:     by_value
      - .offset:         108
        .size:           4
        .value_kind:     by_value
      - .offset:         112
        .size:           4
        .value_kind:     by_value
      - .offset:         116
        .size:           4
        .value_kind:     by_value
      - .offset:         120
        .size:           4
        .value_kind:     by_value
      - .offset:         124
        .size:           4
        .value_kind:     by_value
      - .offset:         128
        .size:           4
        .value_kind:     by_value
      - .offset:         132
        .size:           4
        .value_kind:     by_value
      - .offset:         136
        .size:           4
        .value_kind:     by_value
      - .offset:         140
        .size:           4
        .value_kind:     by_value
      - .offset:         144
        .size:           4
        .value_kind:     by_value
      - .offset:         152
        .size:           8
        .value_kind:     by_value
      - .offset:         160
        .size:           4
        .value_kind:     by_value
      - .offset:         164
        .size:           4
        .value_kind:     by_value
      - .offset:         168
        .size:           8
        .value_kind:     by_value
      - .offset:         176
        .size:           4
        .value_kind:     by_value
      - .offset:         180
        .size:           4
        .value_kind:     by_value
      - .offset:         184
        .size:           4
        .value_kind:     by_value
      - .offset:         188
        .size:           4
        .value_kind:     by_value
      - .offset:         192
        .size:           4
        .value_kind:     by_value
      - .offset:         200
        .size:           8
        .value_kind:     by_value
      - .offset:         208
        .size:           4
        .value_kind:     hidden_block_count_x
      - .offset:         212
        .size:           4
        .value_kind:     hidden_block_count_y
      - .offset:         216
        .size:           4
        .value_kind:     hidden_block_count_z
      - .offset:         220
        .size:           2
        .value_kind:     hidden_group_size_x
      - .offset:         222
        .size:           2
        .value_kind:     hidden_group_size_y
      - .offset:         224
        .size:           2
        .value_kind:     hidden_group_size_z
      - .offset:         226
        .size:           2
        .value_kind:     hidden_remainder_x
      - .offset:         228
        .size:           2
        .value_kind:     hidden_remainder_y
      - .offset:         230
        .size:           2
        .value_kind:     hidden_remainder_z
      - .offset:         248
        .size:           8
        .value_kind:     hidden_global_offset_x
      - .offset:         256
        .size:           8
        .value_kind:     hidden_global_offset_y
      - .offset:         264
        .size:           8
        .value_kind:     hidden_global_offset_z
      - .offset:         272
        .size:           2
        .value_kind:     hidden_grid_dims
    .group_segment_fixed_size: 18656
    .kernarg_segment_align: 8
    .kernarg_segment_size: 464
    .language:       OpenCL C
    .language_version:
      - 2
      - 0
    .max_flat_workgroup_size: 256
    .name:           _ZL15flash_attn_tileILi72ELi72ELi64ELi1ELb0EEvPKcS1_S1_S1_S1_PKiPfP15HIP_vector_typeIfLj2EEffffjfiS5_IjLj3EEiiiiiiiiiiiliiliiiiil
    .private_segment_fixed_size: 32
    .sgpr_count:     55
    .sgpr_spill_count: 0
    .symbol:         _ZL15flash_attn_tileILi72ELi72ELi64ELi1ELb0EEvPKcS1_S1_S1_S1_PKiPfP15HIP_vector_typeIfLj2EEffffjfiS5_IjLj3EEiiiiiiiiiiiliiliiiiil.kd
    .uniform_work_group_size: 1
    .uses_dynamic_stack: false
    .vgpr_count:     155
    .vgpr_spill_count: 0
    .wavefront_size: 32
  - .args:
      - .actual_access:  read_only
        .address_space:  global
        .offset:         0
        .size:           8
        .value_kind:     global_buffer
      - .actual_access:  write_only
        .address_space:  global
        .offset:         8
        .size:           8
        .value_kind:     global_buffer
      - .offset:         16
        .size:           4
        .value_kind:     by_value
      - .offset:         20
        .size:           4
        .value_kind:     by_value
      - .offset:         24
        .size:           4
        .value_kind:     by_value
      - .offset:         32
        .size:           4
        .value_kind:     hidden_block_count_x
      - .offset:         36
        .size:           4
        .value_kind:     hidden_block_count_y
      - .offset:         40
        .size:           4
        .value_kind:     hidden_block_count_z
      - .offset:         44
        .size:           2
        .value_kind:     hidden_group_size_x
      - .offset:         46
        .size:           2
        .value_kind:     hidden_group_size_y
      - .offset:         48
        .size:           2
        .value_kind:     hidden_group_size_z
      - .offset:         50
        .size:           2
        .value_kind:     hidden_remainder_x
      - .offset:         52
        .size:           2
        .value_kind:     hidden_remainder_y
      - .offset:         54
        .size:           2
        .value_kind:     hidden_remainder_z
      - .offset:         72
        .size:           8
        .value_kind:     hidden_global_offset_x
      - .offset:         80
        .size:           8
        .value_kind:     hidden_global_offset_y
      - .offset:         88
        .size:           8
        .value_kind:     hidden_global_offset_z
      - .offset:         96
        .size:           2
        .value_kind:     hidden_grid_dims
    .group_segment_fixed_size: 128
    .kernarg_segment_align: 8
    .kernarg_segment_size: 288
    .language:       OpenCL C
    .language_version:
      - 2
      - 0
    .max_flat_workgroup_size: 128
    .name:           _ZL25flash_attn_mask_to_KV_maxILi64EEvPK7__half2Piiii
    .private_segment_fixed_size: 0
    .sgpr_count:     107
    .sgpr_spill_count: 33
    .symbol:         _ZL25flash_attn_mask_to_KV_maxILi64EEvPK7__half2Piiii.kd
    .uniform_work_group_size: 1
    .uses_dynamic_stack: false
    .vgpr_count:     8
    .vgpr_spill_count: 0
    .wavefront_size: 32
  - .args:
      - .address_space:  global
        .offset:         0
        .size:           8
        .value_kind:     global_buffer
      - .address_space:  global
        .offset:         8
        .size:           8
        .value_kind:     global_buffer
      - .offset:         16
        .size:           4
        .value_kind:     by_value
      - .offset:         20
        .size:           4
        .value_kind:     by_value
      - .offset:         24
        .size:           4
        .value_kind:     by_value
      - .offset:         28
        .size:           4
        .value_kind:     by_value
      - .offset:         32
        .size:           4
        .value_kind:     by_value
      - .offset:         36
        .size:           4
        .value_kind:     by_value
      - .offset:         40
        .size:           12
        .value_kind:     by_value
      - .offset:         52
        .size:           12
        .value_kind:     by_value
      - .offset:         64
        .size:           12
        .value_kind:     by_value
    .group_segment_fixed_size: 0
    .kernarg_segment_align: 8
    .kernarg_segment_size: 76
    .language:       OpenCL C
    .language_version:
      - 2
      - 0
    .max_flat_workgroup_size: 72
    .name:           _ZL33flash_attn_stream_k_fixup_uniformILi72ELi64ELi1EEvPfPK15HIP_vector_typeIfLj2EEiiiiiiS1_IjLj3EES5_S5_
    .private_segment_fixed_size: 0
    .sgpr_count:     23
    .sgpr_spill_count: 0
    .symbol:         _ZL33flash_attn_stream_k_fixup_uniformILi72ELi64ELi1EEvPfPK15HIP_vector_typeIfLj2EEiiiiiiS1_IjLj3EES5_S5_.kd
    .uniform_work_group_size: 1
    .uses_dynamic_stack: false
    .vgpr_count:     12
    .vgpr_spill_count: 0
    .wavefront_size: 32
  - .args:
      - .address_space:  global
        .offset:         0
        .size:           8
        .value_kind:     global_buffer
      - .address_space:  global
        .offset:         8
        .size:           8
        .value_kind:     global_buffer
      - .offset:         16
        .size:           4
        .value_kind:     by_value
      - .offset:         20
        .size:           4
        .value_kind:     by_value
      - .offset:         24
        .size:           4
        .value_kind:     by_value
      - .offset:         28
        .size:           4
        .value_kind:     by_value
      - .offset:         32
        .size:           12
        .value_kind:     by_value
      - .offset:         44
        .size:           12
        .value_kind:     by_value
      - .offset:         56
        .size:           12
        .value_kind:     by_value
      - .offset:         68
        .size:           12
        .value_kind:     by_value
      - .offset:         80
        .size:           4
        .value_kind:     hidden_block_count_x
      - .offset:         84
        .size:           4
        .value_kind:     hidden_block_count_y
      - .offset:         88
        .size:           4
        .value_kind:     hidden_block_count_z
      - .offset:         92
        .size:           2
        .value_kind:     hidden_group_size_x
      - .offset:         94
        .size:           2
        .value_kind:     hidden_group_size_y
      - .offset:         96
        .size:           2
        .value_kind:     hidden_group_size_z
      - .offset:         98
        .size:           2
        .value_kind:     hidden_remainder_x
      - .offset:         100
        .size:           2
        .value_kind:     hidden_remainder_y
      - .offset:         102
        .size:           2
        .value_kind:     hidden_remainder_z
      - .offset:         120
        .size:           8
        .value_kind:     hidden_global_offset_x
      - .offset:         128
        .size:           8
        .value_kind:     hidden_global_offset_y
      - .offset:         136
        .size:           8
        .value_kind:     hidden_global_offset_z
      - .offset:         144
        .size:           2
        .value_kind:     hidden_grid_dims
    .group_segment_fixed_size: 0
    .kernarg_segment_align: 8
    .kernarg_segment_size: 336
    .language:       OpenCL C
    .language_version:
      - 2
      - 0
    .max_flat_workgroup_size: 72
    .name:           _ZL33flash_attn_stream_k_fixup_generalILi72ELi64ELi1EEvPfPK15HIP_vector_typeIfLj2EEiiiiS1_IjLj3EES5_S5_S5_
    .private_segment_fixed_size: 0
    .sgpr_count:     48
    .sgpr_spill_count: 0
    .symbol:         _ZL33flash_attn_stream_k_fixup_generalILi72ELi64ELi1EEvPfPK15HIP_vector_typeIfLj2EEiiiiS1_IjLj3EES5_S5_S5_.kd
    .uniform_work_group_size: 1
    .uses_dynamic_stack: false
    .vgpr_count:     12
    .vgpr_spill_count: 0
    .wavefront_size: 32
  - .args:
      - .address_space:  global
        .offset:         0
        .size:           8
        .value_kind:     global_buffer
      - .address_space:  global
        .offset:         8
        .size:           8
        .value_kind:     global_buffer
      - .address_space:  global
        .offset:         16
        .size:           8
        .value_kind:     global_buffer
      - .address_space:  global
        .offset:         24
        .size:           8
        .value_kind:     global_buffer
      - .address_space:  global
        .offset:         32
        .size:           8
        .value_kind:     global_buffer
      - .address_space:  global
        .offset:         40
        .size:           8
        .value_kind:     global_buffer
      - .address_space:  global
        .offset:         48
        .size:           8
        .value_kind:     global_buffer
      - .address_space:  global
        .offset:         56
        .size:           8
        .value_kind:     global_buffer
      - .offset:         64
        .size:           4
        .value_kind:     by_value
      - .offset:         68
        .size:           4
        .value_kind:     by_value
      - .offset:         72
        .size:           4
        .value_kind:     by_value
      - .offset:         76
        .size:           4
        .value_kind:     by_value
      - .offset:         80
        .size:           4
        .value_kind:     by_value
      - .offset:         84
        .size:           4
        .value_kind:     by_value
      - .offset:         88
        .size:           4
        .value_kind:     by_value
      - .offset:         92
        .size:           12
        .value_kind:     by_value
      - .offset:         104
        .size:           4
        .value_kind:     by_value
      - .offset:         108
        .size:           4
        .value_kind:     by_value
      - .offset:         112
        .size:           4
        .value_kind:     by_value
      - .offset:         116
        .size:           4
        .value_kind:     by_value
      - .offset:         120
        .size:           4
        .value_kind:     by_value
      - .offset:         124
        .size:           4
        .value_kind:     by_value
      - .offset:         128
        .size:           4
        .value_kind:     by_value
      - .offset:         132
        .size:           4
        .value_kind:     by_value
      - .offset:         136
        .size:           4
        .value_kind:     by_value
      - .offset:         140
        .size:           4
        .value_kind:     by_value
      - .offset:         144
        .size:           4
        .value_kind:     by_value
      - .offset:         152
        .size:           8
        .value_kind:     by_value
      - .offset:         160
        .size:           4
        .value_kind:     by_value
      - .offset:         164
        .size:           4
        .value_kind:     by_value
      - .offset:         168
        .size:           8
        .value_kind:     by_value
      - .offset:         176
        .size:           4
        .value_kind:     by_value
      - .offset:         180
        .size:           4
        .value_kind:     by_value
      - .offset:         184
        .size:           4
        .value_kind:     by_value
      - .offset:         188
        .size:           4
        .value_kind:     by_value
      - .offset:         192
        .size:           4
        .value_kind:     by_value
      - .offset:         200
        .size:           8
        .value_kind:     by_value
      - .offset:         208
        .size:           4
        .value_kind:     hidden_block_count_x
      - .offset:         212
        .size:           4
        .value_kind:     hidden_block_count_y
      - .offset:         216
        .size:           4
        .value_kind:     hidden_block_count_z
      - .offset:         220
        .size:           2
        .value_kind:     hidden_group_size_x
      - .offset:         222
        .size:           2
        .value_kind:     hidden_group_size_y
      - .offset:         224
        .size:           2
        .value_kind:     hidden_group_size_z
      - .offset:         226
        .size:           2
        .value_kind:     hidden_remainder_x
      - .offset:         228
        .size:           2
        .value_kind:     hidden_remainder_y
      - .offset:         230
        .size:           2
        .value_kind:     hidden_remainder_z
      - .offset:         248
        .size:           8
        .value_kind:     hidden_global_offset_x
      - .offset:         256
        .size:           8
        .value_kind:     hidden_global_offset_y
      - .offset:         264
        .size:           8
        .value_kind:     hidden_global_offset_z
      - .offset:         272
        .size:           2
        .value_kind:     hidden_grid_dims
    .group_segment_fixed_size: 12000
    .kernarg_segment_align: 8
    .kernarg_segment_size: 464
    .language:       OpenCL C
    .language_version:
      - 2
      - 0
    .max_flat_workgroup_size: 256
    .name:           _ZL15flash_attn_tileILi72ELi72ELi32ELi1ELb0EEvPKcS1_S1_S1_S1_PKiPfP15HIP_vector_typeIfLj2EEffffjfiS5_IjLj3EEiiiiiiiiiiiliiliiiiil
    .private_segment_fixed_size: 32
    .sgpr_count:     50
    .sgpr_spill_count: 0
    .symbol:         _ZL15flash_attn_tileILi72ELi72ELi32ELi1ELb0EEvPKcS1_S1_S1_S1_PKiPfP15HIP_vector_typeIfLj2EEffffjfiS5_IjLj3EEiiiiiiiiiiiliiliiiiil.kd
    .uniform_work_group_size: 1
    .uses_dynamic_stack: false
    .vgpr_count:     186
    .vgpr_spill_count: 0
    .wavefront_size: 32
  - .args:
      - .address_space:  global
        .offset:         0
        .size:           8
        .value_kind:     global_buffer
      - .address_space:  global
        .offset:         8
        .size:           8
        .value_kind:     global_buffer
      - .offset:         16
        .size:           4
        .value_kind:     by_value
      - .offset:         20
        .size:           4
        .value_kind:     by_value
      - .offset:         24
        .size:           4
        .value_kind:     by_value
      - .offset:         28
        .size:           4
        .value_kind:     by_value
      - .offset:         32
        .size:           4
        .value_kind:     by_value
      - .offset:         36
        .size:           4
        .value_kind:     by_value
      - .offset:         40
        .size:           12
        .value_kind:     by_value
      - .offset:         52
        .size:           12
        .value_kind:     by_value
      - .offset:         64
        .size:           12
        .value_kind:     by_value
    .group_segment_fixed_size: 0
    .kernarg_segment_align: 8
    .kernarg_segment_size: 76
    .language:       OpenCL C
    .language_version:
      - 2
      - 0
    .max_flat_workgroup_size: 72
    .name:           _ZL33flash_attn_stream_k_fixup_uniformILi72ELi32ELi1EEvPfPK15HIP_vector_typeIfLj2EEiiiiiiS1_IjLj3EES5_S5_
    .private_segment_fixed_size: 0
    .sgpr_count:     23
    .sgpr_spill_count: 0
    .symbol:         _ZL33flash_attn_stream_k_fixup_uniformILi72ELi32ELi1EEvPfPK15HIP_vector_typeIfLj2EEiiiiiiS1_IjLj3EES5_S5_.kd
    .uniform_work_group_size: 1
    .uses_dynamic_stack: false
    .vgpr_count:     12
    .vgpr_spill_count: 0
    .wavefront_size: 32
  - .args:
      - .address_space:  global
        .offset:         0
        .size:           8
        .value_kind:     global_buffer
      - .address_space:  global
        .offset:         8
        .size:           8
        .value_kind:     global_buffer
      - .offset:         16
        .size:           4
        .value_kind:     by_value
      - .offset:         20
        .size:           4
        .value_kind:     by_value
      - .offset:         24
        .size:           4
        .value_kind:     by_value
      - .offset:         28
        .size:           4
        .value_kind:     by_value
      - .offset:         32
        .size:           12
        .value_kind:     by_value
      - .offset:         44
        .size:           12
        .value_kind:     by_value
      - .offset:         56
        .size:           12
        .value_kind:     by_value
      - .offset:         68
        .size:           12
        .value_kind:     by_value
      - .offset:         80
        .size:           4
        .value_kind:     hidden_block_count_x
      - .offset:         84
        .size:           4
        .value_kind:     hidden_block_count_y
      - .offset:         88
        .size:           4
        .value_kind:     hidden_block_count_z
      - .offset:         92
        .size:           2
        .value_kind:     hidden_group_size_x
      - .offset:         94
        .size:           2
        .value_kind:     hidden_group_size_y
      - .offset:         96
        .size:           2
        .value_kind:     hidden_group_size_z
      - .offset:         98
        .size:           2
        .value_kind:     hidden_remainder_x
      - .offset:         100
        .size:           2
        .value_kind:     hidden_remainder_y
      - .offset:         102
        .size:           2
        .value_kind:     hidden_remainder_z
      - .offset:         120
        .size:           8
        .value_kind:     hidden_global_offset_x
      - .offset:         128
        .size:           8
        .value_kind:     hidden_global_offset_y
      - .offset:         136
        .size:           8
        .value_kind:     hidden_global_offset_z
      - .offset:         144
        .size:           2
        .value_kind:     hidden_grid_dims
    .group_segment_fixed_size: 0
    .kernarg_segment_align: 8
    .kernarg_segment_size: 336
    .language:       OpenCL C
    .language_version:
      - 2
      - 0
    .max_flat_workgroup_size: 72
    .name:           _ZL33flash_attn_stream_k_fixup_generalILi72ELi32ELi1EEvPfPK15HIP_vector_typeIfLj2EEiiiiS1_IjLj3EES5_S5_S5_
    .private_segment_fixed_size: 0
    .sgpr_count:     48
    .sgpr_spill_count: 0
    .symbol:         _ZL33flash_attn_stream_k_fixup_generalILi72ELi32ELi1EEvPfPK15HIP_vector_typeIfLj2EEiiiiS1_IjLj3EES5_S5_S5_.kd
    .uniform_work_group_size: 1
    .uses_dynamic_stack: false
    .vgpr_count:     12
    .vgpr_spill_count: 0
    .wavefront_size: 32
  - .args:
      - .address_space:  global
        .offset:         0
        .size:           8
        .value_kind:     global_buffer
      - .address_space:  global
        .offset:         8
        .size:           8
        .value_kind:     global_buffer
      - .address_space:  global
        .offset:         16
        .size:           8
        .value_kind:     global_buffer
      - .address_space:  global
        .offset:         24
        .size:           8
        .value_kind:     global_buffer
      - .address_space:  global
        .offset:         32
        .size:           8
        .value_kind:     global_buffer
      - .address_space:  global
        .offset:         40
        .size:           8
        .value_kind:     global_buffer
      - .address_space:  global
        .offset:         48
        .size:           8
        .value_kind:     global_buffer
      - .address_space:  global
        .offset:         56
        .size:           8
        .value_kind:     global_buffer
      - .offset:         64
        .size:           4
        .value_kind:     by_value
      - .offset:         68
        .size:           4
        .value_kind:     by_value
      - .offset:         72
        .size:           4
        .value_kind:     by_value
      - .offset:         76
        .size:           4
        .value_kind:     by_value
      - .offset:         80
        .size:           4
        .value_kind:     by_value
      - .offset:         84
        .size:           4
        .value_kind:     by_value
      - .offset:         88
        .size:           4
        .value_kind:     by_value
      - .offset:         92
        .size:           12
        .value_kind:     by_value
      - .offset:         104
        .size:           4
        .value_kind:     by_value
      - .offset:         108
        .size:           4
        .value_kind:     by_value
      - .offset:         112
        .size:           4
        .value_kind:     by_value
      - .offset:         116
        .size:           4
        .value_kind:     by_value
      - .offset:         120
        .size:           4
        .value_kind:     by_value
      - .offset:         124
        .size:           4
        .value_kind:     by_value
      - .offset:         128
        .size:           4
        .value_kind:     by_value
      - .offset:         132
        .size:           4
        .value_kind:     by_value
      - .offset:         136
        .size:           4
        .value_kind:     by_value
      - .offset:         140
        .size:           4
        .value_kind:     by_value
      - .offset:         144
        .size:           4
        .value_kind:     by_value
      - .offset:         152
        .size:           8
        .value_kind:     by_value
      - .offset:         160
        .size:           4
        .value_kind:     by_value
      - .offset:         164
        .size:           4
        .value_kind:     by_value
      - .offset:         168
        .size:           8
        .value_kind:     by_value
      - .offset:         176
        .size:           4
        .value_kind:     by_value
      - .offset:         180
        .size:           4
        .value_kind:     by_value
      - .offset:         184
        .size:           4
        .value_kind:     by_value
      - .offset:         188
        .size:           4
        .value_kind:     by_value
      - .offset:         192
        .size:           4
        .value_kind:     by_value
      - .offset:         200
        .size:           8
        .value_kind:     by_value
      - .offset:         208
        .size:           4
        .value_kind:     hidden_block_count_x
      - .offset:         212
        .size:           4
        .value_kind:     hidden_block_count_y
      - .offset:         216
        .size:           4
        .value_kind:     hidden_block_count_z
      - .offset:         220
        .size:           2
        .value_kind:     hidden_group_size_x
      - .offset:         222
        .size:           2
        .value_kind:     hidden_group_size_y
      - .offset:         224
        .size:           2
        .value_kind:     hidden_group_size_z
      - .offset:         226
        .size:           2
        .value_kind:     hidden_remainder_x
      - .offset:         228
        .size:           2
        .value_kind:     hidden_remainder_y
      - .offset:         230
        .size:           2
        .value_kind:     hidden_remainder_z
      - .offset:         248
        .size:           8
        .value_kind:     hidden_global_offset_x
      - .offset:         256
        .size:           8
        .value_kind:     hidden_global_offset_y
      - .offset:         264
        .size:           8
        .value_kind:     hidden_global_offset_z
      - .offset:         272
        .size:           2
        .value_kind:     hidden_grid_dims
    .group_segment_fixed_size: 8672
    .kernarg_segment_align: 8
    .kernarg_segment_size: 464
    .language:       OpenCL C
    .language_version:
      - 2
      - 0
    .max_flat_workgroup_size: 256
    .name:           _ZL15flash_attn_tileILi72ELi72ELi16ELi1ELb0EEvPKcS1_S1_S1_S1_PKiPfP15HIP_vector_typeIfLj2EEffffjfiS5_IjLj3EEiiiiiiiiiiiliiliiiiil
    .private_segment_fixed_size: 32
    .sgpr_count:     50
    .sgpr_spill_count: 0
    .symbol:         _ZL15flash_attn_tileILi72ELi72ELi16ELi1ELb0EEvPKcS1_S1_S1_S1_PKiPfP15HIP_vector_typeIfLj2EEffffjfiS5_IjLj3EEiiiiiiiiiiiliiliiiiil.kd
    .uniform_work_group_size: 1
    .uses_dynamic_stack: false
    .vgpr_count:     155
    .vgpr_spill_count: 0
    .wavefront_size: 32
  - .args:
      - .address_space:  global
        .offset:         0
        .size:           8
        .value_kind:     global_buffer
      - .address_space:  global
        .offset:         8
        .size:           8
        .value_kind:     global_buffer
      - .offset:         16
        .size:           4
        .value_kind:     by_value
      - .offset:         20
        .size:           4
        .value_kind:     by_value
      - .offset:         24
        .size:           4
        .value_kind:     by_value
      - .offset:         28
        .size:           4
        .value_kind:     by_value
      - .offset:         32
        .size:           4
        .value_kind:     by_value
      - .offset:         36
        .size:           4
        .value_kind:     by_value
      - .offset:         40
        .size:           12
        .value_kind:     by_value
      - .offset:         52
        .size:           12
        .value_kind:     by_value
      - .offset:         64
        .size:           12
        .value_kind:     by_value
    .group_segment_fixed_size: 0
    .kernarg_segment_align: 8
    .kernarg_segment_size: 76
    .language:       OpenCL C
    .language_version:
      - 2
      - 0
    .max_flat_workgroup_size: 72
    .name:           _ZL33flash_attn_stream_k_fixup_uniformILi72ELi16ELi1EEvPfPK15HIP_vector_typeIfLj2EEiiiiiiS1_IjLj3EES5_S5_
    .private_segment_fixed_size: 0
    .sgpr_count:     23
    .sgpr_spill_count: 0
    .symbol:         _ZL33flash_attn_stream_k_fixup_uniformILi72ELi16ELi1EEvPfPK15HIP_vector_typeIfLj2EEiiiiiiS1_IjLj3EES5_S5_.kd
    .uniform_work_group_size: 1
    .uses_dynamic_stack: false
    .vgpr_count:     12
    .vgpr_spill_count: 0
    .wavefront_size: 32
  - .args:
      - .address_space:  global
        .offset:         0
        .size:           8
        .value_kind:     global_buffer
      - .address_space:  global
        .offset:         8
        .size:           8
        .value_kind:     global_buffer
      - .offset:         16
        .size:           4
        .value_kind:     by_value
      - .offset:         20
        .size:           4
        .value_kind:     by_value
      - .offset:         24
        .size:           4
        .value_kind:     by_value
      - .offset:         28
        .size:           4
        .value_kind:     by_value
      - .offset:         32
        .size:           12
        .value_kind:     by_value
      - .offset:         44
        .size:           12
        .value_kind:     by_value
      - .offset:         56
        .size:           12
        .value_kind:     by_value
      - .offset:         68
        .size:           12
        .value_kind:     by_value
      - .offset:         80
        .size:           4
        .value_kind:     hidden_block_count_x
      - .offset:         84
        .size:           4
        .value_kind:     hidden_block_count_y
      - .offset:         88
        .size:           4
        .value_kind:     hidden_block_count_z
      - .offset:         92
        .size:           2
        .value_kind:     hidden_group_size_x
      - .offset:         94
        .size:           2
        .value_kind:     hidden_group_size_y
      - .offset:         96
        .size:           2
        .value_kind:     hidden_group_size_z
      - .offset:         98
        .size:           2
        .value_kind:     hidden_remainder_x
      - .offset:         100
        .size:           2
        .value_kind:     hidden_remainder_y
      - .offset:         102
        .size:           2
        .value_kind:     hidden_remainder_z
      - .offset:         120
        .size:           8
        .value_kind:     hidden_global_offset_x
      - .offset:         128
        .size:           8
        .value_kind:     hidden_global_offset_y
      - .offset:         136
        .size:           8
        .value_kind:     hidden_global_offset_z
      - .offset:         144
        .size:           2
        .value_kind:     hidden_grid_dims
    .group_segment_fixed_size: 0
    .kernarg_segment_align: 8
    .kernarg_segment_size: 336
    .language:       OpenCL C
    .language_version:
      - 2
      - 0
    .max_flat_workgroup_size: 72
    .name:           _ZL33flash_attn_stream_k_fixup_generalILi72ELi16ELi1EEvPfPK15HIP_vector_typeIfLj2EEiiiiS1_IjLj3EES5_S5_S5_
    .private_segment_fixed_size: 0
    .sgpr_count:     48
    .sgpr_spill_count: 0
    .symbol:         _ZL33flash_attn_stream_k_fixup_generalILi72ELi16ELi1EEvPfPK15HIP_vector_typeIfLj2EEiiiiS1_IjLj3EES5_S5_S5_.kd
    .uniform_work_group_size: 1
    .uses_dynamic_stack: false
    .vgpr_count:     12
    .vgpr_spill_count: 0
    .wavefront_size: 32
  - .args:
      - .address_space:  global
        .offset:         0
        .size:           8
        .value_kind:     global_buffer
      - .address_space:  global
        .offset:         8
        .size:           8
        .value_kind:     global_buffer
      - .address_space:  global
        .offset:         16
        .size:           8
        .value_kind:     global_buffer
      - .address_space:  global
        .offset:         24
        .size:           8
        .value_kind:     global_buffer
      - .address_space:  global
        .offset:         32
        .size:           8
        .value_kind:     global_buffer
      - .address_space:  global
        .offset:         40
        .size:           8
        .value_kind:     global_buffer
      - .address_space:  global
        .offset:         48
        .size:           8
        .value_kind:     global_buffer
      - .address_space:  global
        .offset:         56
        .size:           8
        .value_kind:     global_buffer
      - .offset:         64
        .size:           4
        .value_kind:     by_value
      - .offset:         68
        .size:           4
        .value_kind:     by_value
      - .offset:         72
        .size:           4
        .value_kind:     by_value
      - .offset:         76
        .size:           4
        .value_kind:     by_value
      - .offset:         80
        .size:           4
        .value_kind:     by_value
      - .offset:         84
        .size:           4
        .value_kind:     by_value
      - .offset:         88
        .size:           4
        .value_kind:     by_value
      - .offset:         92
        .size:           12
        .value_kind:     by_value
      - .offset:         104
        .size:           4
        .value_kind:     by_value
      - .offset:         108
        .size:           4
        .value_kind:     by_value
      - .offset:         112
        .size:           4
        .value_kind:     by_value
      - .offset:         116
        .size:           4
        .value_kind:     by_value
      - .offset:         120
        .size:           4
        .value_kind:     by_value
      - .offset:         124
        .size:           4
        .value_kind:     by_value
      - .offset:         128
        .size:           4
        .value_kind:     by_value
      - .offset:         132
        .size:           4
        .value_kind:     by_value
      - .offset:         136
        .size:           4
        .value_kind:     by_value
      - .offset:         140
        .size:           4
        .value_kind:     by_value
      - .offset:         144
        .size:           4
        .value_kind:     by_value
      - .offset:         152
        .size:           8
        .value_kind:     by_value
      - .offset:         160
        .size:           4
        .value_kind:     by_value
      - .offset:         164
        .size:           4
        .value_kind:     by_value
      - .offset:         168
        .size:           8
        .value_kind:     by_value
      - .offset:         176
        .size:           4
        .value_kind:     by_value
      - .offset:         180
        .size:           4
        .value_kind:     by_value
      - .offset:         184
        .size:           4
        .value_kind:     by_value
      - .offset:         188
        .size:           4
        .value_kind:     by_value
      - .offset:         192
        .size:           4
        .value_kind:     by_value
      - .offset:         200
        .size:           8
        .value_kind:     by_value
      - .offset:         208
        .size:           4
        .value_kind:     hidden_block_count_x
      - .offset:         212
        .size:           4
        .value_kind:     hidden_block_count_y
      - .offset:         216
        .size:           4
        .value_kind:     hidden_block_count_z
      - .offset:         220
        .size:           2
        .value_kind:     hidden_group_size_x
      - .offset:         222
        .size:           2
        .value_kind:     hidden_group_size_y
      - .offset:         224
        .size:           2
        .value_kind:     hidden_group_size_z
      - .offset:         226
        .size:           2
        .value_kind:     hidden_remainder_x
      - .offset:         228
        .size:           2
        .value_kind:     hidden_remainder_y
      - .offset:         230
        .size:           2
        .value_kind:     hidden_remainder_z
      - .offset:         248
        .size:           8
        .value_kind:     hidden_global_offset_x
      - .offset:         256
        .size:           8
        .value_kind:     hidden_global_offset_y
      - .offset:         264
        .size:           8
        .value_kind:     hidden_global_offset_z
      - .offset:         272
        .size:           2
        .value_kind:     hidden_grid_dims
    .group_segment_fixed_size: 7008
    .kernarg_segment_align: 8
    .kernarg_segment_size: 464
    .language:       OpenCL C
    .language_version:
      - 2
      - 0
    .max_flat_workgroup_size: 256
    .name:           _ZL15flash_attn_tileILi72ELi72ELi8ELi1ELb0EEvPKcS1_S1_S1_S1_PKiPfP15HIP_vector_typeIfLj2EEffffjfiS5_IjLj3EEiiiiiiiiiiiliiliiiiil
    .private_segment_fixed_size: 32
    .sgpr_count:     48
    .sgpr_spill_count: 0
    .symbol:         _ZL15flash_attn_tileILi72ELi72ELi8ELi1ELb0EEvPKcS1_S1_S1_S1_PKiPfP15HIP_vector_typeIfLj2EEffffjfiS5_IjLj3EEiiiiiiiiiiiliiliiiiil.kd
    .uniform_work_group_size: 1
    .uses_dynamic_stack: false
    .vgpr_count:     63
    .vgpr_spill_count: 0
    .wavefront_size: 32
  - .args:
      - .address_space:  global
        .offset:         0
        .size:           8
        .value_kind:     global_buffer
      - .address_space:  global
        .offset:         8
        .size:           8
        .value_kind:     global_buffer
      - .offset:         16
        .size:           4
        .value_kind:     by_value
      - .offset:         20
        .size:           4
        .value_kind:     by_value
      - .offset:         24
        .size:           4
        .value_kind:     by_value
      - .offset:         28
        .size:           4
        .value_kind:     by_value
      - .offset:         32
        .size:           4
        .value_kind:     by_value
      - .offset:         36
        .size:           4
        .value_kind:     by_value
      - .offset:         40
        .size:           12
        .value_kind:     by_value
      - .offset:         52
        .size:           12
        .value_kind:     by_value
      - .offset:         64
        .size:           12
        .value_kind:     by_value
    .group_segment_fixed_size: 0
    .kernarg_segment_align: 8
    .kernarg_segment_size: 76
    .language:       OpenCL C
    .language_version:
      - 2
      - 0
    .max_flat_workgroup_size: 72
    .name:           _ZL33flash_attn_stream_k_fixup_uniformILi72ELi8ELi1EEvPfPK15HIP_vector_typeIfLj2EEiiiiiiS1_IjLj3EES5_S5_
    .private_segment_fixed_size: 0
    .sgpr_count:     23
    .sgpr_spill_count: 0
    .symbol:         _ZL33flash_attn_stream_k_fixup_uniformILi72ELi8ELi1EEvPfPK15HIP_vector_typeIfLj2EEiiiiiiS1_IjLj3EES5_S5_.kd
    .uniform_work_group_size: 1
    .uses_dynamic_stack: false
    .vgpr_count:     12
    .vgpr_spill_count: 0
    .wavefront_size: 32
  - .args:
      - .address_space:  global
        .offset:         0
        .size:           8
        .value_kind:     global_buffer
      - .address_space:  global
        .offset:         8
        .size:           8
        .value_kind:     global_buffer
      - .offset:         16
        .size:           4
        .value_kind:     by_value
      - .offset:         20
        .size:           4
        .value_kind:     by_value
      - .offset:         24
        .size:           4
        .value_kind:     by_value
      - .offset:         28
        .size:           4
        .value_kind:     by_value
      - .offset:         32
        .size:           12
        .value_kind:     by_value
      - .offset:         44
        .size:           12
        .value_kind:     by_value
      - .offset:         56
        .size:           12
        .value_kind:     by_value
      - .offset:         68
        .size:           12
        .value_kind:     by_value
      - .offset:         80
        .size:           4
        .value_kind:     hidden_block_count_x
      - .offset:         84
        .size:           4
        .value_kind:     hidden_block_count_y
      - .offset:         88
        .size:           4
        .value_kind:     hidden_block_count_z
      - .offset:         92
        .size:           2
        .value_kind:     hidden_group_size_x
      - .offset:         94
        .size:           2
        .value_kind:     hidden_group_size_y
      - .offset:         96
        .size:           2
        .value_kind:     hidden_group_size_z
      - .offset:         98
        .size:           2
        .value_kind:     hidden_remainder_x
      - .offset:         100
        .size:           2
        .value_kind:     hidden_remainder_y
      - .offset:         102
        .size:           2
        .value_kind:     hidden_remainder_z
      - .offset:         120
        .size:           8
        .value_kind:     hidden_global_offset_x
      - .offset:         128
        .size:           8
        .value_kind:     hidden_global_offset_y
      - .offset:         136
        .size:           8
        .value_kind:     hidden_global_offset_z
      - .offset:         144
        .size:           2
        .value_kind:     hidden_grid_dims
    .group_segment_fixed_size: 0
    .kernarg_segment_align: 8
    .kernarg_segment_size: 336
    .language:       OpenCL C
    .language_version:
      - 2
      - 0
    .max_flat_workgroup_size: 72
    .name:           _ZL33flash_attn_stream_k_fixup_generalILi72ELi8ELi1EEvPfPK15HIP_vector_typeIfLj2EEiiiiS1_IjLj3EES5_S5_S5_
    .private_segment_fixed_size: 0
    .sgpr_count:     48
    .sgpr_spill_count: 0
    .symbol:         _ZL33flash_attn_stream_k_fixup_generalILi72ELi8ELi1EEvPfPK15HIP_vector_typeIfLj2EEiiiiS1_IjLj3EES5_S5_S5_.kd
    .uniform_work_group_size: 1
    .uses_dynamic_stack: false
    .vgpr_count:     12
    .vgpr_spill_count: 0
    .wavefront_size: 32
  - .args:
      - .address_space:  global
        .offset:         0
        .size:           8
        .value_kind:     global_buffer
      - .address_space:  global
        .offset:         8
        .size:           8
        .value_kind:     global_buffer
      - .address_space:  global
        .offset:         16
        .size:           8
        .value_kind:     global_buffer
      - .address_space:  global
        .offset:         24
        .size:           8
        .value_kind:     global_buffer
      - .address_space:  global
        .offset:         32
        .size:           8
        .value_kind:     global_buffer
      - .address_space:  global
        .offset:         40
        .size:           8
        .value_kind:     global_buffer
      - .address_space:  global
        .offset:         48
        .size:           8
        .value_kind:     global_buffer
      - .address_space:  global
        .offset:         56
        .size:           8
        .value_kind:     global_buffer
      - .offset:         64
        .size:           4
        .value_kind:     by_value
      - .offset:         68
        .size:           4
        .value_kind:     by_value
      - .offset:         72
        .size:           4
        .value_kind:     by_value
      - .offset:         76
        .size:           4
        .value_kind:     by_value
      - .offset:         80
        .size:           4
        .value_kind:     by_value
      - .offset:         84
        .size:           4
        .value_kind:     by_value
      - .offset:         88
        .size:           4
        .value_kind:     by_value
      - .offset:         92
        .size:           12
        .value_kind:     by_value
      - .offset:         104
        .size:           4
        .value_kind:     by_value
      - .offset:         108
        .size:           4
        .value_kind:     by_value
      - .offset:         112
        .size:           4
        .value_kind:     by_value
      - .offset:         116
        .size:           4
        .value_kind:     by_value
      - .offset:         120
        .size:           4
        .value_kind:     by_value
      - .offset:         124
        .size:           4
        .value_kind:     by_value
      - .offset:         128
        .size:           4
        .value_kind:     by_value
      - .offset:         132
        .size:           4
        .value_kind:     by_value
      - .offset:         136
        .size:           4
        .value_kind:     by_value
      - .offset:         140
        .size:           4
        .value_kind:     by_value
      - .offset:         144
        .size:           4
        .value_kind:     by_value
      - .offset:         152
        .size:           8
        .value_kind:     by_value
      - .offset:         160
        .size:           4
        .value_kind:     by_value
      - .offset:         164
        .size:           4
        .value_kind:     by_value
      - .offset:         168
        .size:           8
        .value_kind:     by_value
      - .offset:         176
        .size:           4
        .value_kind:     by_value
      - .offset:         180
        .size:           4
        .value_kind:     by_value
      - .offset:         184
        .size:           4
        .value_kind:     by_value
      - .offset:         188
        .size:           4
        .value_kind:     by_value
      - .offset:         192
        .size:           4
        .value_kind:     by_value
      - .offset:         200
        .size:           8
        .value_kind:     by_value
      - .offset:         208
        .size:           4
        .value_kind:     hidden_block_count_x
      - .offset:         212
        .size:           4
        .value_kind:     hidden_block_count_y
      - .offset:         216
        .size:           4
        .value_kind:     hidden_block_count_z
      - .offset:         220
        .size:           2
        .value_kind:     hidden_group_size_x
      - .offset:         222
        .size:           2
        .value_kind:     hidden_group_size_y
      - .offset:         224
        .size:           2
        .value_kind:     hidden_group_size_z
      - .offset:         226
        .size:           2
        .value_kind:     hidden_remainder_x
      - .offset:         228
        .size:           2
        .value_kind:     hidden_remainder_y
      - .offset:         230
        .size:           2
        .value_kind:     hidden_remainder_z
      - .offset:         248
        .size:           8
        .value_kind:     hidden_global_offset_x
      - .offset:         256
        .size:           8
        .value_kind:     hidden_global_offset_y
      - .offset:         264
        .size:           8
        .value_kind:     hidden_global_offset_z
      - .offset:         272
        .size:           2
        .value_kind:     hidden_grid_dims
    .group_segment_fixed_size: 6176
    .kernarg_segment_align: 8
    .kernarg_segment_size: 464
    .language:       OpenCL C
    .language_version:
      - 2
      - 0
    .max_flat_workgroup_size: 128
    .name:           _ZL15flash_attn_tileILi72ELi72ELi4ELi1ELb0EEvPKcS1_S1_S1_S1_PKiPfP15HIP_vector_typeIfLj2EEffffjfiS5_IjLj3EEiiiiiiiiiiiliiliiiiil
    .private_segment_fixed_size: 32
    .sgpr_count:     48
    .sgpr_spill_count: 0
    .symbol:         _ZL15flash_attn_tileILi72ELi72ELi4ELi1ELb0EEvPKcS1_S1_S1_S1_PKiPfP15HIP_vector_typeIfLj2EEffffjfiS5_IjLj3EEiiiiiiiiiiiliiliiiiil.kd
    .uniform_work_group_size: 1
    .uses_dynamic_stack: false
    .vgpr_count:     69
    .vgpr_spill_count: 0
    .wavefront_size: 32
  - .args:
      - .address_space:  global
        .offset:         0
        .size:           8
        .value_kind:     global_buffer
      - .address_space:  global
        .offset:         8
        .size:           8
        .value_kind:     global_buffer
      - .offset:         16
        .size:           4
        .value_kind:     by_value
      - .offset:         20
        .size:           4
        .value_kind:     by_value
      - .offset:         24
        .size:           4
        .value_kind:     by_value
      - .offset:         28
        .size:           4
        .value_kind:     by_value
      - .offset:         32
        .size:           4
        .value_kind:     by_value
      - .offset:         36
        .size:           4
        .value_kind:     by_value
      - .offset:         40
        .size:           12
        .value_kind:     by_value
      - .offset:         52
        .size:           12
        .value_kind:     by_value
      - .offset:         64
        .size:           12
        .value_kind:     by_value
    .group_segment_fixed_size: 0
    .kernarg_segment_align: 8
    .kernarg_segment_size: 76
    .language:       OpenCL C
    .language_version:
      - 2
      - 0
    .max_flat_workgroup_size: 72
    .name:           _ZL33flash_attn_stream_k_fixup_uniformILi72ELi4ELi1EEvPfPK15HIP_vector_typeIfLj2EEiiiiiiS1_IjLj3EES5_S5_
    .private_segment_fixed_size: 0
    .sgpr_count:     23
    .sgpr_spill_count: 0
    .symbol:         _ZL33flash_attn_stream_k_fixup_uniformILi72ELi4ELi1EEvPfPK15HIP_vector_typeIfLj2EEiiiiiiS1_IjLj3EES5_S5_.kd
    .uniform_work_group_size: 1
    .uses_dynamic_stack: false
    .vgpr_count:     12
    .vgpr_spill_count: 0
    .wavefront_size: 32
  - .args:
      - .address_space:  global
        .offset:         0
        .size:           8
        .value_kind:     global_buffer
      - .address_space:  global
        .offset:         8
        .size:           8
        .value_kind:     global_buffer
      - .offset:         16
        .size:           4
        .value_kind:     by_value
      - .offset:         20
        .size:           4
        .value_kind:     by_value
      - .offset:         24
        .size:           4
        .value_kind:     by_value
      - .offset:         28
        .size:           4
        .value_kind:     by_value
      - .offset:         32
        .size:           12
        .value_kind:     by_value
      - .offset:         44
        .size:           12
        .value_kind:     by_value
      - .offset:         56
        .size:           12
        .value_kind:     by_value
      - .offset:         68
        .size:           12
        .value_kind:     by_value
      - .offset:         80
        .size:           4
        .value_kind:     hidden_block_count_x
      - .offset:         84
        .size:           4
        .value_kind:     hidden_block_count_y
      - .offset:         88
        .size:           4
        .value_kind:     hidden_block_count_z
      - .offset:         92
        .size:           2
        .value_kind:     hidden_group_size_x
      - .offset:         94
        .size:           2
        .value_kind:     hidden_group_size_y
      - .offset:         96
        .size:           2
        .value_kind:     hidden_group_size_z
      - .offset:         98
        .size:           2
        .value_kind:     hidden_remainder_x
      - .offset:         100
        .size:           2
        .value_kind:     hidden_remainder_y
      - .offset:         102
        .size:           2
        .value_kind:     hidden_remainder_z
      - .offset:         120
        .size:           8
        .value_kind:     hidden_global_offset_x
      - .offset:         128
        .size:           8
        .value_kind:     hidden_global_offset_y
      - .offset:         136
        .size:           8
        .value_kind:     hidden_global_offset_z
      - .offset:         144
        .size:           2
        .value_kind:     hidden_grid_dims
    .group_segment_fixed_size: 0
    .kernarg_segment_align: 8
    .kernarg_segment_size: 336
    .language:       OpenCL C
    .language_version:
      - 2
      - 0
    .max_flat_workgroup_size: 72
    .name:           _ZL33flash_attn_stream_k_fixup_generalILi72ELi4ELi1EEvPfPK15HIP_vector_typeIfLj2EEiiiiS1_IjLj3EES5_S5_S5_
    .private_segment_fixed_size: 0
    .sgpr_count:     48
    .sgpr_spill_count: 0
    .symbol:         _ZL33flash_attn_stream_k_fixup_generalILi72ELi4ELi1EEvPfPK15HIP_vector_typeIfLj2EEiiiiS1_IjLj3EES5_S5_S5_.kd
    .uniform_work_group_size: 1
    .uses_dynamic_stack: false
    .vgpr_count:     12
    .vgpr_spill_count: 0
    .wavefront_size: 32
  - .args:
      - .address_space:  global
        .offset:         0
        .size:           8
        .value_kind:     global_buffer
      - .address_space:  global
        .offset:         8
        .size:           8
        .value_kind:     global_buffer
      - .address_space:  global
        .offset:         16
        .size:           8
        .value_kind:     global_buffer
      - .address_space:  global
        .offset:         24
        .size:           8
        .value_kind:     global_buffer
      - .address_space:  global
        .offset:         32
        .size:           8
        .value_kind:     global_buffer
      - .address_space:  global
        .offset:         40
        .size:           8
        .value_kind:     global_buffer
      - .address_space:  global
        .offset:         48
        .size:           8
        .value_kind:     global_buffer
      - .address_space:  global
        .offset:         56
        .size:           8
        .value_kind:     global_buffer
      - .offset:         64
        .size:           4
        .value_kind:     by_value
      - .offset:         68
        .size:           4
        .value_kind:     by_value
      - .offset:         72
        .size:           4
        .value_kind:     by_value
      - .offset:         76
        .size:           4
        .value_kind:     by_value
      - .offset:         80
        .size:           4
        .value_kind:     by_value
      - .offset:         84
        .size:           4
        .value_kind:     by_value
      - .offset:         88
        .size:           4
        .value_kind:     by_value
      - .offset:         92
        .size:           12
        .value_kind:     by_value
      - .offset:         104
        .size:           4
        .value_kind:     by_value
      - .offset:         108
        .size:           4
        .value_kind:     by_value
      - .offset:         112
        .size:           4
        .value_kind:     by_value
      - .offset:         116
        .size:           4
        .value_kind:     by_value
      - .offset:         120
        .size:           4
        .value_kind:     by_value
      - .offset:         124
        .size:           4
        .value_kind:     by_value
      - .offset:         128
        .size:           4
        .value_kind:     by_value
      - .offset:         132
        .size:           4
        .value_kind:     by_value
      - .offset:         136
        .size:           4
        .value_kind:     by_value
      - .offset:         140
        .size:           4
        .value_kind:     by_value
      - .offset:         144
        .size:           4
        .value_kind:     by_value
      - .offset:         152
        .size:           8
        .value_kind:     by_value
      - .offset:         160
        .size:           4
        .value_kind:     by_value
      - .offset:         164
        .size:           4
        .value_kind:     by_value
      - .offset:         168
        .size:           8
        .value_kind:     by_value
      - .offset:         176
        .size:           4
        .value_kind:     by_value
      - .offset:         180
        .size:           4
        .value_kind:     by_value
      - .offset:         184
        .size:           4
        .value_kind:     by_value
      - .offset:         188
        .size:           4
        .value_kind:     by_value
      - .offset:         192
        .size:           4
        .value_kind:     by_value
      - .offset:         200
        .size:           8
        .value_kind:     by_value
      - .offset:         208
        .size:           4
        .value_kind:     hidden_block_count_x
      - .offset:         212
        .size:           4
        .value_kind:     hidden_block_count_y
      - .offset:         216
        .size:           4
        .value_kind:     hidden_block_count_z
      - .offset:         220
        .size:           2
        .value_kind:     hidden_group_size_x
      - .offset:         222
        .size:           2
        .value_kind:     hidden_group_size_y
      - .offset:         224
        .size:           2
        .value_kind:     hidden_group_size_z
      - .offset:         226
        .size:           2
        .value_kind:     hidden_remainder_x
      - .offset:         228
        .size:           2
        .value_kind:     hidden_remainder_y
      - .offset:         230
        .size:           2
        .value_kind:     hidden_remainder_z
      - .offset:         248
        .size:           8
        .value_kind:     hidden_global_offset_x
      - .offset:         256
        .size:           8
        .value_kind:     hidden_global_offset_y
      - .offset:         264
        .size:           8
        .value_kind:     hidden_global_offset_z
      - .offset:         272
        .size:           2
        .value_kind:     hidden_grid_dims
    .group_segment_fixed_size: 5760
    .kernarg_segment_align: 8
    .kernarg_segment_size: 464
    .language:       OpenCL C
    .language_version:
      - 2
      - 0
    .max_flat_workgroup_size: 64
    .name:           _ZL15flash_attn_tileILi72ELi72ELi2ELi1ELb0EEvPKcS1_S1_S1_S1_PKiPfP15HIP_vector_typeIfLj2EEffffjfiS5_IjLj3EEiiiiiiiiiiiliiliiiiil
    .private_segment_fixed_size: 32
    .sgpr_count:     48
    .sgpr_spill_count: 0
    .symbol:         _ZL15flash_attn_tileILi72ELi72ELi2ELi1ELb0EEvPKcS1_S1_S1_S1_PKiPfP15HIP_vector_typeIfLj2EEffffjfiS5_IjLj3EEiiiiiiiiiiiliiliiiiil.kd
    .uniform_work_group_size: 1
    .uses_dynamic_stack: false
    .vgpr_count:     80
    .vgpr_spill_count: 0
    .wavefront_size: 32
  - .args:
      - .address_space:  global
        .offset:         0
        .size:           8
        .value_kind:     global_buffer
      - .address_space:  global
        .offset:         8
        .size:           8
        .value_kind:     global_buffer
      - .offset:         16
        .size:           4
        .value_kind:     by_value
      - .offset:         20
        .size:           4
        .value_kind:     by_value
      - .offset:         24
        .size:           4
        .value_kind:     by_value
      - .offset:         28
        .size:           4
        .value_kind:     by_value
      - .offset:         32
        .size:           4
        .value_kind:     by_value
      - .offset:         36
        .size:           4
        .value_kind:     by_value
      - .offset:         40
        .size:           12
        .value_kind:     by_value
      - .offset:         52
        .size:           12
        .value_kind:     by_value
      - .offset:         64
        .size:           12
        .value_kind:     by_value
    .group_segment_fixed_size: 0
    .kernarg_segment_align: 8
    .kernarg_segment_size: 76
    .language:       OpenCL C
    .language_version:
      - 2
      - 0
    .max_flat_workgroup_size: 72
    .name:           _ZL33flash_attn_stream_k_fixup_uniformILi72ELi2ELi1EEvPfPK15HIP_vector_typeIfLj2EEiiiiiiS1_IjLj3EES5_S5_
    .private_segment_fixed_size: 0
    .sgpr_count:     23
    .sgpr_spill_count: 0
    .symbol:         _ZL33flash_attn_stream_k_fixup_uniformILi72ELi2ELi1EEvPfPK15HIP_vector_typeIfLj2EEiiiiiiS1_IjLj3EES5_S5_.kd
    .uniform_work_group_size: 1
    .uses_dynamic_stack: false
    .vgpr_count:     12
    .vgpr_spill_count: 0
    .wavefront_size: 32
  - .args:
      - .address_space:  global
        .offset:         0
        .size:           8
        .value_kind:     global_buffer
      - .address_space:  global
        .offset:         8
        .size:           8
        .value_kind:     global_buffer
      - .offset:         16
        .size:           4
        .value_kind:     by_value
      - .offset:         20
        .size:           4
        .value_kind:     by_value
      - .offset:         24
        .size:           4
        .value_kind:     by_value
      - .offset:         28
        .size:           4
        .value_kind:     by_value
      - .offset:         32
        .size:           12
        .value_kind:     by_value
      - .offset:         44
        .size:           12
        .value_kind:     by_value
      - .offset:         56
        .size:           12
        .value_kind:     by_value
      - .offset:         68
        .size:           12
        .value_kind:     by_value
      - .offset:         80
        .size:           4
        .value_kind:     hidden_block_count_x
      - .offset:         84
        .size:           4
        .value_kind:     hidden_block_count_y
      - .offset:         88
        .size:           4
        .value_kind:     hidden_block_count_z
      - .offset:         92
        .size:           2
        .value_kind:     hidden_group_size_x
      - .offset:         94
        .size:           2
        .value_kind:     hidden_group_size_y
      - .offset:         96
        .size:           2
        .value_kind:     hidden_group_size_z
      - .offset:         98
        .size:           2
        .value_kind:     hidden_remainder_x
      - .offset:         100
        .size:           2
        .value_kind:     hidden_remainder_y
      - .offset:         102
        .size:           2
        .value_kind:     hidden_remainder_z
      - .offset:         120
        .size:           8
        .value_kind:     hidden_global_offset_x
      - .offset:         128
        .size:           8
        .value_kind:     hidden_global_offset_y
      - .offset:         136
        .size:           8
        .value_kind:     hidden_global_offset_z
      - .offset:         144
        .size:           2
        .value_kind:     hidden_grid_dims
    .group_segment_fixed_size: 0
    .kernarg_segment_align: 8
    .kernarg_segment_size: 336
    .language:       OpenCL C
    .language_version:
      - 2
      - 0
    .max_flat_workgroup_size: 72
    .name:           _ZL33flash_attn_stream_k_fixup_generalILi72ELi2ELi1EEvPfPK15HIP_vector_typeIfLj2EEiiiiS1_IjLj3EES5_S5_S5_
    .private_segment_fixed_size: 0
    .sgpr_count:     48
    .sgpr_spill_count: 0
    .symbol:         _ZL33flash_attn_stream_k_fixup_generalILi72ELi2ELi1EEvPfPK15HIP_vector_typeIfLj2EEiiiiS1_IjLj3EES5_S5_S5_.kd
    .uniform_work_group_size: 1
    .uses_dynamic_stack: false
    .vgpr_count:     12
    .vgpr_spill_count: 0
    .wavefront_size: 32
  - .args:
      - .address_space:  global
        .offset:         0
        .size:           8
        .value_kind:     global_buffer
      - .address_space:  global
        .offset:         8
        .size:           8
        .value_kind:     global_buffer
      - .address_space:  global
        .offset:         16
        .size:           8
        .value_kind:     global_buffer
      - .address_space:  global
        .offset:         24
        .size:           8
        .value_kind:     global_buffer
      - .address_space:  global
        .offset:         32
        .size:           8
        .value_kind:     global_buffer
      - .address_space:  global
        .offset:         40
        .size:           8
        .value_kind:     global_buffer
      - .address_space:  global
        .offset:         48
        .size:           8
        .value_kind:     global_buffer
      - .address_space:  global
        .offset:         56
        .size:           8
        .value_kind:     global_buffer
      - .offset:         64
        .size:           4
        .value_kind:     by_value
      - .offset:         68
        .size:           4
        .value_kind:     by_value
      - .offset:         72
        .size:           4
        .value_kind:     by_value
      - .offset:         76
        .size:           4
        .value_kind:     by_value
      - .offset:         80
        .size:           4
        .value_kind:     by_value
      - .offset:         84
        .size:           4
        .value_kind:     by_value
      - .offset:         88
        .size:           4
        .value_kind:     by_value
      - .offset:         92
        .size:           12
        .value_kind:     by_value
      - .offset:         104
        .size:           4
        .value_kind:     by_value
      - .offset:         108
        .size:           4
        .value_kind:     by_value
      - .offset:         112
        .size:           4
        .value_kind:     by_value
      - .offset:         116
        .size:           4
        .value_kind:     by_value
      - .offset:         120
        .size:           4
        .value_kind:     by_value
      - .offset:         124
        .size:           4
        .value_kind:     by_value
      - .offset:         128
        .size:           4
        .value_kind:     by_value
      - .offset:         132
        .size:           4
        .value_kind:     by_value
      - .offset:         136
        .size:           4
        .value_kind:     by_value
      - .offset:         140
        .size:           4
        .value_kind:     by_value
      - .offset:         144
        .size:           4
        .value_kind:     by_value
      - .offset:         152
        .size:           8
        .value_kind:     by_value
      - .offset:         160
        .size:           4
        .value_kind:     by_value
      - .offset:         164
        .size:           4
        .value_kind:     by_value
      - .offset:         168
        .size:           8
        .value_kind:     by_value
      - .offset:         176
        .size:           4
        .value_kind:     by_value
      - .offset:         180
        .size:           4
        .value_kind:     by_value
      - .offset:         184
        .size:           4
        .value_kind:     by_value
      - .offset:         188
        .size:           4
        .value_kind:     by_value
      - .offset:         192
        .size:           4
        .value_kind:     by_value
      - .offset:         200
        .size:           8
        .value_kind:     by_value
      - .offset:         208
        .size:           4
        .value_kind:     hidden_block_count_x
      - .offset:         212
        .size:           4
        .value_kind:     hidden_block_count_y
      - .offset:         216
        .size:           4
        .value_kind:     hidden_block_count_z
      - .offset:         220
        .size:           2
        .value_kind:     hidden_group_size_x
      - .offset:         222
        .size:           2
        .value_kind:     hidden_group_size_y
      - .offset:         224
        .size:           2
        .value_kind:     hidden_group_size_z
      - .offset:         226
        .size:           2
        .value_kind:     hidden_remainder_x
      - .offset:         228
        .size:           2
        .value_kind:     hidden_remainder_y
      - .offset:         230
        .size:           2
        .value_kind:     hidden_remainder_z
      - .offset:         248
        .size:           8
        .value_kind:     hidden_global_offset_x
      - .offset:         256
        .size:           8
        .value_kind:     hidden_global_offset_y
      - .offset:         264
        .size:           8
        .value_kind:     hidden_global_offset_z
      - .offset:         272
        .size:           2
        .value_kind:     hidden_grid_dims
      - .offset:         288
        .size:           8
        .value_kind:     hidden_hostcall_buffer
    .group_segment_fixed_size: 0
    .kernarg_segment_align: 8
    .kernarg_segment_size: 464
    .language:       OpenCL C
    .language_version:
      - 2
      - 0
    .max_flat_workgroup_size: 256
    .name:           _ZL15flash_attn_tileILi72ELi72ELi8ELi8ELb1EEvPKcS1_S1_S1_S1_PKiPfP15HIP_vector_typeIfLj2EEffffjfiS5_IjLj3EEiiiiiiiiiiiliiliiiiil
    .private_segment_fixed_size: 16
    .sgpr_count:     36
    .sgpr_spill_count: 0
    .symbol:         _ZL15flash_attn_tileILi72ELi72ELi8ELi8ELb1EEvPKcS1_S1_S1_S1_PKiPfP15HIP_vector_typeIfLj2EEffffjfiS5_IjLj3EEiiiiiiiiiiiliiliiiiil.kd
    .uniform_work_group_size: 1
    .uses_dynamic_stack: false
    .vgpr_count:     50
    .vgpr_spill_count: 0
    .wavefront_size: 32
  - .args:
      - .address_space:  global
        .offset:         0
        .size:           8
        .value_kind:     global_buffer
      - .address_space:  global
        .offset:         8
        .size:           8
        .value_kind:     global_buffer
      - .address_space:  global
        .offset:         16
        .size:           8
        .value_kind:     global_buffer
      - .address_space:  global
        .offset:         24
        .size:           8
        .value_kind:     global_buffer
      - .address_space:  global
        .offset:         32
        .size:           8
        .value_kind:     global_buffer
      - .address_space:  global
        .offset:         40
        .size:           8
        .value_kind:     global_buffer
      - .address_space:  global
        .offset:         48
        .size:           8
        .value_kind:     global_buffer
      - .address_space:  global
        .offset:         56
        .size:           8
        .value_kind:     global_buffer
      - .offset:         64
        .size:           4
        .value_kind:     by_value
      - .offset:         68
        .size:           4
        .value_kind:     by_value
      - .offset:         72
        .size:           4
        .value_kind:     by_value
      - .offset:         76
        .size:           4
        .value_kind:     by_value
      - .offset:         80
        .size:           4
        .value_kind:     by_value
      - .offset:         84
        .size:           4
        .value_kind:     by_value
      - .offset:         88
        .size:           4
        .value_kind:     by_value
      - .offset:         92
        .size:           12
        .value_kind:     by_value
      - .offset:         104
        .size:           4
        .value_kind:     by_value
      - .offset:         108
        .size:           4
        .value_kind:     by_value
      - .offset:         112
        .size:           4
        .value_kind:     by_value
      - .offset:         116
        .size:           4
        .value_kind:     by_value
      - .offset:         120
        .size:           4
        .value_kind:     by_value
      - .offset:         124
        .size:           4
        .value_kind:     by_value
      - .offset:         128
        .size:           4
        .value_kind:     by_value
      - .offset:         132
        .size:           4
        .value_kind:     by_value
      - .offset:         136
        .size:           4
        .value_kind:     by_value
      - .offset:         140
        .size:           4
        .value_kind:     by_value
      - .offset:         144
        .size:           4
        .value_kind:     by_value
      - .offset:         152
        .size:           8
        .value_kind:     by_value
      - .offset:         160
        .size:           4
        .value_kind:     by_value
      - .offset:         164
        .size:           4
        .value_kind:     by_value
      - .offset:         168
        .size:           8
        .value_kind:     by_value
      - .offset:         176
        .size:           4
        .value_kind:     by_value
      - .offset:         180
        .size:           4
        .value_kind:     by_value
      - .offset:         184
        .size:           4
        .value_kind:     by_value
      - .offset:         188
        .size:           4
        .value_kind:     by_value
      - .offset:         192
        .size:           4
        .value_kind:     by_value
      - .offset:         200
        .size:           8
        .value_kind:     by_value
      - .offset:         208
        .size:           4
        .value_kind:     hidden_block_count_x
      - .offset:         212
        .size:           4
        .value_kind:     hidden_block_count_y
      - .offset:         216
        .size:           4
        .value_kind:     hidden_block_count_z
      - .offset:         220
        .size:           2
        .value_kind:     hidden_group_size_x
      - .offset:         222
        .size:           2
        .value_kind:     hidden_group_size_y
      - .offset:         224
        .size:           2
        .value_kind:     hidden_group_size_z
      - .offset:         226
        .size:           2
        .value_kind:     hidden_remainder_x
      - .offset:         228
        .size:           2
        .value_kind:     hidden_remainder_y
      - .offset:         230
        .size:           2
        .value_kind:     hidden_remainder_z
      - .offset:         248
        .size:           8
        .value_kind:     hidden_global_offset_x
      - .offset:         256
        .size:           8
        .value_kind:     hidden_global_offset_y
      - .offset:         264
        .size:           8
        .value_kind:     hidden_global_offset_z
      - .offset:         272
        .size:           2
        .value_kind:     hidden_grid_dims
      - .offset:         288
        .size:           8
        .value_kind:     hidden_hostcall_buffer
    .group_segment_fixed_size: 0
    .kernarg_segment_align: 8
    .kernarg_segment_size: 464
    .language:       OpenCL C
    .language_version:
      - 2
      - 0
    .max_flat_workgroup_size: 256
    .name:           _ZL15flash_attn_tileILi72ELi72ELi4ELi8ELb1EEvPKcS1_S1_S1_S1_PKiPfP15HIP_vector_typeIfLj2EEffffjfiS5_IjLj3EEiiiiiiiiiiiliiliiiiil
    .private_segment_fixed_size: 16
    .sgpr_count:     36
    .sgpr_spill_count: 0
    .symbol:         _ZL15flash_attn_tileILi72ELi72ELi4ELi8ELb1EEvPKcS1_S1_S1_S1_PKiPfP15HIP_vector_typeIfLj2EEffffjfiS5_IjLj3EEiiiiiiiiiiiliiliiiiil.kd
    .uniform_work_group_size: 1
    .uses_dynamic_stack: false
    .vgpr_count:     50
    .vgpr_spill_count: 0
    .wavefront_size: 32
  - .args:
      - .address_space:  global
        .offset:         0
        .size:           8
        .value_kind:     global_buffer
      - .address_space:  global
        .offset:         8
        .size:           8
        .value_kind:     global_buffer
      - .address_space:  global
        .offset:         16
        .size:           8
        .value_kind:     global_buffer
      - .address_space:  global
        .offset:         24
        .size:           8
        .value_kind:     global_buffer
      - .address_space:  global
        .offset:         32
        .size:           8
        .value_kind:     global_buffer
      - .address_space:  global
        .offset:         40
        .size:           8
        .value_kind:     global_buffer
      - .address_space:  global
        .offset:         48
        .size:           8
        .value_kind:     global_buffer
      - .address_space:  global
        .offset:         56
        .size:           8
        .value_kind:     global_buffer
      - .offset:         64
        .size:           4
        .value_kind:     by_value
      - .offset:         68
        .size:           4
        .value_kind:     by_value
      - .offset:         72
        .size:           4
        .value_kind:     by_value
      - .offset:         76
        .size:           4
        .value_kind:     by_value
      - .offset:         80
        .size:           4
        .value_kind:     by_value
      - .offset:         84
        .size:           4
        .value_kind:     by_value
      - .offset:         88
        .size:           4
        .value_kind:     by_value
      - .offset:         92
        .size:           12
        .value_kind:     by_value
      - .offset:         104
        .size:           4
        .value_kind:     by_value
      - .offset:         108
        .size:           4
        .value_kind:     by_value
      - .offset:         112
        .size:           4
        .value_kind:     by_value
      - .offset:         116
        .size:           4
        .value_kind:     by_value
      - .offset:         120
        .size:           4
        .value_kind:     by_value
      - .offset:         124
        .size:           4
        .value_kind:     by_value
      - .offset:         128
        .size:           4
        .value_kind:     by_value
      - .offset:         132
        .size:           4
        .value_kind:     by_value
      - .offset:         136
        .size:           4
        .value_kind:     by_value
      - .offset:         140
        .size:           4
        .value_kind:     by_value
      - .offset:         144
        .size:           4
        .value_kind:     by_value
      - .offset:         152
        .size:           8
        .value_kind:     by_value
      - .offset:         160
        .size:           4
        .value_kind:     by_value
      - .offset:         164
        .size:           4
        .value_kind:     by_value
      - .offset:         168
        .size:           8
        .value_kind:     by_value
      - .offset:         176
        .size:           4
        .value_kind:     by_value
      - .offset:         180
        .size:           4
        .value_kind:     by_value
      - .offset:         184
        .size:           4
        .value_kind:     by_value
      - .offset:         188
        .size:           4
        .value_kind:     by_value
      - .offset:         192
        .size:           4
        .value_kind:     by_value
      - .offset:         200
        .size:           8
        .value_kind:     by_value
      - .offset:         208
        .size:           4
        .value_kind:     hidden_block_count_x
      - .offset:         212
        .size:           4
        .value_kind:     hidden_block_count_y
      - .offset:         216
        .size:           4
        .value_kind:     hidden_block_count_z
      - .offset:         220
        .size:           2
        .value_kind:     hidden_group_size_x
      - .offset:         222
        .size:           2
        .value_kind:     hidden_group_size_y
      - .offset:         224
        .size:           2
        .value_kind:     hidden_group_size_z
      - .offset:         226
        .size:           2
        .value_kind:     hidden_remainder_x
      - .offset:         228
        .size:           2
        .value_kind:     hidden_remainder_y
      - .offset:         230
        .size:           2
        .value_kind:     hidden_remainder_z
      - .offset:         248
        .size:           8
        .value_kind:     hidden_global_offset_x
      - .offset:         256
        .size:           8
        .value_kind:     hidden_global_offset_y
      - .offset:         264
        .size:           8
        .value_kind:     hidden_global_offset_z
      - .offset:         272
        .size:           2
        .value_kind:     hidden_grid_dims
      - .offset:         288
        .size:           8
        .value_kind:     hidden_hostcall_buffer
    .group_segment_fixed_size: 0
    .kernarg_segment_align: 8
    .kernarg_segment_size: 464
    .language:       OpenCL C
    .language_version:
      - 2
      - 0
    .max_flat_workgroup_size: 256
    .name:           _ZL15flash_attn_tileILi72ELi72ELi2ELi8ELb1EEvPKcS1_S1_S1_S1_PKiPfP15HIP_vector_typeIfLj2EEffffjfiS5_IjLj3EEiiiiiiiiiiiliiliiiiil
    .private_segment_fixed_size: 16
    .sgpr_count:     36
    .sgpr_spill_count: 0
    .symbol:         _ZL15flash_attn_tileILi72ELi72ELi2ELi8ELb1EEvPKcS1_S1_S1_S1_PKiPfP15HIP_vector_typeIfLj2EEffffjfiS5_IjLj3EEiiiiiiiiiiiliiliiiiil.kd
    .uniform_work_group_size: 1
    .uses_dynamic_stack: false
    .vgpr_count:     50
    .vgpr_spill_count: 0
    .wavefront_size: 32
  - .args:
      - .address_space:  global
        .offset:         0
        .size:           8
        .value_kind:     global_buffer
      - .address_space:  global
        .offset:         8
        .size:           8
        .value_kind:     global_buffer
      - .address_space:  global
        .offset:         16
        .size:           8
        .value_kind:     global_buffer
      - .address_space:  global
        .offset:         24
        .size:           8
        .value_kind:     global_buffer
      - .address_space:  global
        .offset:         32
        .size:           8
        .value_kind:     global_buffer
      - .address_space:  global
        .offset:         40
        .size:           8
        .value_kind:     global_buffer
      - .address_space:  global
        .offset:         48
        .size:           8
        .value_kind:     global_buffer
      - .address_space:  global
        .offset:         56
        .size:           8
        .value_kind:     global_buffer
      - .offset:         64
        .size:           4
        .value_kind:     by_value
      - .offset:         68
        .size:           4
        .value_kind:     by_value
      - .offset:         72
        .size:           4
        .value_kind:     by_value
      - .offset:         76
        .size:           4
        .value_kind:     by_value
      - .offset:         80
        .size:           4
        .value_kind:     by_value
      - .offset:         84
        .size:           4
        .value_kind:     by_value
      - .offset:         88
        .size:           4
        .value_kind:     by_value
      - .offset:         92
        .size:           12
        .value_kind:     by_value
      - .offset:         104
        .size:           4
        .value_kind:     by_value
      - .offset:         108
        .size:           4
        .value_kind:     by_value
      - .offset:         112
        .size:           4
        .value_kind:     by_value
      - .offset:         116
        .size:           4
        .value_kind:     by_value
      - .offset:         120
        .size:           4
        .value_kind:     by_value
      - .offset:         124
        .size:           4
        .value_kind:     by_value
      - .offset:         128
        .size:           4
        .value_kind:     by_value
      - .offset:         132
        .size:           4
        .value_kind:     by_value
      - .offset:         136
        .size:           4
        .value_kind:     by_value
      - .offset:         140
        .size:           4
        .value_kind:     by_value
      - .offset:         144
        .size:           4
        .value_kind:     by_value
      - .offset:         152
        .size:           8
        .value_kind:     by_value
      - .offset:         160
        .size:           4
        .value_kind:     by_value
      - .offset:         164
        .size:           4
        .value_kind:     by_value
      - .offset:         168
        .size:           8
        .value_kind:     by_value
      - .offset:         176
        .size:           4
        .value_kind:     by_value
      - .offset:         180
        .size:           4
        .value_kind:     by_value
      - .offset:         184
        .size:           4
        .value_kind:     by_value
      - .offset:         188
        .size:           4
        .value_kind:     by_value
      - .offset:         192
        .size:           4
        .value_kind:     by_value
      - .offset:         200
        .size:           8
        .value_kind:     by_value
      - .offset:         208
        .size:           4
        .value_kind:     hidden_block_count_x
      - .offset:         212
        .size:           4
        .value_kind:     hidden_block_count_y
      - .offset:         216
        .size:           4
        .value_kind:     hidden_block_count_z
      - .offset:         220
        .size:           2
        .value_kind:     hidden_group_size_x
      - .offset:         222
        .size:           2
        .value_kind:     hidden_group_size_y
      - .offset:         224
        .size:           2
        .value_kind:     hidden_group_size_z
      - .offset:         226
        .size:           2
        .value_kind:     hidden_remainder_x
      - .offset:         228
        .size:           2
        .value_kind:     hidden_remainder_y
      - .offset:         230
        .size:           2
        .value_kind:     hidden_remainder_z
      - .offset:         248
        .size:           8
        .value_kind:     hidden_global_offset_x
      - .offset:         256
        .size:           8
        .value_kind:     hidden_global_offset_y
      - .offset:         264
        .size:           8
        .value_kind:     hidden_global_offset_z
      - .offset:         272
        .size:           2
        .value_kind:     hidden_grid_dims
      - .offset:         288
        .size:           8
        .value_kind:     hidden_hostcall_buffer
    .group_segment_fixed_size: 0
    .kernarg_segment_align: 8
    .kernarg_segment_size: 464
    .language:       OpenCL C
    .language_version:
      - 2
      - 0
    .max_flat_workgroup_size: 256
    .name:           _ZL15flash_attn_tileILi72ELi72ELi1ELi8ELb1EEvPKcS1_S1_S1_S1_PKiPfP15HIP_vector_typeIfLj2EEffffjfiS5_IjLj3EEiiiiiiiiiiiliiliiiiil
    .private_segment_fixed_size: 16
    .sgpr_count:     36
    .sgpr_spill_count: 0
    .symbol:         _ZL15flash_attn_tileILi72ELi72ELi1ELi8ELb1EEvPKcS1_S1_S1_S1_PKiPfP15HIP_vector_typeIfLj2EEffffjfiS5_IjLj3EEiiiiiiiiiiiliiliiiiil.kd
    .uniform_work_group_size: 1
    .uses_dynamic_stack: false
    .vgpr_count:     50
    .vgpr_spill_count: 0
    .wavefront_size: 32
  - .args:
      - .address_space:  global
        .offset:         0
        .size:           8
        .value_kind:     global_buffer
      - .address_space:  global
        .offset:         8
        .size:           8
        .value_kind:     global_buffer
      - .address_space:  global
        .offset:         16
        .size:           8
        .value_kind:     global_buffer
      - .address_space:  global
        .offset:         24
        .size:           8
        .value_kind:     global_buffer
      - .address_space:  global
        .offset:         32
        .size:           8
        .value_kind:     global_buffer
      - .address_space:  global
        .offset:         40
        .size:           8
        .value_kind:     global_buffer
      - .address_space:  global
        .offset:         48
        .size:           8
        .value_kind:     global_buffer
      - .address_space:  global
        .offset:         56
        .size:           8
        .value_kind:     global_buffer
      - .offset:         64
        .size:           4
        .value_kind:     by_value
      - .offset:         68
        .size:           4
        .value_kind:     by_value
      - .offset:         72
        .size:           4
        .value_kind:     by_value
      - .offset:         76
        .size:           4
        .value_kind:     by_value
      - .offset:         80
        .size:           4
        .value_kind:     by_value
      - .offset:         84
        .size:           4
        .value_kind:     by_value
      - .offset:         88
        .size:           4
        .value_kind:     by_value
      - .offset:         92
        .size:           12
        .value_kind:     by_value
      - .offset:         104
        .size:           4
        .value_kind:     by_value
      - .offset:         108
        .size:           4
        .value_kind:     by_value
      - .offset:         112
        .size:           4
        .value_kind:     by_value
      - .offset:         116
        .size:           4
        .value_kind:     by_value
      - .offset:         120
        .size:           4
        .value_kind:     by_value
      - .offset:         124
        .size:           4
        .value_kind:     by_value
      - .offset:         128
        .size:           4
        .value_kind:     by_value
      - .offset:         132
        .size:           4
        .value_kind:     by_value
      - .offset:         136
        .size:           4
        .value_kind:     by_value
      - .offset:         140
        .size:           4
        .value_kind:     by_value
      - .offset:         144
        .size:           4
        .value_kind:     by_value
      - .offset:         152
        .size:           8
        .value_kind:     by_value
      - .offset:         160
        .size:           4
        .value_kind:     by_value
      - .offset:         164
        .size:           4
        .value_kind:     by_value
      - .offset:         168
        .size:           8
        .value_kind:     by_value
      - .offset:         176
        .size:           4
        .value_kind:     by_value
      - .offset:         180
        .size:           4
        .value_kind:     by_value
      - .offset:         184
        .size:           4
        .value_kind:     by_value
      - .offset:         188
        .size:           4
        .value_kind:     by_value
      - .offset:         192
        .size:           4
        .value_kind:     by_value
      - .offset:         200
        .size:           8
        .value_kind:     by_value
      - .offset:         208
        .size:           4
        .value_kind:     hidden_block_count_x
      - .offset:         212
        .size:           4
        .value_kind:     hidden_block_count_y
      - .offset:         216
        .size:           4
        .value_kind:     hidden_block_count_z
      - .offset:         220
        .size:           2
        .value_kind:     hidden_group_size_x
      - .offset:         222
        .size:           2
        .value_kind:     hidden_group_size_y
      - .offset:         224
        .size:           2
        .value_kind:     hidden_group_size_z
      - .offset:         226
        .size:           2
        .value_kind:     hidden_remainder_x
      - .offset:         228
        .size:           2
        .value_kind:     hidden_remainder_y
      - .offset:         230
        .size:           2
        .value_kind:     hidden_remainder_z
      - .offset:         248
        .size:           8
        .value_kind:     hidden_global_offset_x
      - .offset:         256
        .size:           8
        .value_kind:     hidden_global_offset_y
      - .offset:         264
        .size:           8
        .value_kind:     hidden_global_offset_z
      - .offset:         272
        .size:           2
        .value_kind:     hidden_grid_dims
      - .offset:         288
        .size:           8
        .value_kind:     hidden_hostcall_buffer
    .group_segment_fixed_size: 0
    .kernarg_segment_align: 8
    .kernarg_segment_size: 464
    .language:       OpenCL C
    .language_version:
      - 2
      - 0
    .max_flat_workgroup_size: 256
    .name:           _ZL15flash_attn_tileILi72ELi72ELi16ELi4ELb1EEvPKcS1_S1_S1_S1_PKiPfP15HIP_vector_typeIfLj2EEffffjfiS5_IjLj3EEiiiiiiiiiiiliiliiiiil
    .private_segment_fixed_size: 16
    .sgpr_count:     36
    .sgpr_spill_count: 0
    .symbol:         _ZL15flash_attn_tileILi72ELi72ELi16ELi4ELb1EEvPKcS1_S1_S1_S1_PKiPfP15HIP_vector_typeIfLj2EEffffjfiS5_IjLj3EEiiiiiiiiiiiliiliiiiil.kd
    .uniform_work_group_size: 1
    .uses_dynamic_stack: false
    .vgpr_count:     50
    .vgpr_spill_count: 0
    .wavefront_size: 32
  - .args:
      - .address_space:  global
        .offset:         0
        .size:           8
        .value_kind:     global_buffer
      - .address_space:  global
        .offset:         8
        .size:           8
        .value_kind:     global_buffer
      - .address_space:  global
        .offset:         16
        .size:           8
        .value_kind:     global_buffer
      - .address_space:  global
        .offset:         24
        .size:           8
        .value_kind:     global_buffer
      - .address_space:  global
        .offset:         32
        .size:           8
        .value_kind:     global_buffer
      - .address_space:  global
        .offset:         40
        .size:           8
        .value_kind:     global_buffer
      - .address_space:  global
        .offset:         48
        .size:           8
        .value_kind:     global_buffer
      - .address_space:  global
        .offset:         56
        .size:           8
        .value_kind:     global_buffer
      - .offset:         64
        .size:           4
        .value_kind:     by_value
      - .offset:         68
        .size:           4
        .value_kind:     by_value
      - .offset:         72
        .size:           4
        .value_kind:     by_value
      - .offset:         76
        .size:           4
        .value_kind:     by_value
      - .offset:         80
        .size:           4
        .value_kind:     by_value
      - .offset:         84
        .size:           4
        .value_kind:     by_value
      - .offset:         88
        .size:           4
        .value_kind:     by_value
      - .offset:         92
        .size:           12
        .value_kind:     by_value
      - .offset:         104
        .size:           4
        .value_kind:     by_value
      - .offset:         108
        .size:           4
        .value_kind:     by_value
      - .offset:         112
        .size:           4
        .value_kind:     by_value
      - .offset:         116
        .size:           4
        .value_kind:     by_value
      - .offset:         120
        .size:           4
        .value_kind:     by_value
      - .offset:         124
        .size:           4
        .value_kind:     by_value
      - .offset:         128
        .size:           4
        .value_kind:     by_value
      - .offset:         132
        .size:           4
        .value_kind:     by_value
      - .offset:         136
        .size:           4
        .value_kind:     by_value
      - .offset:         140
        .size:           4
        .value_kind:     by_value
      - .offset:         144
        .size:           4
        .value_kind:     by_value
      - .offset:         152
        .size:           8
        .value_kind:     by_value
      - .offset:         160
        .size:           4
        .value_kind:     by_value
      - .offset:         164
        .size:           4
        .value_kind:     by_value
      - .offset:         168
        .size:           8
        .value_kind:     by_value
      - .offset:         176
        .size:           4
        .value_kind:     by_value
      - .offset:         180
        .size:           4
        .value_kind:     by_value
      - .offset:         184
        .size:           4
        .value_kind:     by_value
      - .offset:         188
        .size:           4
        .value_kind:     by_value
      - .offset:         192
        .size:           4
        .value_kind:     by_value
      - .offset:         200
        .size:           8
        .value_kind:     by_value
      - .offset:         208
        .size:           4
        .value_kind:     hidden_block_count_x
      - .offset:         212
        .size:           4
        .value_kind:     hidden_block_count_y
      - .offset:         216
        .size:           4
        .value_kind:     hidden_block_count_z
      - .offset:         220
        .size:           2
        .value_kind:     hidden_group_size_x
      - .offset:         222
        .size:           2
        .value_kind:     hidden_group_size_y
      - .offset:         224
        .size:           2
        .value_kind:     hidden_group_size_z
      - .offset:         226
        .size:           2
        .value_kind:     hidden_remainder_x
      - .offset:         228
        .size:           2
        .value_kind:     hidden_remainder_y
      - .offset:         230
        .size:           2
        .value_kind:     hidden_remainder_z
      - .offset:         248
        .size:           8
        .value_kind:     hidden_global_offset_x
      - .offset:         256
        .size:           8
        .value_kind:     hidden_global_offset_y
      - .offset:         264
        .size:           8
        .value_kind:     hidden_global_offset_z
      - .offset:         272
        .size:           2
        .value_kind:     hidden_grid_dims
      - .offset:         288
        .size:           8
        .value_kind:     hidden_hostcall_buffer
    .group_segment_fixed_size: 0
    .kernarg_segment_align: 8
    .kernarg_segment_size: 464
    .language:       OpenCL C
    .language_version:
      - 2
      - 0
    .max_flat_workgroup_size: 256
    .name:           _ZL15flash_attn_tileILi72ELi72ELi8ELi4ELb1EEvPKcS1_S1_S1_S1_PKiPfP15HIP_vector_typeIfLj2EEffffjfiS5_IjLj3EEiiiiiiiiiiiliiliiiiil
    .private_segment_fixed_size: 16
    .sgpr_count:     36
    .sgpr_spill_count: 0
    .symbol:         _ZL15flash_attn_tileILi72ELi72ELi8ELi4ELb1EEvPKcS1_S1_S1_S1_PKiPfP15HIP_vector_typeIfLj2EEffffjfiS5_IjLj3EEiiiiiiiiiiiliiliiiiil.kd
    .uniform_work_group_size: 1
    .uses_dynamic_stack: false
    .vgpr_count:     50
    .vgpr_spill_count: 0
    .wavefront_size: 32
  - .args:
      - .address_space:  global
        .offset:         0
        .size:           8
        .value_kind:     global_buffer
      - .address_space:  global
        .offset:         8
        .size:           8
        .value_kind:     global_buffer
      - .address_space:  global
        .offset:         16
        .size:           8
        .value_kind:     global_buffer
      - .address_space:  global
        .offset:         24
        .size:           8
        .value_kind:     global_buffer
      - .address_space:  global
        .offset:         32
        .size:           8
        .value_kind:     global_buffer
      - .address_space:  global
        .offset:         40
        .size:           8
        .value_kind:     global_buffer
      - .address_space:  global
        .offset:         48
        .size:           8
        .value_kind:     global_buffer
      - .address_space:  global
        .offset:         56
        .size:           8
        .value_kind:     global_buffer
      - .offset:         64
        .size:           4
        .value_kind:     by_value
      - .offset:         68
        .size:           4
        .value_kind:     by_value
      - .offset:         72
        .size:           4
        .value_kind:     by_value
      - .offset:         76
        .size:           4
        .value_kind:     by_value
      - .offset:         80
        .size:           4
        .value_kind:     by_value
      - .offset:         84
        .size:           4
        .value_kind:     by_value
      - .offset:         88
        .size:           4
        .value_kind:     by_value
      - .offset:         92
        .size:           12
        .value_kind:     by_value
      - .offset:         104
        .size:           4
        .value_kind:     by_value
      - .offset:         108
        .size:           4
        .value_kind:     by_value
      - .offset:         112
        .size:           4
        .value_kind:     by_value
      - .offset:         116
        .size:           4
        .value_kind:     by_value
      - .offset:         120
        .size:           4
        .value_kind:     by_value
      - .offset:         124
        .size:           4
        .value_kind:     by_value
      - .offset:         128
        .size:           4
        .value_kind:     by_value
      - .offset:         132
        .size:           4
        .value_kind:     by_value
      - .offset:         136
        .size:           4
        .value_kind:     by_value
      - .offset:         140
        .size:           4
        .value_kind:     by_value
      - .offset:         144
        .size:           4
        .value_kind:     by_value
      - .offset:         152
        .size:           8
        .value_kind:     by_value
      - .offset:         160
        .size:           4
        .value_kind:     by_value
      - .offset:         164
        .size:           4
        .value_kind:     by_value
      - .offset:         168
        .size:           8
        .value_kind:     by_value
      - .offset:         176
        .size:           4
        .value_kind:     by_value
      - .offset:         180
        .size:           4
        .value_kind:     by_value
      - .offset:         184
        .size:           4
        .value_kind:     by_value
      - .offset:         188
        .size:           4
        .value_kind:     by_value
      - .offset:         192
        .size:           4
        .value_kind:     by_value
      - .offset:         200
        .size:           8
        .value_kind:     by_value
      - .offset:         208
        .size:           4
        .value_kind:     hidden_block_count_x
      - .offset:         212
        .size:           4
        .value_kind:     hidden_block_count_y
      - .offset:         216
        .size:           4
        .value_kind:     hidden_block_count_z
      - .offset:         220
        .size:           2
        .value_kind:     hidden_group_size_x
      - .offset:         222
        .size:           2
        .value_kind:     hidden_group_size_y
      - .offset:         224
        .size:           2
        .value_kind:     hidden_group_size_z
      - .offset:         226
        .size:           2
        .value_kind:     hidden_remainder_x
      - .offset:         228
        .size:           2
        .value_kind:     hidden_remainder_y
      - .offset:         230
        .size:           2
        .value_kind:     hidden_remainder_z
      - .offset:         248
        .size:           8
        .value_kind:     hidden_global_offset_x
      - .offset:         256
        .size:           8
        .value_kind:     hidden_global_offset_y
      - .offset:         264
        .size:           8
        .value_kind:     hidden_global_offset_z
      - .offset:         272
        .size:           2
        .value_kind:     hidden_grid_dims
      - .offset:         288
        .size:           8
        .value_kind:     hidden_hostcall_buffer
    .group_segment_fixed_size: 0
    .kernarg_segment_align: 8
    .kernarg_segment_size: 464
    .language:       OpenCL C
    .language_version:
      - 2
      - 0
    .max_flat_workgroup_size: 256
    .name:           _ZL15flash_attn_tileILi72ELi72ELi4ELi4ELb1EEvPKcS1_S1_S1_S1_PKiPfP15HIP_vector_typeIfLj2EEffffjfiS5_IjLj3EEiiiiiiiiiiiliiliiiiil
    .private_segment_fixed_size: 16
    .sgpr_count:     36
    .sgpr_spill_count: 0
    .symbol:         _ZL15flash_attn_tileILi72ELi72ELi4ELi4ELb1EEvPKcS1_S1_S1_S1_PKiPfP15HIP_vector_typeIfLj2EEffffjfiS5_IjLj3EEiiiiiiiiiiiliiliiiiil.kd
    .uniform_work_group_size: 1
    .uses_dynamic_stack: false
    .vgpr_count:     50
    .vgpr_spill_count: 0
    .wavefront_size: 32
  - .args:
      - .address_space:  global
        .offset:         0
        .size:           8
        .value_kind:     global_buffer
      - .address_space:  global
        .offset:         8
        .size:           8
        .value_kind:     global_buffer
      - .address_space:  global
        .offset:         16
        .size:           8
        .value_kind:     global_buffer
      - .address_space:  global
        .offset:         24
        .size:           8
        .value_kind:     global_buffer
      - .address_space:  global
        .offset:         32
        .size:           8
        .value_kind:     global_buffer
      - .address_space:  global
        .offset:         40
        .size:           8
        .value_kind:     global_buffer
      - .address_space:  global
        .offset:         48
        .size:           8
        .value_kind:     global_buffer
      - .address_space:  global
        .offset:         56
        .size:           8
        .value_kind:     global_buffer
      - .offset:         64
        .size:           4
        .value_kind:     by_value
      - .offset:         68
        .size:           4
        .value_kind:     by_value
      - .offset:         72
        .size:           4
        .value_kind:     by_value
      - .offset:         76
        .size:           4
        .value_kind:     by_value
      - .offset:         80
        .size:           4
        .value_kind:     by_value
      - .offset:         84
        .size:           4
        .value_kind:     by_value
      - .offset:         88
        .size:           4
        .value_kind:     by_value
      - .offset:         92
        .size:           12
        .value_kind:     by_value
      - .offset:         104
        .size:           4
        .value_kind:     by_value
      - .offset:         108
        .size:           4
        .value_kind:     by_value
      - .offset:         112
        .size:           4
        .value_kind:     by_value
      - .offset:         116
        .size:           4
        .value_kind:     by_value
      - .offset:         120
        .size:           4
        .value_kind:     by_value
      - .offset:         124
        .size:           4
        .value_kind:     by_value
      - .offset:         128
        .size:           4
        .value_kind:     by_value
      - .offset:         132
        .size:           4
        .value_kind:     by_value
      - .offset:         136
        .size:           4
        .value_kind:     by_value
      - .offset:         140
        .size:           4
        .value_kind:     by_value
      - .offset:         144
        .size:           4
        .value_kind:     by_value
      - .offset:         152
        .size:           8
        .value_kind:     by_value
      - .offset:         160
        .size:           4
        .value_kind:     by_value
      - .offset:         164
        .size:           4
        .value_kind:     by_value
      - .offset:         168
        .size:           8
        .value_kind:     by_value
      - .offset:         176
        .size:           4
        .value_kind:     by_value
      - .offset:         180
        .size:           4
        .value_kind:     by_value
      - .offset:         184
        .size:           4
        .value_kind:     by_value
      - .offset:         188
        .size:           4
        .value_kind:     by_value
      - .offset:         192
        .size:           4
        .value_kind:     by_value
      - .offset:         200
        .size:           8
        .value_kind:     by_value
      - .offset:         208
        .size:           4
        .value_kind:     hidden_block_count_x
      - .offset:         212
        .size:           4
        .value_kind:     hidden_block_count_y
      - .offset:         216
        .size:           4
        .value_kind:     hidden_block_count_z
      - .offset:         220
        .size:           2
        .value_kind:     hidden_group_size_x
      - .offset:         222
        .size:           2
        .value_kind:     hidden_group_size_y
      - .offset:         224
        .size:           2
        .value_kind:     hidden_group_size_z
      - .offset:         226
        .size:           2
        .value_kind:     hidden_remainder_x
      - .offset:         228
        .size:           2
        .value_kind:     hidden_remainder_y
      - .offset:         230
        .size:           2
        .value_kind:     hidden_remainder_z
      - .offset:         248
        .size:           8
        .value_kind:     hidden_global_offset_x
      - .offset:         256
        .size:           8
        .value_kind:     hidden_global_offset_y
      - .offset:         264
        .size:           8
        .value_kind:     hidden_global_offset_z
      - .offset:         272
        .size:           2
        .value_kind:     hidden_grid_dims
      - .offset:         288
        .size:           8
        .value_kind:     hidden_hostcall_buffer
    .group_segment_fixed_size: 0
    .kernarg_segment_align: 8
    .kernarg_segment_size: 464
    .language:       OpenCL C
    .language_version:
      - 2
      - 0
    .max_flat_workgroup_size: 256
    .name:           _ZL15flash_attn_tileILi72ELi72ELi2ELi4ELb1EEvPKcS1_S1_S1_S1_PKiPfP15HIP_vector_typeIfLj2EEffffjfiS5_IjLj3EEiiiiiiiiiiiliiliiiiil
    .private_segment_fixed_size: 16
    .sgpr_count:     36
    .sgpr_spill_count: 0
    .symbol:         _ZL15flash_attn_tileILi72ELi72ELi2ELi4ELb1EEvPKcS1_S1_S1_S1_PKiPfP15HIP_vector_typeIfLj2EEffffjfiS5_IjLj3EEiiiiiiiiiiiliiliiiiil.kd
    .uniform_work_group_size: 1
    .uses_dynamic_stack: false
    .vgpr_count:     50
    .vgpr_spill_count: 0
    .wavefront_size: 32
  - .args:
      - .address_space:  global
        .offset:         0
        .size:           8
        .value_kind:     global_buffer
      - .address_space:  global
        .offset:         8
        .size:           8
        .value_kind:     global_buffer
      - .address_space:  global
        .offset:         16
        .size:           8
        .value_kind:     global_buffer
      - .address_space:  global
        .offset:         24
        .size:           8
        .value_kind:     global_buffer
      - .address_space:  global
        .offset:         32
        .size:           8
        .value_kind:     global_buffer
      - .address_space:  global
        .offset:         40
        .size:           8
        .value_kind:     global_buffer
      - .address_space:  global
        .offset:         48
        .size:           8
        .value_kind:     global_buffer
      - .address_space:  global
        .offset:         56
        .size:           8
        .value_kind:     global_buffer
      - .offset:         64
        .size:           4
        .value_kind:     by_value
      - .offset:         68
        .size:           4
        .value_kind:     by_value
      - .offset:         72
        .size:           4
        .value_kind:     by_value
      - .offset:         76
        .size:           4
        .value_kind:     by_value
      - .offset:         80
        .size:           4
        .value_kind:     by_value
      - .offset:         84
        .size:           4
        .value_kind:     by_value
      - .offset:         88
        .size:           4
        .value_kind:     by_value
      - .offset:         92
        .size:           12
        .value_kind:     by_value
      - .offset:         104
        .size:           4
        .value_kind:     by_value
      - .offset:         108
        .size:           4
        .value_kind:     by_value
      - .offset:         112
        .size:           4
        .value_kind:     by_value
      - .offset:         116
        .size:           4
        .value_kind:     by_value
      - .offset:         120
        .size:           4
        .value_kind:     by_value
      - .offset:         124
        .size:           4
        .value_kind:     by_value
      - .offset:         128
        .size:           4
        .value_kind:     by_value
      - .offset:         132
        .size:           4
        .value_kind:     by_value
      - .offset:         136
        .size:           4
        .value_kind:     by_value
      - .offset:         140
        .size:           4
        .value_kind:     by_value
      - .offset:         144
        .size:           4
        .value_kind:     by_value
      - .offset:         152
        .size:           8
        .value_kind:     by_value
      - .offset:         160
        .size:           4
        .value_kind:     by_value
      - .offset:         164
        .size:           4
        .value_kind:     by_value
      - .offset:         168
        .size:           8
        .value_kind:     by_value
      - .offset:         176
        .size:           4
        .value_kind:     by_value
      - .offset:         180
        .size:           4
        .value_kind:     by_value
      - .offset:         184
        .size:           4
        .value_kind:     by_value
      - .offset:         188
        .size:           4
        .value_kind:     by_value
      - .offset:         192
        .size:           4
        .value_kind:     by_value
      - .offset:         200
        .size:           8
        .value_kind:     by_value
      - .offset:         208
        .size:           4
        .value_kind:     hidden_block_count_x
      - .offset:         212
        .size:           4
        .value_kind:     hidden_block_count_y
      - .offset:         216
        .size:           4
        .value_kind:     hidden_block_count_z
      - .offset:         220
        .size:           2
        .value_kind:     hidden_group_size_x
      - .offset:         222
        .size:           2
        .value_kind:     hidden_group_size_y
      - .offset:         224
        .size:           2
        .value_kind:     hidden_group_size_z
      - .offset:         226
        .size:           2
        .value_kind:     hidden_remainder_x
      - .offset:         228
        .size:           2
        .value_kind:     hidden_remainder_y
      - .offset:         230
        .size:           2
        .value_kind:     hidden_remainder_z
      - .offset:         248
        .size:           8
        .value_kind:     hidden_global_offset_x
      - .offset:         256
        .size:           8
        .value_kind:     hidden_global_offset_y
      - .offset:         264
        .size:           8
        .value_kind:     hidden_global_offset_z
      - .offset:         272
        .size:           2
        .value_kind:     hidden_grid_dims
      - .offset:         288
        .size:           8
        .value_kind:     hidden_hostcall_buffer
    .group_segment_fixed_size: 0
    .kernarg_segment_align: 8
    .kernarg_segment_size: 464
    .language:       OpenCL C
    .language_version:
      - 2
      - 0
    .max_flat_workgroup_size: 128
    .name:           _ZL15flash_attn_tileILi72ELi72ELi1ELi4ELb1EEvPKcS1_S1_S1_S1_PKiPfP15HIP_vector_typeIfLj2EEffffjfiS5_IjLj3EEiiiiiiiiiiiliiliiiiil
    .private_segment_fixed_size: 16
    .sgpr_count:     36
    .sgpr_spill_count: 0
    .symbol:         _ZL15flash_attn_tileILi72ELi72ELi1ELi4ELb1EEvPKcS1_S1_S1_S1_PKiPfP15HIP_vector_typeIfLj2EEffffjfiS5_IjLj3EEiiiiiiiiiiiliiliiiiil.kd
    .uniform_work_group_size: 1
    .uses_dynamic_stack: false
    .vgpr_count:     50
    .vgpr_spill_count: 0
    .wavefront_size: 32
  - .args:
      - .address_space:  global
        .offset:         0
        .size:           8
        .value_kind:     global_buffer
      - .address_space:  global
        .offset:         8
        .size:           8
        .value_kind:     global_buffer
      - .address_space:  global
        .offset:         16
        .size:           8
        .value_kind:     global_buffer
      - .address_space:  global
        .offset:         24
        .size:           8
        .value_kind:     global_buffer
      - .address_space:  global
        .offset:         32
        .size:           8
        .value_kind:     global_buffer
      - .address_space:  global
        .offset:         40
        .size:           8
        .value_kind:     global_buffer
      - .address_space:  global
        .offset:         48
        .size:           8
        .value_kind:     global_buffer
      - .address_space:  global
        .offset:         56
        .size:           8
        .value_kind:     global_buffer
      - .offset:         64
        .size:           4
        .value_kind:     by_value
      - .offset:         68
        .size:           4
        .value_kind:     by_value
      - .offset:         72
        .size:           4
        .value_kind:     by_value
      - .offset:         76
        .size:           4
        .value_kind:     by_value
      - .offset:         80
        .size:           4
        .value_kind:     by_value
      - .offset:         84
        .size:           4
        .value_kind:     by_value
      - .offset:         88
        .size:           4
        .value_kind:     by_value
      - .offset:         92
        .size:           12
        .value_kind:     by_value
      - .offset:         104
        .size:           4
        .value_kind:     by_value
      - .offset:         108
        .size:           4
        .value_kind:     by_value
      - .offset:         112
        .size:           4
        .value_kind:     by_value
      - .offset:         116
        .size:           4
        .value_kind:     by_value
      - .offset:         120
        .size:           4
        .value_kind:     by_value
      - .offset:         124
        .size:           4
        .value_kind:     by_value
      - .offset:         128
        .size:           4
        .value_kind:     by_value
      - .offset:         132
        .size:           4
        .value_kind:     by_value
      - .offset:         136
        .size:           4
        .value_kind:     by_value
      - .offset:         140
        .size:           4
        .value_kind:     by_value
      - .offset:         144
        .size:           4
        .value_kind:     by_value
      - .offset:         152
        .size:           8
        .value_kind:     by_value
      - .offset:         160
        .size:           4
        .value_kind:     by_value
      - .offset:         164
        .size:           4
        .value_kind:     by_value
      - .offset:         168
        .size:           8
        .value_kind:     by_value
      - .offset:         176
        .size:           4
        .value_kind:     by_value
      - .offset:         180
        .size:           4
        .value_kind:     by_value
      - .offset:         184
        .size:           4
        .value_kind:     by_value
      - .offset:         188
        .size:           4
        .value_kind:     by_value
      - .offset:         192
        .size:           4
        .value_kind:     by_value
      - .offset:         200
        .size:           8
        .value_kind:     by_value
      - .offset:         208
        .size:           4
        .value_kind:     hidden_block_count_x
      - .offset:         212
        .size:           4
        .value_kind:     hidden_block_count_y
      - .offset:         216
        .size:           4
        .value_kind:     hidden_block_count_z
      - .offset:         220
        .size:           2
        .value_kind:     hidden_group_size_x
      - .offset:         222
        .size:           2
        .value_kind:     hidden_group_size_y
      - .offset:         224
        .size:           2
        .value_kind:     hidden_group_size_z
      - .offset:         226
        .size:           2
        .value_kind:     hidden_remainder_x
      - .offset:         228
        .size:           2
        .value_kind:     hidden_remainder_y
      - .offset:         230
        .size:           2
        .value_kind:     hidden_remainder_z
      - .offset:         248
        .size:           8
        .value_kind:     hidden_global_offset_x
      - .offset:         256
        .size:           8
        .value_kind:     hidden_global_offset_y
      - .offset:         264
        .size:           8
        .value_kind:     hidden_global_offset_z
      - .offset:         272
        .size:           2
        .value_kind:     hidden_grid_dims
      - .offset:         288
        .size:           8
        .value_kind:     hidden_hostcall_buffer
    .group_segment_fixed_size: 0
    .kernarg_segment_align: 8
    .kernarg_segment_size: 464
    .language:       OpenCL C
    .language_version:
      - 2
      - 0
    .max_flat_workgroup_size: 256
    .name:           _ZL15flash_attn_tileILi72ELi72ELi32ELi2ELb1EEvPKcS1_S1_S1_S1_PKiPfP15HIP_vector_typeIfLj2EEffffjfiS5_IjLj3EEiiiiiiiiiiiliiliiiiil
    .private_segment_fixed_size: 16
    .sgpr_count:     36
    .sgpr_spill_count: 0
    .symbol:         _ZL15flash_attn_tileILi72ELi72ELi32ELi2ELb1EEvPKcS1_S1_S1_S1_PKiPfP15HIP_vector_typeIfLj2EEffffjfiS5_IjLj3EEiiiiiiiiiiiliiliiiiil.kd
    .uniform_work_group_size: 1
    .uses_dynamic_stack: false
    .vgpr_count:     50
    .vgpr_spill_count: 0
    .wavefront_size: 32
  - .args:
      - .address_space:  global
        .offset:         0
        .size:           8
        .value_kind:     global_buffer
      - .address_space:  global
        .offset:         8
        .size:           8
        .value_kind:     global_buffer
      - .address_space:  global
        .offset:         16
        .size:           8
        .value_kind:     global_buffer
      - .address_space:  global
        .offset:         24
        .size:           8
        .value_kind:     global_buffer
      - .address_space:  global
        .offset:         32
        .size:           8
        .value_kind:     global_buffer
      - .address_space:  global
        .offset:         40
        .size:           8
        .value_kind:     global_buffer
      - .address_space:  global
        .offset:         48
        .size:           8
        .value_kind:     global_buffer
      - .address_space:  global
        .offset:         56
        .size:           8
        .value_kind:     global_buffer
      - .offset:         64
        .size:           4
        .value_kind:     by_value
      - .offset:         68
        .size:           4
        .value_kind:     by_value
      - .offset:         72
        .size:           4
        .value_kind:     by_value
      - .offset:         76
        .size:           4
        .value_kind:     by_value
      - .offset:         80
        .size:           4
        .value_kind:     by_value
      - .offset:         84
        .size:           4
        .value_kind:     by_value
      - .offset:         88
        .size:           4
        .value_kind:     by_value
      - .offset:         92
        .size:           12
        .value_kind:     by_value
      - .offset:         104
        .size:           4
        .value_kind:     by_value
      - .offset:         108
        .size:           4
        .value_kind:     by_value
      - .offset:         112
        .size:           4
        .value_kind:     by_value
      - .offset:         116
        .size:           4
        .value_kind:     by_value
      - .offset:         120
        .size:           4
        .value_kind:     by_value
      - .offset:         124
        .size:           4
        .value_kind:     by_value
      - .offset:         128
        .size:           4
        .value_kind:     by_value
      - .offset:         132
        .size:           4
        .value_kind:     by_value
      - .offset:         136
        .size:           4
        .value_kind:     by_value
      - .offset:         140
        .size:           4
        .value_kind:     by_value
      - .offset:         144
        .size:           4
        .value_kind:     by_value
      - .offset:         152
        .size:           8
        .value_kind:     by_value
      - .offset:         160
        .size:           4
        .value_kind:     by_value
      - .offset:         164
        .size:           4
        .value_kind:     by_value
      - .offset:         168
        .size:           8
        .value_kind:     by_value
      - .offset:         176
        .size:           4
        .value_kind:     by_value
      - .offset:         180
        .size:           4
        .value_kind:     by_value
      - .offset:         184
        .size:           4
        .value_kind:     by_value
      - .offset:         188
        .size:           4
        .value_kind:     by_value
      - .offset:         192
        .size:           4
        .value_kind:     by_value
      - .offset:         200
        .size:           8
        .value_kind:     by_value
      - .offset:         208
        .size:           4
        .value_kind:     hidden_block_count_x
      - .offset:         212
        .size:           4
        .value_kind:     hidden_block_count_y
      - .offset:         216
        .size:           4
        .value_kind:     hidden_block_count_z
      - .offset:         220
        .size:           2
        .value_kind:     hidden_group_size_x
      - .offset:         222
        .size:           2
        .value_kind:     hidden_group_size_y
      - .offset:         224
        .size:           2
        .value_kind:     hidden_group_size_z
      - .offset:         226
        .size:           2
        .value_kind:     hidden_remainder_x
      - .offset:         228
        .size:           2
        .value_kind:     hidden_remainder_y
      - .offset:         230
        .size:           2
        .value_kind:     hidden_remainder_z
      - .offset:         248
        .size:           8
        .value_kind:     hidden_global_offset_x
      - .offset:         256
        .size:           8
        .value_kind:     hidden_global_offset_y
      - .offset:         264
        .size:           8
        .value_kind:     hidden_global_offset_z
      - .offset:         272
        .size:           2
        .value_kind:     hidden_grid_dims
      - .offset:         288
        .size:           8
        .value_kind:     hidden_hostcall_buffer
    .group_segment_fixed_size: 0
    .kernarg_segment_align: 8
    .kernarg_segment_size: 464
    .language:       OpenCL C
    .language_version:
      - 2
      - 0
    .max_flat_workgroup_size: 256
    .name:           _ZL15flash_attn_tileILi72ELi72ELi16ELi2ELb1EEvPKcS1_S1_S1_S1_PKiPfP15HIP_vector_typeIfLj2EEffffjfiS5_IjLj3EEiiiiiiiiiiiliiliiiiil
    .private_segment_fixed_size: 16
    .sgpr_count:     36
    .sgpr_spill_count: 0
    .symbol:         _ZL15flash_attn_tileILi72ELi72ELi16ELi2ELb1EEvPKcS1_S1_S1_S1_PKiPfP15HIP_vector_typeIfLj2EEffffjfiS5_IjLj3EEiiiiiiiiiiiliiliiiiil.kd
    .uniform_work_group_size: 1
    .uses_dynamic_stack: false
    .vgpr_count:     50
    .vgpr_spill_count: 0
    .wavefront_size: 32
  - .args:
      - .address_space:  global
        .offset:         0
        .size:           8
        .value_kind:     global_buffer
      - .address_space:  global
        .offset:         8
        .size:           8
        .value_kind:     global_buffer
      - .address_space:  global
        .offset:         16
        .size:           8
        .value_kind:     global_buffer
      - .address_space:  global
        .offset:         24
        .size:           8
        .value_kind:     global_buffer
      - .address_space:  global
        .offset:         32
        .size:           8
        .value_kind:     global_buffer
      - .address_space:  global
        .offset:         40
        .size:           8
        .value_kind:     global_buffer
      - .address_space:  global
        .offset:         48
        .size:           8
        .value_kind:     global_buffer
      - .address_space:  global
        .offset:         56
        .size:           8
        .value_kind:     global_buffer
      - .offset:         64
        .size:           4
        .value_kind:     by_value
      - .offset:         68
        .size:           4
        .value_kind:     by_value
      - .offset:         72
        .size:           4
        .value_kind:     by_value
      - .offset:         76
        .size:           4
        .value_kind:     by_value
      - .offset:         80
        .size:           4
        .value_kind:     by_value
      - .offset:         84
        .size:           4
        .value_kind:     by_value
      - .offset:         88
        .size:           4
        .value_kind:     by_value
      - .offset:         92
        .size:           12
        .value_kind:     by_value
      - .offset:         104
        .size:           4
        .value_kind:     by_value
      - .offset:         108
        .size:           4
        .value_kind:     by_value
      - .offset:         112
        .size:           4
        .value_kind:     by_value
      - .offset:         116
        .size:           4
        .value_kind:     by_value
      - .offset:         120
        .size:           4
        .value_kind:     by_value
      - .offset:         124
        .size:           4
        .value_kind:     by_value
      - .offset:         128
        .size:           4
        .value_kind:     by_value
      - .offset:         132
        .size:           4
        .value_kind:     by_value
      - .offset:         136
        .size:           4
        .value_kind:     by_value
      - .offset:         140
        .size:           4
        .value_kind:     by_value
      - .offset:         144
        .size:           4
        .value_kind:     by_value
      - .offset:         152
        .size:           8
        .value_kind:     by_value
      - .offset:         160
        .size:           4
        .value_kind:     by_value
      - .offset:         164
        .size:           4
        .value_kind:     by_value
      - .offset:         168
        .size:           8
        .value_kind:     by_value
      - .offset:         176
        .size:           4
        .value_kind:     by_value
      - .offset:         180
        .size:           4
        .value_kind:     by_value
      - .offset:         184
        .size:           4
        .value_kind:     by_value
      - .offset:         188
        .size:           4
        .value_kind:     by_value
      - .offset:         192
        .size:           4
        .value_kind:     by_value
      - .offset:         200
        .size:           8
        .value_kind:     by_value
      - .offset:         208
        .size:           4
        .value_kind:     hidden_block_count_x
      - .offset:         212
        .size:           4
        .value_kind:     hidden_block_count_y
      - .offset:         216
        .size:           4
        .value_kind:     hidden_block_count_z
      - .offset:         220
        .size:           2
        .value_kind:     hidden_group_size_x
      - .offset:         222
        .size:           2
        .value_kind:     hidden_group_size_y
      - .offset:         224
        .size:           2
        .value_kind:     hidden_group_size_z
      - .offset:         226
        .size:           2
        .value_kind:     hidden_remainder_x
      - .offset:         228
        .size:           2
        .value_kind:     hidden_remainder_y
      - .offset:         230
        .size:           2
        .value_kind:     hidden_remainder_z
      - .offset:         248
        .size:           8
        .value_kind:     hidden_global_offset_x
      - .offset:         256
        .size:           8
        .value_kind:     hidden_global_offset_y
      - .offset:         264
        .size:           8
        .value_kind:     hidden_global_offset_z
      - .offset:         272
        .size:           2
        .value_kind:     hidden_grid_dims
      - .offset:         288
        .size:           8
        .value_kind:     hidden_hostcall_buffer
    .group_segment_fixed_size: 0
    .kernarg_segment_align: 8
    .kernarg_segment_size: 464
    .language:       OpenCL C
    .language_version:
      - 2
      - 0
    .max_flat_workgroup_size: 256
    .name:           _ZL15flash_attn_tileILi72ELi72ELi8ELi2ELb1EEvPKcS1_S1_S1_S1_PKiPfP15HIP_vector_typeIfLj2EEffffjfiS5_IjLj3EEiiiiiiiiiiiliiliiiiil
    .private_segment_fixed_size: 16
    .sgpr_count:     36
    .sgpr_spill_count: 0
    .symbol:         _ZL15flash_attn_tileILi72ELi72ELi8ELi2ELb1EEvPKcS1_S1_S1_S1_PKiPfP15HIP_vector_typeIfLj2EEffffjfiS5_IjLj3EEiiiiiiiiiiiliiliiiiil.kd
    .uniform_work_group_size: 1
    .uses_dynamic_stack: false
    .vgpr_count:     50
    .vgpr_spill_count: 0
    .wavefront_size: 32
  - .args:
      - .address_space:  global
        .offset:         0
        .size:           8
        .value_kind:     global_buffer
      - .address_space:  global
        .offset:         8
        .size:           8
        .value_kind:     global_buffer
      - .address_space:  global
        .offset:         16
        .size:           8
        .value_kind:     global_buffer
      - .address_space:  global
        .offset:         24
        .size:           8
        .value_kind:     global_buffer
      - .address_space:  global
        .offset:         32
        .size:           8
        .value_kind:     global_buffer
      - .address_space:  global
        .offset:         40
        .size:           8
        .value_kind:     global_buffer
      - .address_space:  global
        .offset:         48
        .size:           8
        .value_kind:     global_buffer
      - .address_space:  global
        .offset:         56
        .size:           8
        .value_kind:     global_buffer
      - .offset:         64
        .size:           4
        .value_kind:     by_value
      - .offset:         68
        .size:           4
        .value_kind:     by_value
      - .offset:         72
        .size:           4
        .value_kind:     by_value
      - .offset:         76
        .size:           4
        .value_kind:     by_value
      - .offset:         80
        .size:           4
        .value_kind:     by_value
      - .offset:         84
        .size:           4
        .value_kind:     by_value
      - .offset:         88
        .size:           4
        .value_kind:     by_value
      - .offset:         92
        .size:           12
        .value_kind:     by_value
      - .offset:         104
        .size:           4
        .value_kind:     by_value
      - .offset:         108
        .size:           4
        .value_kind:     by_value
      - .offset:         112
        .size:           4
        .value_kind:     by_value
      - .offset:         116
        .size:           4
        .value_kind:     by_value
      - .offset:         120
        .size:           4
        .value_kind:     by_value
      - .offset:         124
        .size:           4
        .value_kind:     by_value
      - .offset:         128
        .size:           4
        .value_kind:     by_value
      - .offset:         132
        .size:           4
        .value_kind:     by_value
      - .offset:         136
        .size:           4
        .value_kind:     by_value
      - .offset:         140
        .size:           4
        .value_kind:     by_value
      - .offset:         144
        .size:           4
        .value_kind:     by_value
      - .offset:         152
        .size:           8
        .value_kind:     by_value
      - .offset:         160
        .size:           4
        .value_kind:     by_value
      - .offset:         164
        .size:           4
        .value_kind:     by_value
      - .offset:         168
        .size:           8
        .value_kind:     by_value
      - .offset:         176
        .size:           4
        .value_kind:     by_value
      - .offset:         180
        .size:           4
        .value_kind:     by_value
      - .offset:         184
        .size:           4
        .value_kind:     by_value
      - .offset:         188
        .size:           4
        .value_kind:     by_value
      - .offset:         192
        .size:           4
        .value_kind:     by_value
      - .offset:         200
        .size:           8
        .value_kind:     by_value
      - .offset:         208
        .size:           4
        .value_kind:     hidden_block_count_x
      - .offset:         212
        .size:           4
        .value_kind:     hidden_block_count_y
      - .offset:         216
        .size:           4
        .value_kind:     hidden_block_count_z
      - .offset:         220
        .size:           2
        .value_kind:     hidden_group_size_x
      - .offset:         222
        .size:           2
        .value_kind:     hidden_group_size_y
      - .offset:         224
        .size:           2
        .value_kind:     hidden_group_size_z
      - .offset:         226
        .size:           2
        .value_kind:     hidden_remainder_x
      - .offset:         228
        .size:           2
        .value_kind:     hidden_remainder_y
      - .offset:         230
        .size:           2
        .value_kind:     hidden_remainder_z
      - .offset:         248
        .size:           8
        .value_kind:     hidden_global_offset_x
      - .offset:         256
        .size:           8
        .value_kind:     hidden_global_offset_y
      - .offset:         264
        .size:           8
        .value_kind:     hidden_global_offset_z
      - .offset:         272
        .size:           2
        .value_kind:     hidden_grid_dims
      - .offset:         288
        .size:           8
        .value_kind:     hidden_hostcall_buffer
    .group_segment_fixed_size: 0
    .kernarg_segment_align: 8
    .kernarg_segment_size: 464
    .language:       OpenCL C
    .language_version:
      - 2
      - 0
    .max_flat_workgroup_size: 256
    .name:           _ZL15flash_attn_tileILi72ELi72ELi4ELi2ELb1EEvPKcS1_S1_S1_S1_PKiPfP15HIP_vector_typeIfLj2EEffffjfiS5_IjLj3EEiiiiiiiiiiiliiliiiiil
    .private_segment_fixed_size: 16
    .sgpr_count:     36
    .sgpr_spill_count: 0
    .symbol:         _ZL15flash_attn_tileILi72ELi72ELi4ELi2ELb1EEvPKcS1_S1_S1_S1_PKiPfP15HIP_vector_typeIfLj2EEffffjfiS5_IjLj3EEiiiiiiiiiiiliiliiiiil.kd
    .uniform_work_group_size: 1
    .uses_dynamic_stack: false
    .vgpr_count:     50
    .vgpr_spill_count: 0
    .wavefront_size: 32
  - .args:
      - .address_space:  global
        .offset:         0
        .size:           8
        .value_kind:     global_buffer
      - .address_space:  global
        .offset:         8
        .size:           8
        .value_kind:     global_buffer
      - .address_space:  global
        .offset:         16
        .size:           8
        .value_kind:     global_buffer
      - .address_space:  global
        .offset:         24
        .size:           8
        .value_kind:     global_buffer
      - .address_space:  global
        .offset:         32
        .size:           8
        .value_kind:     global_buffer
      - .address_space:  global
        .offset:         40
        .size:           8
        .value_kind:     global_buffer
      - .address_space:  global
        .offset:         48
        .size:           8
        .value_kind:     global_buffer
      - .address_space:  global
        .offset:         56
        .size:           8
        .value_kind:     global_buffer
      - .offset:         64
        .size:           4
        .value_kind:     by_value
      - .offset:         68
        .size:           4
        .value_kind:     by_value
      - .offset:         72
        .size:           4
        .value_kind:     by_value
      - .offset:         76
        .size:           4
        .value_kind:     by_value
      - .offset:         80
        .size:           4
        .value_kind:     by_value
      - .offset:         84
        .size:           4
        .value_kind:     by_value
      - .offset:         88
        .size:           4
        .value_kind:     by_value
      - .offset:         92
        .size:           12
        .value_kind:     by_value
      - .offset:         104
        .size:           4
        .value_kind:     by_value
      - .offset:         108
        .size:           4
        .value_kind:     by_value
      - .offset:         112
        .size:           4
        .value_kind:     by_value
      - .offset:         116
        .size:           4
        .value_kind:     by_value
      - .offset:         120
        .size:           4
        .value_kind:     by_value
      - .offset:         124
        .size:           4
        .value_kind:     by_value
      - .offset:         128
        .size:           4
        .value_kind:     by_value
      - .offset:         132
        .size:           4
        .value_kind:     by_value
      - .offset:         136
        .size:           4
        .value_kind:     by_value
      - .offset:         140
        .size:           4
        .value_kind:     by_value
      - .offset:         144
        .size:           4
        .value_kind:     by_value
      - .offset:         152
        .size:           8
        .value_kind:     by_value
      - .offset:         160
        .size:           4
        .value_kind:     by_value
      - .offset:         164
        .size:           4
        .value_kind:     by_value
      - .offset:         168
        .size:           8
        .value_kind:     by_value
      - .offset:         176
        .size:           4
        .value_kind:     by_value
      - .offset:         180
        .size:           4
        .value_kind:     by_value
      - .offset:         184
        .size:           4
        .value_kind:     by_value
      - .offset:         188
        .size:           4
        .value_kind:     by_value
      - .offset:         192
        .size:           4
        .value_kind:     by_value
      - .offset:         200
        .size:           8
        .value_kind:     by_value
      - .offset:         208
        .size:           4
        .value_kind:     hidden_block_count_x
      - .offset:         212
        .size:           4
        .value_kind:     hidden_block_count_y
      - .offset:         216
        .size:           4
        .value_kind:     hidden_block_count_z
      - .offset:         220
        .size:           2
        .value_kind:     hidden_group_size_x
      - .offset:         222
        .size:           2
        .value_kind:     hidden_group_size_y
      - .offset:         224
        .size:           2
        .value_kind:     hidden_group_size_z
      - .offset:         226
        .size:           2
        .value_kind:     hidden_remainder_x
      - .offset:         228
        .size:           2
        .value_kind:     hidden_remainder_y
      - .offset:         230
        .size:           2
        .value_kind:     hidden_remainder_z
      - .offset:         248
        .size:           8
        .value_kind:     hidden_global_offset_x
      - .offset:         256
        .size:           8
        .value_kind:     hidden_global_offset_y
      - .offset:         264
        .size:           8
        .value_kind:     hidden_global_offset_z
      - .offset:         272
        .size:           2
        .value_kind:     hidden_grid_dims
      - .offset:         288
        .size:           8
        .value_kind:     hidden_hostcall_buffer
    .group_segment_fixed_size: 0
    .kernarg_segment_align: 8
    .kernarg_segment_size: 464
    .language:       OpenCL C
    .language_version:
      - 2
      - 0
    .max_flat_workgroup_size: 128
    .name:           _ZL15flash_attn_tileILi72ELi72ELi2ELi2ELb1EEvPKcS1_S1_S1_S1_PKiPfP15HIP_vector_typeIfLj2EEffffjfiS5_IjLj3EEiiiiiiiiiiiliiliiiiil
    .private_segment_fixed_size: 16
    .sgpr_count:     36
    .sgpr_spill_count: 0
    .symbol:         _ZL15flash_attn_tileILi72ELi72ELi2ELi2ELb1EEvPKcS1_S1_S1_S1_PKiPfP15HIP_vector_typeIfLj2EEffffjfiS5_IjLj3EEiiiiiiiiiiiliiliiiiil.kd
    .uniform_work_group_size: 1
    .uses_dynamic_stack: false
    .vgpr_count:     50
    .vgpr_spill_count: 0
    .wavefront_size: 32
  - .args:
      - .address_space:  global
        .offset:         0
        .size:           8
        .value_kind:     global_buffer
      - .address_space:  global
        .offset:         8
        .size:           8
        .value_kind:     global_buffer
      - .address_space:  global
        .offset:         16
        .size:           8
        .value_kind:     global_buffer
      - .address_space:  global
        .offset:         24
        .size:           8
        .value_kind:     global_buffer
      - .address_space:  global
        .offset:         32
        .size:           8
        .value_kind:     global_buffer
      - .address_space:  global
        .offset:         40
        .size:           8
        .value_kind:     global_buffer
      - .address_space:  global
        .offset:         48
        .size:           8
        .value_kind:     global_buffer
      - .address_space:  global
        .offset:         56
        .size:           8
        .value_kind:     global_buffer
      - .offset:         64
        .size:           4
        .value_kind:     by_value
      - .offset:         68
        .size:           4
        .value_kind:     by_value
      - .offset:         72
        .size:           4
        .value_kind:     by_value
      - .offset:         76
        .size:           4
        .value_kind:     by_value
      - .offset:         80
        .size:           4
        .value_kind:     by_value
      - .offset:         84
        .size:           4
        .value_kind:     by_value
      - .offset:         88
        .size:           4
        .value_kind:     by_value
      - .offset:         92
        .size:           12
        .value_kind:     by_value
      - .offset:         104
        .size:           4
        .value_kind:     by_value
      - .offset:         108
        .size:           4
        .value_kind:     by_value
      - .offset:         112
        .size:           4
        .value_kind:     by_value
      - .offset:         116
        .size:           4
        .value_kind:     by_value
      - .offset:         120
        .size:           4
        .value_kind:     by_value
      - .offset:         124
        .size:           4
        .value_kind:     by_value
      - .offset:         128
        .size:           4
        .value_kind:     by_value
      - .offset:         132
        .size:           4
        .value_kind:     by_value
      - .offset:         136
        .size:           4
        .value_kind:     by_value
      - .offset:         140
        .size:           4
        .value_kind:     by_value
      - .offset:         144
        .size:           4
        .value_kind:     by_value
      - .offset:         152
        .size:           8
        .value_kind:     by_value
      - .offset:         160
        .size:           4
        .value_kind:     by_value
      - .offset:         164
        .size:           4
        .value_kind:     by_value
      - .offset:         168
        .size:           8
        .value_kind:     by_value
      - .offset:         176
        .size:           4
        .value_kind:     by_value
      - .offset:         180
        .size:           4
        .value_kind:     by_value
      - .offset:         184
        .size:           4
        .value_kind:     by_value
      - .offset:         188
        .size:           4
        .value_kind:     by_value
      - .offset:         192
        .size:           4
        .value_kind:     by_value
      - .offset:         200
        .size:           8
        .value_kind:     by_value
      - .offset:         208
        .size:           4
        .value_kind:     hidden_block_count_x
      - .offset:         212
        .size:           4
        .value_kind:     hidden_block_count_y
      - .offset:         216
        .size:           4
        .value_kind:     hidden_block_count_z
      - .offset:         220
        .size:           2
        .value_kind:     hidden_group_size_x
      - .offset:         222
        .size:           2
        .value_kind:     hidden_group_size_y
      - .offset:         224
        .size:           2
        .value_kind:     hidden_group_size_z
      - .offset:         226
        .size:           2
        .value_kind:     hidden_remainder_x
      - .offset:         228
        .size:           2
        .value_kind:     hidden_remainder_y
      - .offset:         230
        .size:           2
        .value_kind:     hidden_remainder_z
      - .offset:         248
        .size:           8
        .value_kind:     hidden_global_offset_x
      - .offset:         256
        .size:           8
        .value_kind:     hidden_global_offset_y
      - .offset:         264
        .size:           8
        .value_kind:     hidden_global_offset_z
      - .offset:         272
        .size:           2
        .value_kind:     hidden_grid_dims
      - .offset:         288
        .size:           8
        .value_kind:     hidden_hostcall_buffer
    .group_segment_fixed_size: 0
    .kernarg_segment_align: 8
    .kernarg_segment_size: 464
    .language:       OpenCL C
    .language_version:
      - 2
      - 0
    .max_flat_workgroup_size: 64
    .name:           _ZL15flash_attn_tileILi72ELi72ELi1ELi2ELb1EEvPKcS1_S1_S1_S1_PKiPfP15HIP_vector_typeIfLj2EEffffjfiS5_IjLj3EEiiiiiiiiiiiliiliiiiil
    .private_segment_fixed_size: 16
    .sgpr_count:     36
    .sgpr_spill_count: 0
    .symbol:         _ZL15flash_attn_tileILi72ELi72ELi1ELi2ELb1EEvPKcS1_S1_S1_S1_PKiPfP15HIP_vector_typeIfLj2EEffffjfiS5_IjLj3EEiiiiiiiiiiiliiliiiiil.kd
    .uniform_work_group_size: 1
    .uses_dynamic_stack: false
    .vgpr_count:     50
    .vgpr_spill_count: 0
    .wavefront_size: 32
  - .args:
      - .address_space:  global
        .offset:         0
        .size:           8
        .value_kind:     global_buffer
      - .address_space:  global
        .offset:         8
        .size:           8
        .value_kind:     global_buffer
      - .address_space:  global
        .offset:         16
        .size:           8
        .value_kind:     global_buffer
      - .address_space:  global
        .offset:         24
        .size:           8
        .value_kind:     global_buffer
      - .address_space:  global
        .offset:         32
        .size:           8
        .value_kind:     global_buffer
      - .address_space:  global
        .offset:         40
        .size:           8
        .value_kind:     global_buffer
      - .address_space:  global
        .offset:         48
        .size:           8
        .value_kind:     global_buffer
      - .address_space:  global
        .offset:         56
        .size:           8
        .value_kind:     global_buffer
      - .offset:         64
        .size:           4
        .value_kind:     by_value
      - .offset:         68
        .size:           4
        .value_kind:     by_value
      - .offset:         72
        .size:           4
        .value_kind:     by_value
      - .offset:         76
        .size:           4
        .value_kind:     by_value
      - .offset:         80
        .size:           4
        .value_kind:     by_value
      - .offset:         84
        .size:           4
        .value_kind:     by_value
      - .offset:         88
        .size:           4
        .value_kind:     by_value
      - .offset:         92
        .size:           12
        .value_kind:     by_value
      - .offset:         104
        .size:           4
        .value_kind:     by_value
      - .offset:         108
        .size:           4
        .value_kind:     by_value
      - .offset:         112
        .size:           4
        .value_kind:     by_value
      - .offset:         116
        .size:           4
        .value_kind:     by_value
      - .offset:         120
        .size:           4
        .value_kind:     by_value
      - .offset:         124
        .size:           4
        .value_kind:     by_value
      - .offset:         128
        .size:           4
        .value_kind:     by_value
      - .offset:         132
        .size:           4
        .value_kind:     by_value
      - .offset:         136
        .size:           4
        .value_kind:     by_value
      - .offset:         140
        .size:           4
        .value_kind:     by_value
      - .offset:         144
        .size:           4
        .value_kind:     by_value
      - .offset:         152
        .size:           8
        .value_kind:     by_value
      - .offset:         160
        .size:           4
        .value_kind:     by_value
      - .offset:         164
        .size:           4
        .value_kind:     by_value
      - .offset:         168
        .size:           8
        .value_kind:     by_value
      - .offset:         176
        .size:           4
        .value_kind:     by_value
      - .offset:         180
        .size:           4
        .value_kind:     by_value
      - .offset:         184
        .size:           4
        .value_kind:     by_value
      - .offset:         188
        .size:           4
        .value_kind:     by_value
      - .offset:         192
        .size:           4
        .value_kind:     by_value
      - .offset:         200
        .size:           8
        .value_kind:     by_value
      - .offset:         208
        .size:           4
        .value_kind:     hidden_block_count_x
      - .offset:         212
        .size:           4
        .value_kind:     hidden_block_count_y
      - .offset:         216
        .size:           4
        .value_kind:     hidden_block_count_z
      - .offset:         220
        .size:           2
        .value_kind:     hidden_group_size_x
      - .offset:         222
        .size:           2
        .value_kind:     hidden_group_size_y
      - .offset:         224
        .size:           2
        .value_kind:     hidden_group_size_z
      - .offset:         226
        .size:           2
        .value_kind:     hidden_remainder_x
      - .offset:         228
        .size:           2
        .value_kind:     hidden_remainder_y
      - .offset:         230
        .size:           2
        .value_kind:     hidden_remainder_z
      - .offset:         248
        .size:           8
        .value_kind:     hidden_global_offset_x
      - .offset:         256
        .size:           8
        .value_kind:     hidden_global_offset_y
      - .offset:         264
        .size:           8
        .value_kind:     hidden_global_offset_z
      - .offset:         272
        .size:           2
        .value_kind:     hidden_grid_dims
      - .offset:         288
        .size:           8
        .value_kind:     hidden_hostcall_buffer
    .group_segment_fixed_size: 0
    .kernarg_segment_align: 8
    .kernarg_segment_size: 464
    .language:       OpenCL C
    .language_version:
      - 2
      - 0
    .max_flat_workgroup_size: 256
    .name:           _ZL15flash_attn_tileILi72ELi72ELi64ELi1ELb1EEvPKcS1_S1_S1_S1_PKiPfP15HIP_vector_typeIfLj2EEffffjfiS5_IjLj3EEiiiiiiiiiiiliiliiiiil
    .private_segment_fixed_size: 16
    .sgpr_count:     36
    .sgpr_spill_count: 0
    .symbol:         _ZL15flash_attn_tileILi72ELi72ELi64ELi1ELb1EEvPKcS1_S1_S1_S1_PKiPfP15HIP_vector_typeIfLj2EEffffjfiS5_IjLj3EEiiiiiiiiiiiliiliiiiil.kd
    .uniform_work_group_size: 1
    .uses_dynamic_stack: false
    .vgpr_count:     50
    .vgpr_spill_count: 0
    .wavefront_size: 32
  - .args:
      - .address_space:  global
        .offset:         0
        .size:           8
        .value_kind:     global_buffer
      - .address_space:  global
        .offset:         8
        .size:           8
        .value_kind:     global_buffer
      - .address_space:  global
        .offset:         16
        .size:           8
        .value_kind:     global_buffer
      - .address_space:  global
        .offset:         24
        .size:           8
        .value_kind:     global_buffer
      - .address_space:  global
        .offset:         32
        .size:           8
        .value_kind:     global_buffer
      - .address_space:  global
        .offset:         40
        .size:           8
        .value_kind:     global_buffer
      - .address_space:  global
        .offset:         48
        .size:           8
        .value_kind:     global_buffer
      - .address_space:  global
        .offset:         56
        .size:           8
        .value_kind:     global_buffer
      - .offset:         64
        .size:           4
        .value_kind:     by_value
      - .offset:         68
        .size:           4
        .value_kind:     by_value
      - .offset:         72
        .size:           4
        .value_kind:     by_value
      - .offset:         76
        .size:           4
        .value_kind:     by_value
      - .offset:         80
        .size:           4
        .value_kind:     by_value
      - .offset:         84
        .size:           4
        .value_kind:     by_value
      - .offset:         88
        .size:           4
        .value_kind:     by_value
      - .offset:         92
        .size:           12
        .value_kind:     by_value
      - .offset:         104
        .size:           4
        .value_kind:     by_value
      - .offset:         108
        .size:           4
        .value_kind:     by_value
      - .offset:         112
        .size:           4
        .value_kind:     by_value
      - .offset:         116
        .size:           4
        .value_kind:     by_value
      - .offset:         120
        .size:           4
        .value_kind:     by_value
      - .offset:         124
        .size:           4
        .value_kind:     by_value
      - .offset:         128
        .size:           4
        .value_kind:     by_value
      - .offset:         132
        .size:           4
        .value_kind:     by_value
      - .offset:         136
        .size:           4
        .value_kind:     by_value
      - .offset:         140
        .size:           4
        .value_kind:     by_value
      - .offset:         144
        .size:           4
        .value_kind:     by_value
      - .offset:         152
        .size:           8
        .value_kind:     by_value
      - .offset:         160
        .size:           4
        .value_kind:     by_value
      - .offset:         164
        .size:           4
        .value_kind:     by_value
      - .offset:         168
        .size:           8
        .value_kind:     by_value
      - .offset:         176
        .size:           4
        .value_kind:     by_value
      - .offset:         180
        .size:           4
        .value_kind:     by_value
      - .offset:         184
        .size:           4
        .value_kind:     by_value
      - .offset:         188
        .size:           4
        .value_kind:     by_value
      - .offset:         192
        .size:           4
        .value_kind:     by_value
      - .offset:         200
        .size:           8
        .value_kind:     by_value
      - .offset:         208
        .size:           4
        .value_kind:     hidden_block_count_x
      - .offset:         212
        .size:           4
        .value_kind:     hidden_block_count_y
      - .offset:         216
        .size:           4
        .value_kind:     hidden_block_count_z
      - .offset:         220
        .size:           2
        .value_kind:     hidden_group_size_x
      - .offset:         222
        .size:           2
        .value_kind:     hidden_group_size_y
      - .offset:         224
        .size:           2
        .value_kind:     hidden_group_size_z
      - .offset:         226
        .size:           2
        .value_kind:     hidden_remainder_x
      - .offset:         228
        .size:           2
        .value_kind:     hidden_remainder_y
      - .offset:         230
        .size:           2
        .value_kind:     hidden_remainder_z
      - .offset:         248
        .size:           8
        .value_kind:     hidden_global_offset_x
      - .offset:         256
        .size:           8
        .value_kind:     hidden_global_offset_y
      - .offset:         264
        .size:           8
        .value_kind:     hidden_global_offset_z
      - .offset:         272
        .size:           2
        .value_kind:     hidden_grid_dims
      - .offset:         288
        .size:           8
        .value_kind:     hidden_hostcall_buffer
    .group_segment_fixed_size: 0
    .kernarg_segment_align: 8
    .kernarg_segment_size: 464
    .language:       OpenCL C
    .language_version:
      - 2
      - 0
    .max_flat_workgroup_size: 256
    .name:           _ZL15flash_attn_tileILi72ELi72ELi32ELi1ELb1EEvPKcS1_S1_S1_S1_PKiPfP15HIP_vector_typeIfLj2EEffffjfiS5_IjLj3EEiiiiiiiiiiiliiliiiiil
    .private_segment_fixed_size: 16
    .sgpr_count:     36
    .sgpr_spill_count: 0
    .symbol:         _ZL15flash_attn_tileILi72ELi72ELi32ELi1ELb1EEvPKcS1_S1_S1_S1_PKiPfP15HIP_vector_typeIfLj2EEffffjfiS5_IjLj3EEiiiiiiiiiiiliiliiiiil.kd
    .uniform_work_group_size: 1
    .uses_dynamic_stack: false
    .vgpr_count:     50
    .vgpr_spill_count: 0
    .wavefront_size: 32
  - .args:
      - .address_space:  global
        .offset:         0
        .size:           8
        .value_kind:     global_buffer
      - .address_space:  global
        .offset:         8
        .size:           8
        .value_kind:     global_buffer
      - .address_space:  global
        .offset:         16
        .size:           8
        .value_kind:     global_buffer
      - .address_space:  global
        .offset:         24
        .size:           8
        .value_kind:     global_buffer
      - .address_space:  global
        .offset:         32
        .size:           8
        .value_kind:     global_buffer
      - .address_space:  global
        .offset:         40
        .size:           8
        .value_kind:     global_buffer
      - .address_space:  global
        .offset:         48
        .size:           8
        .value_kind:     global_buffer
      - .address_space:  global
        .offset:         56
        .size:           8
        .value_kind:     global_buffer
      - .offset:         64
        .size:           4
        .value_kind:     by_value
      - .offset:         68
        .size:           4
        .value_kind:     by_value
      - .offset:         72
        .size:           4
        .value_kind:     by_value
      - .offset:         76
        .size:           4
        .value_kind:     by_value
      - .offset:         80
        .size:           4
        .value_kind:     by_value
      - .offset:         84
        .size:           4
        .value_kind:     by_value
      - .offset:         88
        .size:           4
        .value_kind:     by_value
      - .offset:         92
        .size:           12
        .value_kind:     by_value
      - .offset:         104
        .size:           4
        .value_kind:     by_value
      - .offset:         108
        .size:           4
        .value_kind:     by_value
      - .offset:         112
        .size:           4
        .value_kind:     by_value
      - .offset:         116
        .size:           4
        .value_kind:     by_value
      - .offset:         120
        .size:           4
        .value_kind:     by_value
      - .offset:         124
        .size:           4
        .value_kind:     by_value
      - .offset:         128
        .size:           4
        .value_kind:     by_value
      - .offset:         132
        .size:           4
        .value_kind:     by_value
      - .offset:         136
        .size:           4
        .value_kind:     by_value
      - .offset:         140
        .size:           4
        .value_kind:     by_value
      - .offset:         144
        .size:           4
        .value_kind:     by_value
      - .offset:         152
        .size:           8
        .value_kind:     by_value
      - .offset:         160
        .size:           4
        .value_kind:     by_value
      - .offset:         164
        .size:           4
        .value_kind:     by_value
      - .offset:         168
        .size:           8
        .value_kind:     by_value
      - .offset:         176
        .size:           4
        .value_kind:     by_value
      - .offset:         180
        .size:           4
        .value_kind:     by_value
      - .offset:         184
        .size:           4
        .value_kind:     by_value
      - .offset:         188
        .size:           4
        .value_kind:     by_value
      - .offset:         192
        .size:           4
        .value_kind:     by_value
      - .offset:         200
        .size:           8
        .value_kind:     by_value
      - .offset:         208
        .size:           4
        .value_kind:     hidden_block_count_x
      - .offset:         212
        .size:           4
        .value_kind:     hidden_block_count_y
      - .offset:         216
        .size:           4
        .value_kind:     hidden_block_count_z
      - .offset:         220
        .size:           2
        .value_kind:     hidden_group_size_x
      - .offset:         222
        .size:           2
        .value_kind:     hidden_group_size_y
      - .offset:         224
        .size:           2
        .value_kind:     hidden_group_size_z
      - .offset:         226
        .size:           2
        .value_kind:     hidden_remainder_x
      - .offset:         228
        .size:           2
        .value_kind:     hidden_remainder_y
      - .offset:         230
        .size:           2
        .value_kind:     hidden_remainder_z
      - .offset:         248
        .size:           8
        .value_kind:     hidden_global_offset_x
      - .offset:         256
        .size:           8
        .value_kind:     hidden_global_offset_y
      - .offset:         264
        .size:           8
        .value_kind:     hidden_global_offset_z
      - .offset:         272
        .size:           2
        .value_kind:     hidden_grid_dims
      - .offset:         288
        .size:           8
        .value_kind:     hidden_hostcall_buffer
    .group_segment_fixed_size: 0
    .kernarg_segment_align: 8
    .kernarg_segment_size: 464
    .language:       OpenCL C
    .language_version:
      - 2
      - 0
    .max_flat_workgroup_size: 256
    .name:           _ZL15flash_attn_tileILi72ELi72ELi16ELi1ELb1EEvPKcS1_S1_S1_S1_PKiPfP15HIP_vector_typeIfLj2EEffffjfiS5_IjLj3EEiiiiiiiiiiiliiliiiiil
    .private_segment_fixed_size: 16
    .sgpr_count:     36
    .sgpr_spill_count: 0
    .symbol:         _ZL15flash_attn_tileILi72ELi72ELi16ELi1ELb1EEvPKcS1_S1_S1_S1_PKiPfP15HIP_vector_typeIfLj2EEffffjfiS5_IjLj3EEiiiiiiiiiiiliiliiiiil.kd
    .uniform_work_group_size: 1
    .uses_dynamic_stack: false
    .vgpr_count:     50
    .vgpr_spill_count: 0
    .wavefront_size: 32
  - .args:
      - .address_space:  global
        .offset:         0
        .size:           8
        .value_kind:     global_buffer
      - .address_space:  global
        .offset:         8
        .size:           8
        .value_kind:     global_buffer
      - .address_space:  global
        .offset:         16
        .size:           8
        .value_kind:     global_buffer
      - .address_space:  global
        .offset:         24
        .size:           8
        .value_kind:     global_buffer
      - .address_space:  global
        .offset:         32
        .size:           8
        .value_kind:     global_buffer
      - .address_space:  global
        .offset:         40
        .size:           8
        .value_kind:     global_buffer
      - .address_space:  global
        .offset:         48
        .size:           8
        .value_kind:     global_buffer
      - .address_space:  global
        .offset:         56
        .size:           8
        .value_kind:     global_buffer
      - .offset:         64
        .size:           4
        .value_kind:     by_value
      - .offset:         68
        .size:           4
        .value_kind:     by_value
      - .offset:         72
        .size:           4
        .value_kind:     by_value
      - .offset:         76
        .size:           4
        .value_kind:     by_value
      - .offset:         80
        .size:           4
        .value_kind:     by_value
      - .offset:         84
        .size:           4
        .value_kind:     by_value
      - .offset:         88
        .size:           4
        .value_kind:     by_value
      - .offset:         92
        .size:           12
        .value_kind:     by_value
      - .offset:         104
        .size:           4
        .value_kind:     by_value
      - .offset:         108
        .size:           4
        .value_kind:     by_value
      - .offset:         112
        .size:           4
        .value_kind:     by_value
      - .offset:         116
        .size:           4
        .value_kind:     by_value
      - .offset:         120
        .size:           4
        .value_kind:     by_value
      - .offset:         124
        .size:           4
        .value_kind:     by_value
      - .offset:         128
        .size:           4
        .value_kind:     by_value
      - .offset:         132
        .size:           4
        .value_kind:     by_value
      - .offset:         136
        .size:           4
        .value_kind:     by_value
      - .offset:         140
        .size:           4
        .value_kind:     by_value
      - .offset:         144
        .size:           4
        .value_kind:     by_value
      - .offset:         152
        .size:           8
        .value_kind:     by_value
      - .offset:         160
        .size:           4
        .value_kind:     by_value
      - .offset:         164
        .size:           4
        .value_kind:     by_value
      - .offset:         168
        .size:           8
        .value_kind:     by_value
      - .offset:         176
        .size:           4
        .value_kind:     by_value
      - .offset:         180
        .size:           4
        .value_kind:     by_value
      - .offset:         184
        .size:           4
        .value_kind:     by_value
      - .offset:         188
        .size:           4
        .value_kind:     by_value
      - .offset:         192
        .size:           4
        .value_kind:     by_value
      - .offset:         200
        .size:           8
        .value_kind:     by_value
      - .offset:         208
        .size:           4
        .value_kind:     hidden_block_count_x
      - .offset:         212
        .size:           4
        .value_kind:     hidden_block_count_y
      - .offset:         216
        .size:           4
        .value_kind:     hidden_block_count_z
      - .offset:         220
        .size:           2
        .value_kind:     hidden_group_size_x
      - .offset:         222
        .size:           2
        .value_kind:     hidden_group_size_y
      - .offset:         224
        .size:           2
        .value_kind:     hidden_group_size_z
      - .offset:         226
        .size:           2
        .value_kind:     hidden_remainder_x
      - .offset:         228
        .size:           2
        .value_kind:     hidden_remainder_y
      - .offset:         230
        .size:           2
        .value_kind:     hidden_remainder_z
      - .offset:         248
        .size:           8
        .value_kind:     hidden_global_offset_x
      - .offset:         256
        .size:           8
        .value_kind:     hidden_global_offset_y
      - .offset:         264
        .size:           8
        .value_kind:     hidden_global_offset_z
      - .offset:         272
        .size:           2
        .value_kind:     hidden_grid_dims
      - .offset:         288
        .size:           8
        .value_kind:     hidden_hostcall_buffer
    .group_segment_fixed_size: 0
    .kernarg_segment_align: 8
    .kernarg_segment_size: 464
    .language:       OpenCL C
    .language_version:
      - 2
      - 0
    .max_flat_workgroup_size: 256
    .name:           _ZL15flash_attn_tileILi72ELi72ELi8ELi1ELb1EEvPKcS1_S1_S1_S1_PKiPfP15HIP_vector_typeIfLj2EEffffjfiS5_IjLj3EEiiiiiiiiiiiliiliiiiil
    .private_segment_fixed_size: 16
    .sgpr_count:     36
    .sgpr_spill_count: 0
    .symbol:         _ZL15flash_attn_tileILi72ELi72ELi8ELi1ELb1EEvPKcS1_S1_S1_S1_PKiPfP15HIP_vector_typeIfLj2EEffffjfiS5_IjLj3EEiiiiiiiiiiiliiliiiiil.kd
    .uniform_work_group_size: 1
    .uses_dynamic_stack: false
    .vgpr_count:     50
    .vgpr_spill_count: 0
    .wavefront_size: 32
  - .args:
      - .address_space:  global
        .offset:         0
        .size:           8
        .value_kind:     global_buffer
      - .address_space:  global
        .offset:         8
        .size:           8
        .value_kind:     global_buffer
      - .address_space:  global
        .offset:         16
        .size:           8
        .value_kind:     global_buffer
      - .address_space:  global
        .offset:         24
        .size:           8
        .value_kind:     global_buffer
      - .address_space:  global
        .offset:         32
        .size:           8
        .value_kind:     global_buffer
      - .address_space:  global
        .offset:         40
        .size:           8
        .value_kind:     global_buffer
      - .address_space:  global
        .offset:         48
        .size:           8
        .value_kind:     global_buffer
      - .address_space:  global
        .offset:         56
        .size:           8
        .value_kind:     global_buffer
      - .offset:         64
        .size:           4
        .value_kind:     by_value
      - .offset:         68
        .size:           4
        .value_kind:     by_value
      - .offset:         72
        .size:           4
        .value_kind:     by_value
      - .offset:         76
        .size:           4
        .value_kind:     by_value
      - .offset:         80
        .size:           4
        .value_kind:     by_value
      - .offset:         84
        .size:           4
        .value_kind:     by_value
      - .offset:         88
        .size:           4
        .value_kind:     by_value
      - .offset:         92
        .size:           12
        .value_kind:     by_value
      - .offset:         104
        .size:           4
        .value_kind:     by_value
      - .offset:         108
        .size:           4
        .value_kind:     by_value
      - .offset:         112
        .size:           4
        .value_kind:     by_value
      - .offset:         116
        .size:           4
        .value_kind:     by_value
      - .offset:         120
        .size:           4
        .value_kind:     by_value
      - .offset:         124
        .size:           4
        .value_kind:     by_value
      - .offset:         128
        .size:           4
        .value_kind:     by_value
      - .offset:         132
        .size:           4
        .value_kind:     by_value
      - .offset:         136
        .size:           4
        .value_kind:     by_value
      - .offset:         140
        .size:           4
        .value_kind:     by_value
      - .offset:         144
        .size:           4
        .value_kind:     by_value
      - .offset:         152
        .size:           8
        .value_kind:     by_value
      - .offset:         160
        .size:           4
        .value_kind:     by_value
      - .offset:         164
        .size:           4
        .value_kind:     by_value
      - .offset:         168
        .size:           8
        .value_kind:     by_value
      - .offset:         176
        .size:           4
        .value_kind:     by_value
      - .offset:         180
        .size:           4
        .value_kind:     by_value
      - .offset:         184
        .size:           4
        .value_kind:     by_value
      - .offset:         188
        .size:           4
        .value_kind:     by_value
      - .offset:         192
        .size:           4
        .value_kind:     by_value
      - .offset:         200
        .size:           8
        .value_kind:     by_value
      - .offset:         208
        .size:           4
        .value_kind:     hidden_block_count_x
      - .offset:         212
        .size:           4
        .value_kind:     hidden_block_count_y
      - .offset:         216
        .size:           4
        .value_kind:     hidden_block_count_z
      - .offset:         220
        .size:           2
        .value_kind:     hidden_group_size_x
      - .offset:         222
        .size:           2
        .value_kind:     hidden_group_size_y
      - .offset:         224
        .size:           2
        .value_kind:     hidden_group_size_z
      - .offset:         226
        .size:           2
        .value_kind:     hidden_remainder_x
      - .offset:         228
        .size:           2
        .value_kind:     hidden_remainder_y
      - .offset:         230
        .size:           2
        .value_kind:     hidden_remainder_z
      - .offset:         248
        .size:           8
        .value_kind:     hidden_global_offset_x
      - .offset:         256
        .size:           8
        .value_kind:     hidden_global_offset_y
      - .offset:         264
        .size:           8
        .value_kind:     hidden_global_offset_z
      - .offset:         272
        .size:           2
        .value_kind:     hidden_grid_dims
      - .offset:         288
        .size:           8
        .value_kind:     hidden_hostcall_buffer
    .group_segment_fixed_size: 0
    .kernarg_segment_align: 8
    .kernarg_segment_size: 464
    .language:       OpenCL C
    .language_version:
      - 2
      - 0
    .max_flat_workgroup_size: 128
    .name:           _ZL15flash_attn_tileILi72ELi72ELi4ELi1ELb1EEvPKcS1_S1_S1_S1_PKiPfP15HIP_vector_typeIfLj2EEffffjfiS5_IjLj3EEiiiiiiiiiiiliiliiiiil
    .private_segment_fixed_size: 16
    .sgpr_count:     36
    .sgpr_spill_count: 0
    .symbol:         _ZL15flash_attn_tileILi72ELi72ELi4ELi1ELb1EEvPKcS1_S1_S1_S1_PKiPfP15HIP_vector_typeIfLj2EEffffjfiS5_IjLj3EEiiiiiiiiiiiliiliiiiil.kd
    .uniform_work_group_size: 1
    .uses_dynamic_stack: false
    .vgpr_count:     50
    .vgpr_spill_count: 0
    .wavefront_size: 32
  - .args:
      - .address_space:  global
        .offset:         0
        .size:           8
        .value_kind:     global_buffer
      - .address_space:  global
        .offset:         8
        .size:           8
        .value_kind:     global_buffer
      - .address_space:  global
        .offset:         16
        .size:           8
        .value_kind:     global_buffer
      - .address_space:  global
        .offset:         24
        .size:           8
        .value_kind:     global_buffer
      - .address_space:  global
        .offset:         32
        .size:           8
        .value_kind:     global_buffer
      - .address_space:  global
        .offset:         40
        .size:           8
        .value_kind:     global_buffer
      - .address_space:  global
        .offset:         48
        .size:           8
        .value_kind:     global_buffer
      - .address_space:  global
        .offset:         56
        .size:           8
        .value_kind:     global_buffer
      - .offset:         64
        .size:           4
        .value_kind:     by_value
      - .offset:         68
        .size:           4
        .value_kind:     by_value
      - .offset:         72
        .size:           4
        .value_kind:     by_value
      - .offset:         76
        .size:           4
        .value_kind:     by_value
      - .offset:         80
        .size:           4
        .value_kind:     by_value
      - .offset:         84
        .size:           4
        .value_kind:     by_value
      - .offset:         88
        .size:           4
        .value_kind:     by_value
      - .offset:         92
        .size:           12
        .value_kind:     by_value
      - .offset:         104
        .size:           4
        .value_kind:     by_value
      - .offset:         108
        .size:           4
        .value_kind:     by_value
      - .offset:         112
        .size:           4
        .value_kind:     by_value
      - .offset:         116
        .size:           4
        .value_kind:     by_value
      - .offset:         120
        .size:           4
        .value_kind:     by_value
      - .offset:         124
        .size:           4
        .value_kind:     by_value
      - .offset:         128
        .size:           4
        .value_kind:     by_value
      - .offset:         132
        .size:           4
        .value_kind:     by_value
      - .offset:         136
        .size:           4
        .value_kind:     by_value
      - .offset:         140
        .size:           4
        .value_kind:     by_value
      - .offset:         144
        .size:           4
        .value_kind:     by_value
      - .offset:         152
        .size:           8
        .value_kind:     by_value
      - .offset:         160
        .size:           4
        .value_kind:     by_value
      - .offset:         164
        .size:           4
        .value_kind:     by_value
      - .offset:         168
        .size:           8
        .value_kind:     by_value
      - .offset:         176
        .size:           4
        .value_kind:     by_value
      - .offset:         180
        .size:           4
        .value_kind:     by_value
      - .offset:         184
        .size:           4
        .value_kind:     by_value
      - .offset:         188
        .size:           4
        .value_kind:     by_value
      - .offset:         192
        .size:           4
        .value_kind:     by_value
      - .offset:         200
        .size:           8
        .value_kind:     by_value
      - .offset:         208
        .size:           4
        .value_kind:     hidden_block_count_x
      - .offset:         212
        .size:           4
        .value_kind:     hidden_block_count_y
      - .offset:         216
        .size:           4
        .value_kind:     hidden_block_count_z
      - .offset:         220
        .size:           2
        .value_kind:     hidden_group_size_x
      - .offset:         222
        .size:           2
        .value_kind:     hidden_group_size_y
      - .offset:         224
        .size:           2
        .value_kind:     hidden_group_size_z
      - .offset:         226
        .size:           2
        .value_kind:     hidden_remainder_x
      - .offset:         228
        .size:           2
        .value_kind:     hidden_remainder_y
      - .offset:         230
        .size:           2
        .value_kind:     hidden_remainder_z
      - .offset:         248
        .size:           8
        .value_kind:     hidden_global_offset_x
      - .offset:         256
        .size:           8
        .value_kind:     hidden_global_offset_y
      - .offset:         264
        .size:           8
        .value_kind:     hidden_global_offset_z
      - .offset:         272
        .size:           2
        .value_kind:     hidden_grid_dims
      - .offset:         288
        .size:           8
        .value_kind:     hidden_hostcall_buffer
    .group_segment_fixed_size: 0
    .kernarg_segment_align: 8
    .kernarg_segment_size: 464
    .language:       OpenCL C
    .language_version:
      - 2
      - 0
    .max_flat_workgroup_size: 64
    .name:           _ZL15flash_attn_tileILi72ELi72ELi2ELi1ELb1EEvPKcS1_S1_S1_S1_PKiPfP15HIP_vector_typeIfLj2EEffffjfiS5_IjLj3EEiiiiiiiiiiiliiliiiiil
    .private_segment_fixed_size: 16
    .sgpr_count:     36
    .sgpr_spill_count: 0
    .symbol:         _ZL15flash_attn_tileILi72ELi72ELi2ELi1ELb1EEvPKcS1_S1_S1_S1_PKiPfP15HIP_vector_typeIfLj2EEffffjfiS5_IjLj3EEiiiiiiiiiiiliiliiiiil.kd
    .uniform_work_group_size: 1
    .uses_dynamic_stack: false
    .vgpr_count:     50
    .vgpr_spill_count: 0
    .wavefront_size: 32
amdhsa.target:   amdgcn-amd-amdhsa--gfx1250
amdhsa.version:
  - 1
  - 2
...

	.end_amdgpu_metadata
